;; amdgpu-corpus repo=ggml-org/llama.cpp kind=compiled arch=gfx1030 opt=O3
	.amdgcn_target "amdgcn-amd-amdhsa--gfx1030"
	.amdhsa_code_object_version 6
	.section	.text._ZL15flash_attn_tileILi64ELi64ELi8ELi8ELb0EEvPKcS1_S1_S1_S1_PKiPfP15HIP_vector_typeIfLj2EEffffjfiS5_IjLj3EEiiiiiiiiiiiliiliiiiil,"axG",@progbits,_ZL15flash_attn_tileILi64ELi64ELi8ELi8ELb0EEvPKcS1_S1_S1_S1_PKiPfP15HIP_vector_typeIfLj2EEffffjfiS5_IjLj3EEiiiiiiiiiiiliiliiiiil,comdat
	.globl	_ZL15flash_attn_tileILi64ELi64ELi8ELi8ELb0EEvPKcS1_S1_S1_S1_PKiPfP15HIP_vector_typeIfLj2EEffffjfiS5_IjLj3EEiiiiiiiiiiiliiliiiiil ; -- Begin function _ZL15flash_attn_tileILi64ELi64ELi8ELi8ELb0EEvPKcS1_S1_S1_S1_PKiPfP15HIP_vector_typeIfLj2EEffffjfiS5_IjLj3EEiiiiiiiiiiiliiliiiiil
	.p2align	8
	.type	_ZL15flash_attn_tileILi64ELi64ELi8ELi8ELb0EEvPKcS1_S1_S1_S1_PKiPfP15HIP_vector_typeIfLj2EEffffjfiS5_IjLj3EEiiiiiiiiiiiliiliiiiil,@function
_ZL15flash_attn_tileILi64ELi64ELi8ELi8ELb0EEvPKcS1_S1_S1_S1_PKiPfP15HIP_vector_typeIfLj2EEffffjfiS5_IjLj3EEiiiiiiiiiiiliiliiiiil: ; @_ZL15flash_attn_tileILi64ELi64ELi8ELi8ELb0EEvPKcS1_S1_S1_S1_PKiPfP15HIP_vector_typeIfLj2EEffffjfiS5_IjLj3EEiiiiiiiiiiiliiliiiiil
; %bb.0:
	s_mov_b64 s[54:55], s[2:3]
	s_mov_b64 s[52:53], s[0:1]
	s_clause 0x1
	s_load_dwordx4 s[0:3], s[4:5], 0x5c
	s_load_dwordx2 s[34:35], s[4:5], 0x80
	s_add_u32 s52, s52, s9
	s_addc_u32 s53, s53, 0
	s_mov_b32 s28, s7
	v_mov_b32_e32 v78, v0
	s_mov_b64 s[36:37], 0
	s_waitcnt lgkmcnt(0)
	s_ashr_i32 s7, s3, 31
	s_lshr_b32 s7, s7, 29
	s_add_i32 s7, s3, s7
	s_ashr_i32 s7, s7, 3
	v_cvt_f32_u32_e32 v0, s7
	s_sub_i32 s10, 0, s7
	v_rcp_iflag_f32_e32 v0, v0
	v_mul_f32_e32 v0, 0x4f7ffffe, v0
	v_cvt_u32_f32_e32 v0, v0
	v_readfirstlane_b32 s9, v0
	s_mul_i32 s10, s10, s9
	s_mul_hi_u32 s10, s9, s10
	s_add_i32 s9, s9, s10
	s_mul_hi_u32 s9, s8, s9
	s_mul_i32 s10, s9, s7
	s_add_i32 s11, s9, 1
	s_sub_i32 s10, s8, s10
	s_sub_i32 s12, s10, s7
	s_cmp_ge_u32 s10, s7
	s_cselect_b32 s9, s11, s9
	s_cselect_b32 s10, s12, s10
	s_add_i32 s11, s9, 1
	s_cmp_ge_u32 s10, s7
	s_cselect_b32 s29, s11, s9
	s_abs_i32 s7, s35
	s_lshl_b32 s8, s8, 3
	v_cvt_f32_u32_e32 v0, s7
	s_sub_i32 s10, 0, s7
	s_mul_i32 s11, s29, s3
	s_abs_i32 s12, s3
	s_sub_i32 s30, s8, s11
	v_rcp_iflag_f32_e32 v0, v0
	v_mul_f32_e32 v0, 0x4f7ffffe, v0
	v_cvt_u32_f32_e32 v0, v0
	v_readfirstlane_b32 s9, v0
	s_mul_i32 s10, s10, s9
	s_mul_hi_u32 s10, s9, s10
	s_add_i32 s9, s9, s10
	s_mul_hi_u32 s8, s12, s9
	s_xor_b32 s9, s3, s35
	s_mul_i32 s10, s8, s7
	s_ashr_i32 s9, s9, 31
	s_sub_i32 s10, s12, s10
	s_add_i32 s11, s8, 1
	s_sub_i32 s12, s10, s7
	s_cmp_ge_u32 s10, s7
	s_cselect_b32 s8, s11, s8
	s_cselect_b32 s10, s12, s10
	s_add_i32 s11, s8, 1
	s_cmp_ge_u32 s10, s7
	s_cselect_b32 s7, s11, s8
	s_xor_b32 s7, s7, s9
	s_sub_i32 s35, s7, s9
	s_clause 0x1
	s_load_dwordx16 s[8:23], s[4:5], 0x0
	s_load_dwordx2 s[38:39], s[4:5], 0xb8
	s_abs_i32 s31, s35
	v_cvt_f32_u32_e32 v0, s31
	v_rcp_iflag_f32_e32 v0, v0
	v_mul_f32_e32 v0, 0x4f7ffffe, v0
	s_waitcnt lgkmcnt(0)
	s_cmp_eq_u64 s[14:15], 0
	v_cvt_u32_f32_e32 v0, v0
	v_readfirstlane_b32 s40, v0
	s_cbranch_scc1 .LBB0_2
; %bb.1:
	s_abs_i32 s7, s38
	s_abs_i32 s26, s29
	v_cvt_f32_u32_e32 v0, s7
	s_sub_i32 s25, 0, s7
	v_rcp_iflag_f32_e32 v0, v0
	v_mul_f32_e32 v0, 0x4f7ffffe, v0
	v_cvt_u32_f32_e32 v0, v0
	v_readfirstlane_b32 s24, v0
	s_mul_i32 s25, s25, s24
	s_mul_hi_u32 s25, s24, s25
	s_add_i32 s24, s24, s25
	s_mul_hi_u32 s27, s26, s24
	s_load_dwordx2 s[24:25], s[4:5], 0xc8
	s_mul_i32 s27, s27, s7
	s_sub_i32 s26, s26, s27
	s_ashr_i32 s27, s29, 31
	s_sub_i32 s33, s26, s7
	s_cmp_ge_u32 s26, s7
	s_cselect_b32 s26, s33, s26
	s_sub_i32 s33, s26, s7
	s_cmp_ge_u32 s26, s7
	s_cselect_b32 s7, s33, s26
	s_xor_b32 s7, s7, s27
	s_sub_i32 s7, s7, s27
	s_ashr_i32 s26, s7, 31
	s_waitcnt lgkmcnt(0)
	s_mul_hi_u32 s27, s24, s7
	s_mul_i32 s26, s24, s26
	s_mul_i32 s25, s25, s7
	s_add_i32 s26, s27, s26
	s_mul_i32 s7, s24, s7
	s_add_i32 s26, s26, s25
	s_add_u32 s36, s14, s7
	s_addc_u32 s37, s15, s26
.LBB0_2:
	v_lshlrev_b32_e32 v172, 1, v1
	s_lshl_b32 s33, s6, 3
	s_load_dwordx4 s[24:27], s[4:5], 0x70
	v_lshlrev_b32_e32 v3, 4, v1
	v_lshlrev_b32_e32 v41, 3, v78
	v_add_nc_u32_e32 v173, s33, v172
	v_or_b32_e32 v4, 8, v3
	v_or_b32_e32 v42, 9, v3
	v_mul_hi_u32 v0, v173, s0
	v_or_b32_e32 v43, 10, v3
	v_or_b32_e32 v44, 11, v3
	v_lshrrev_b32_e32 v166, 3, v4
	v_lshrrev_b32_e32 v167, 3, v42
	v_or_b32_e32 v45, 12, v3
	v_lshrrev_b32_e32 v165, 3, v43
	v_lshrrev_b32_e32 v161, 3, v44
	v_add_nc_u32_e32 v0, v173, v0
	v_add_nc_u32_e32 v170, s33, v166
	;; [unrolled: 1-line block ×4, first 2 shown]
	s_waitcnt lgkmcnt(0)
	s_mul_i32 s7, s29, s26
	v_lshrrev_b32_e32 v0, s1, v0
	s_mul_i32 s15, s30, s25
	s_ashr_i32 s26, s7, 31
	s_add_u32 s7, s8, s7
	s_addc_u32 s8, s9, s26
	v_mul_lo_u32 v0, v0, s2
	s_ashr_i32 s9, s15, 31
	s_add_u32 s26, s7, s15
	s_mov_b32 s14, s24
	s_addc_u32 s27, s8, s9
	s_ashr_i32 s15, s24, 31
	s_mov_b32 s42, s25
	s_lshr_b64 s[8:9], s[14:15], 2
	v_sub_nc_u32_e32 v2, v173, v0
	s_lshr_b32 s7, s15, 2
	s_ashr_i32 s43, s25, 31
	s_and_b32 s24, s25, -4
	s_lshr_b64 s[14:15], s[42:43], 2
	v_mad_u64_u32 v[5:6], null, s8, v2, 0
	s_add_u32 s47, s26, s24
	s_addc_u32 s48, s27, s43
	s_lshl_b64 s[44:45], s[14:15], 3
	s_mul_hi_u32 s9, s14, 12
	s_add_u32 s44, s26, s44
	s_addc_u32 s45, s27, s45
	v_mov_b32_e32 v0, v6
	s_lshr_b32 s46, s43, 2
	s_mul_i32 s15, s14, 12
	s_mul_i32 s25, s46, 12
	v_mul_hi_u32 v17, v170, s0
	v_mad_u64_u32 v[6:7], null, s7, v2, v[0:1]
	s_add_i32 s25, s9, s25
	s_add_u32 s9, s26, s15
	s_addc_u32 s15, s27, s25
	s_and_b32 s25, s43, 0x3fffffff
	s_mul_i32 s42, s14, 20
	s_lshl_b64 s[24:25], s[24:25], 2
	v_lshlrev_b64 v[5:6], 2, v[5:6]
	s_add_u32 s38, s26, s24
	s_addc_u32 s41, s27, s25
	s_mul_i32 s24, s46, 20
	s_mul_hi_u32 s25, s14, 20
	s_mul_hi_u32 s43, s14, 24
	v_add_co_u32 v0, vcc_lo, s26, v5
	v_add_co_ci_u32_e64 v8, null, s27, v6, vcc_lo
	v_add_co_u32 v9, vcc_lo, s47, v5
	v_add_co_ci_u32_e64 v10, null, s48, v6, vcc_lo
	;; [unrolled: 2-line block ×9, first 2 shown]
	s_add_i32 s25, s25, s24
	v_add_co_u32 v15, vcc_lo, v0, v41
	v_add_nc_u32_e32 v0, v170, v17
	s_add_u32 s24, s26, s42
	v_add_co_ci_u32_e64 v16, null, 0, v16, vcc_lo
	s_addc_u32 s25, s27, s25
	v_lshrrev_b32_e32 v0, s1, v0
	v_add_co_u32 v17, vcc_lo, s24, v5
	s_mul_i32 s42, s46, 24
	v_mul_hi_u32 v21, v169, s0
	v_mul_lo_u32 v0, v0, s2
	v_add_co_ci_u32_e64 v18, null, s25, v6, vcc_lo
	s_add_i32 s43, s43, s42
	s_mul_i32 s42, s14, 24
	v_add_co_u32 v17, vcc_lo, v17, v41
	s_add_u32 s42, s26, s42
	v_sub_nc_u32_e32 v24, v170, v0
	v_add_co_ci_u32_e64 v18, null, 0, v18, vcc_lo
	s_addc_u32 s43, s27, s43
	v_add_co_u32 v22, vcc_lo, s42, v5
	v_add_co_ci_u32_e64 v23, null, s43, v6, vcc_lo
	v_add_nc_u32_e32 v0, v169, v21
	v_mad_u64_u32 v[19:20], null, s8, v24, 0
	v_add_co_u32 v21, vcc_lo, v22, v41
	v_add_co_ci_u32_e64 v22, null, 0, v23, vcc_lo
	v_lshrrev_b32_e32 v23, s1, v0
	s_mul_i32 s46, s46, 28
	v_mov_b32_e32 v0, v20
	s_mul_hi_u32 s49, s14, 28
	s_mul_i32 s14, s14, 28
	v_mul_lo_u32 v20, v23, s2
	v_mul_hi_u32 v23, v168, s0
	s_add_i32 s49, s49, s46
	s_add_u32 s14, s26, s14
	s_addc_u32 s46, s27, s49
	v_add_co_u32 v25, vcc_lo, s14, v5
	v_add_co_ci_u32_e64 v26, null, s46, v6, vcc_lo
	v_mad_u64_u32 v[5:6], null, s7, v24, v[0:1]
	v_add_nc_u32_e32 v0, v168, v23
	v_sub_nc_u32_e32 v27, v169, v20
	v_add_co_u32 v23, vcc_lo, v25, v41
	v_add_co_ci_u32_e64 v24, null, 0, v26, vcc_lo
	v_lshrrev_b32_e32 v0, s1, v0
	v_add_nc_u32_e32 v164, s33, v161
	v_mad_u64_u32 v[25:26], null, s8, v27, 0
	s_clause 0x3
	global_load_dwordx2 v[7:8], v[7:8], off
	global_load_dwordx2 v[9:10], v[9:10], off
	;; [unrolled: 1-line block ×4, first 2 shown]
	v_mul_lo_u32 v28, v0, s2
	v_mul_hi_u32 v29, v164, s0
	v_mov_b32_e32 v20, v5
	s_clause 0x3
	global_load_dwordx2 v[5:6], v[15:16], off
	global_load_dwordx2 v[15:16], v[17:18], off
	;; [unrolled: 1-line block ×4, first 2 shown]
	v_lshrrev_b32_e32 v160, 3, v45
	v_mov_b32_e32 v0, v26
	v_or_b32_e32 v46, 13, v3
	v_lshlrev_b64 v[19:20], 2, v[19:20]
	v_sub_nc_u32_e32 v30, v168, v28
	v_add_nc_u32_e32 v26, v164, v29
	v_mad_u64_u32 v[23:24], null, s7, v27, v[0:1]
	v_add_nc_u32_e32 v162, s33, v160
	v_mad_u64_u32 v[27:28], null, s8, v30, 0
	v_lshrrev_b32_e32 v24, s1, v26
	v_add_co_u32 v19, vcc_lo, s26, v19
	v_mov_b32_e32 v26, v23
	v_add_co_ci_u32_e64 v20, null, s27, v20, vcc_lo
	v_mov_b32_e32 v0, v28
	v_mul_lo_u32 v28, v24, s2
	v_lshlrev_b64 v[23:24], 2, v[25:26]
	v_add_co_u32 v19, vcc_lo, v19, v41
	v_mad_u64_u32 v[25:26], null, s7, v30, v[0:1]
	v_mul_hi_u32 v0, v162, s0
	v_add_co_ci_u32_e64 v20, null, 0, v20, vcc_lo
	v_sub_nc_u32_e32 v29, v164, v28
	v_add_co_u32 v26, vcc_lo, s47, v23
	v_add_co_ci_u32_e64 v30, null, s48, v24, vcc_lo
	v_add_nc_u32_e32 v0, v162, v0
	v_mad_u64_u32 v[23:24], null, s8, v29, 0
	v_mov_b32_e32 v28, v25
	v_add_co_u32 v25, vcc_lo, v26, v41
	v_lshrrev_b32_e32 v157, 3, v46
	v_add_co_ci_u32_e64 v26, null, 0, v30, vcc_lo
	v_lshrrev_b32_e32 v30, s1, v0
	v_or_b32_e32 v47, 14, v3
	v_mov_b32_e32 v0, v24
	v_add_nc_u32_e32 v159, s33, v157
	v_or_b32_e32 v48, 15, v3
	v_mul_lo_u32 v24, v30, s2
	v_lshrrev_b32_e32 v155, 3, v47
	v_lshlrev_b64 v[27:28], 2, v[27:28]
	v_mad_u64_u32 v[29:30], null, s7, v29, v[0:1]
	v_mul_hi_u32 v0, v159, s0
	v_add_nc_u32_e32 v156, s33, v155
	v_lshrrev_b32_e32 v153, 3, v48
	v_sub_nc_u32_e32 v32, v162, v24
	v_add_co_u32 v30, vcc_lo, s44, v27
	v_add_co_ci_u32_e64 v31, null, s45, v28, vcc_lo
	v_mad_u64_u32 v[27:28], null, s8, v32, 0
	v_add_nc_u32_e32 v0, v159, v0
	v_mul_hi_u32 v3, v156, s0
	v_add_nc_u32_e32 v154, s33, v153
	v_mov_b32_e32 v24, v29
	v_add_co_u32 v29, vcc_lo, v30, v41
	v_add_co_ci_u32_e64 v30, null, 0, v31, vcc_lo
	v_lshrrev_b32_e32 v31, s1, v0
	v_mul_hi_u32 v33, v154, s0
	v_mov_b32_e32 v0, v28
	v_add_nc_u32_e32 v3, v156, v3
	v_lshlrev_b64 v[23:24], 2, v[23:24]
	v_mul_lo_u32 v28, v31, s2
	s_cmp_eq_u64 s[18:19], 0
	v_mad_u64_u32 v[31:32], null, s7, v32, v[0:1]
	v_lshrrev_b32_e32 v0, s1, v3
	v_add_nc_u32_e32 v33, v154, v33
	v_add_co_u32 v3, vcc_lo, s9, v23
	v_sub_nc_u32_e32 v35, v159, v28
	v_mul_lo_u32 v0, v0, s2
	v_lshrrev_b32_e32 v33, s1, v33
	v_add_co_ci_u32_e64 v32, null, s15, v24, vcc_lo
	v_mov_b32_e32 v28, v31
	v_mad_u64_u32 v[23:24], null, s8, v35, 0
	v_mul_lo_u32 v36, v33, s2
	v_add_co_u32 v31, vcc_lo, v3, v41
	v_sub_nc_u32_e32 v3, v156, v0
	v_lshlrev_b64 v[27:28], 2, v[27:28]
	v_add_co_ci_u32_e64 v32, null, 0, v32, vcc_lo
	v_mov_b32_e32 v0, v24
	v_mad_u64_u32 v[33:34], null, s8, v3, 0
	v_sub_nc_u32_e32 v39, v154, v36
	v_add_co_u32 v24, vcc_lo, s38, v27
	v_add_co_ci_u32_e64 v38, null, s41, v28, vcc_lo
	v_mad_u64_u32 v[27:28], null, s7, v35, v[0:1]
	v_mad_u64_u32 v[35:36], null, s8, v39, 0
	v_mov_b32_e32 v0, v34
	v_add_co_u32 v37, vcc_lo, v24, v41
	v_add_co_ci_u32_e64 v38, null, 0, v38, vcc_lo
	v_mov_b32_e32 v24, v27
	v_mad_u64_u32 v[27:28], null, s7, v3, v[0:1]
	v_mov_b32_e32 v0, v36
	s_clause 0x3
	global_load_dwordx2 v[19:20], v[19:20], off
	global_load_dwordx2 v[25:26], v[25:26], off
	;; [unrolled: 1-line block ×4, first 2 shown]
	v_lshlrev_b64 v[23:24], 2, v[23:24]
	global_load_dwordx2 v[37:38], v[37:38], off
	v_mad_u64_u32 v[39:40], null, s7, v39, v[0:1]
	v_mov_b32_e32 v34, v27
	v_add_co_u32 v0, vcc_lo, s24, v23
	v_add_co_ci_u32_e64 v3, null, s25, v24, vcc_lo
	v_lshlrev_b64 v[23:24], 2, v[33:34]
	v_mov_b32_e32 v36, v39
	v_add_co_u32 v32, vcc_lo, v0, v41
	v_add_co_ci_u32_e64 v33, null, 0, v3, vcc_lo
	v_lshlrev_b64 v[34:35], 2, v[35:36]
	v_add_co_u32 v0, vcc_lo, s42, v23
	v_add_co_ci_u32_e64 v3, null, s43, v24, vcc_lo
	s_load_dword s7, s[4:5], 0x40
	v_add_co_u32 v27, vcc_lo, s14, v34
	v_add_co_ci_u32_e64 v35, null, s46, v35, vcc_lo
	v_add_co_u32 v23, vcc_lo, v0, v41
	v_add_co_ci_u32_e64 v24, null, 0, v3, vcc_lo
	v_add_co_u32 v34, vcc_lo, v27, v41
	v_add_co_ci_u32_e64 v35, null, 0, v35, vcc_lo
	s_clause 0x2
	global_load_dwordx2 v[32:33], v[32:33], off
	global_load_dwordx2 v[23:24], v[23:24], off
	;; [unrolled: 1-line block ×3, first 2 shown]
	v_lshl_or_b32 v0, v78, 2, 0x4400
	v_lshlrev_b32_e32 v3, 11, v1
	v_lshl_add_u32 v4, v4, 7, v0
	v_add_nc_u32_e32 v27, v0, v3
	v_lshl_add_u32 v36, v42, 7, v0
	v_lshl_add_u32 v39, v43, 7, v0
	;; [unrolled: 1-line block ×7, first 2 shown]
	s_waitcnt vmcnt(15) lgkmcnt(0)
	v_fma_mixlo_f16 v8, s7, v8, 0
	s_waitcnt vmcnt(14)
	v_fma_mixlo_f16 v10, s7, v10, 0
	s_waitcnt vmcnt(13)
	v_fma_mixlo_f16 v12, s7, v12, 0
	s_waitcnt vmcnt(12)
	v_fma_mixlo_f16 v14, s7, v14, 0
	s_waitcnt vmcnt(11)
	v_fma_mixlo_f16 v6, s7, v6, 0
	s_waitcnt vmcnt(10)
	v_fma_mixlo_f16 v16, s7, v16, 0
	s_waitcnt vmcnt(9)
	v_fma_mixlo_f16 v18, s7, v18, 0
	s_waitcnt vmcnt(8)
	v_fma_mixlo_f16 v22, s7, v22, 0
	v_fma_mixlo_f16 v7, s7, v7, 0
	;; [unrolled: 1-line block ×4, first 2 shown]
	v_lshlrev_b32_e32 v8, 16, v8
	v_lshlrev_b32_e32 v10, 16, v10
	;; [unrolled: 1-line block ×3, first 2 shown]
	v_fma_mixlo_f16 v11, s7, v11, 0
	v_fma_mixlo_f16 v5, s7, v5, 0
	;; [unrolled: 1-line block ×3, first 2 shown]
	v_lshlrev_b32_e32 v12, 16, v12
	v_lshlrev_b32_e32 v6, 16, v6
	;; [unrolled: 1-line block ×3, first 2 shown]
	v_fma_mixlo_f16 v17, s7, v17, 0
	v_lshlrev_b32_e32 v18, 16, v18
	v_fma_mixlo_f16 v21, s7, v21, 0
	v_lshlrev_b32_e32 v22, 16, v22
	v_or_b32_sdwa v7, v8, v7 dst_sel:DWORD dst_unused:UNUSED_PAD src0_sel:DWORD src1_sel:WORD_0
	v_or_b32_sdwa v8, v10, v9 dst_sel:DWORD dst_unused:UNUSED_PAD src0_sel:DWORD src1_sel:WORD_0
	;; [unrolled: 1-line block ×8, first 2 shown]
	ds_write2_b32 v27, v7, v8 offset1:32
	ds_write2_b32 v27, v9, v10 offset0:64 offset1:96
	ds_write2_b32 v27, v5, v6 offset0:128 offset1:160
	;; [unrolled: 1-line block ×3, first 2 shown]
	s_waitcnt vmcnt(7)
	v_fma_mixlo_f16 v14, s7, v20, 0
	s_waitcnt vmcnt(6)
	v_fma_mixlo_f16 v16, s7, v26, 0
	;; [unrolled: 2-line block ×4, first 2 shown]
	v_fma_mixlo_f16 v13, s7, v19, 0
	s_waitcnt vmcnt(3)
	v_fma_mixlo_f16 v22, s7, v38, 0
	v_lshlrev_b32_e32 v5, 16, v14
	v_fma_mixlo_f16 v15, s7, v25, 0
	v_lshlrev_b32_e32 v6, 16, v16
	v_fma_mixlo_f16 v17, s7, v28, 0
	v_lshlrev_b32_e32 v7, 16, v18
	v_fma_mixlo_f16 v19, s7, v30, 0
	v_lshlrev_b32_e32 v8, 16, v20
	v_fma_mixlo_f16 v21, s7, v37, 0
	v_lshlrev_b32_e32 v9, 16, v22
	v_or_b32_sdwa v5, v5, v13 dst_sel:DWORD dst_unused:UNUSED_PAD src0_sel:DWORD src1_sel:WORD_0
	v_or_b32_sdwa v6, v6, v15 dst_sel:DWORD dst_unused:UNUSED_PAD src0_sel:DWORD src1_sel:WORD_0
	v_or_b32_sdwa v7, v7, v17 dst_sel:DWORD dst_unused:UNUSED_PAD src0_sel:DWORD src1_sel:WORD_0
	v_or_b32_sdwa v8, v8, v19 dst_sel:DWORD dst_unused:UNUSED_PAD src0_sel:DWORD src1_sel:WORD_0
	v_or_b32_sdwa v9, v9, v21 dst_sel:DWORD dst_unused:UNUSED_PAD src0_sel:DWORD src1_sel:WORD_0
	s_waitcnt vmcnt(2)
	v_fma_mixlo_f16 v26, s7, v33, 0
	s_waitcnt vmcnt(1)
	v_fma_mixlo_f16 v24, s7, v24, 0
	;; [unrolled: 2-line block ×3, first 2 shown]
	v_fma_mixlo_f16 v25, s7, v32, 0
	v_fma_mixlo_f16 v23, s7, v23, 0
	;; [unrolled: 1-line block ×3, first 2 shown]
	v_lshlrev_b32_e32 v10, 16, v26
	v_lshlrev_b32_e32 v11, 16, v24
	;; [unrolled: 1-line block ×3, first 2 shown]
	v_or_b32_sdwa v10, v10, v25 dst_sel:DWORD dst_unused:UNUSED_PAD src0_sel:DWORD src1_sel:WORD_0
	v_or_b32_sdwa v11, v11, v23 dst_sel:DWORD dst_unused:UNUSED_PAD src0_sel:DWORD src1_sel:WORD_0
	;; [unrolled: 1-line block ×3, first 2 shown]
	ds_write_b32 v4, v5
	ds_write_b32 v36, v6
	;; [unrolled: 1-line block ×8, first 2 shown]
	s_waitcnt lgkmcnt(0)
	s_barrier
	buffer_gl0_inv
	s_cbranch_scc1 .LBB0_4
; %bb.3:
	s_load_dword s7, s[4:5], 0xd0
	s_waitcnt lgkmcnt(0)
	s_mul_i32 s7, s7, s29
	s_add_i32 s6, s7, s6
	s_mov_b32 s7, 0
	s_lshl_b64 s[6:7], s[6:7], 2
	s_add_u32 s6, s18, s6
	s_addc_u32 s7, s19, s7
	s_load_dword s34, s[6:7], 0x0
.LBB0_4:
	v_mbcnt_lo_u32_b32 v107, -1, 0
	s_lshl_b32 s14, s28, 6
	s_waitcnt lgkmcnt(0)
	s_cmp_lt_i32 s14, s34
	s_cbranch_scc1 .LBB0_7
; %bb.5:
	v_mbcnt_lo_u32_b32 v17, -1, 0
	v_mov_b32_e32 v23, 32
	v_xor_b32_e32 v113, 16, v17
	v_xor_b32_e32 v114, 8, v17
	v_xor_b32_e32 v111, 4, v17
	v_xor_b32_e32 v112, 2, v17
	v_xor_b32_e32 v110, 1, v17
	s_cbranch_execz .LBB0_8
; %bb.6:
	v_mov_b32_e32 v1, 0xfeffffff
	v_mov_b32_e32 v163, 0
	;; [unrolled: 1-line block ×48, first 2 shown]
	s_branch .LBB0_11
.LBB0_7:
                                        ; implicit-def: $vgpr17
                                        ; implicit-def: $vgpr23
                                        ; implicit-def: $vgpr113
                                        ; implicit-def: $vgpr114
                                        ; implicit-def: $vgpr111
                                        ; implicit-def: $vgpr112
                                        ; implicit-def: $vgpr110
.LBB0_8:
	buffer_store_dword v173, off, s[52:55], 0 offset:100 ; 4-byte Folded Spill
	buffer_store_dword v170, off, s[52:55], 0 offset:92 ; 4-byte Folded Spill
	;; [unrolled: 1-line block ×17, first 2 shown]
	s_clause 0x1
	s_load_dwordx4 s[24:27], s[4:5], 0x98
	s_load_dwordx2 s[6:7], s[4:5], 0x8c
	s_sub_i32 s8, 0, s31
	s_abs_i32 s18, s30
	s_mul_i32 s8, s8, s40
	s_ashr_i32 s38, s39, 1
	s_mul_hi_u32 s15, s40, s8
	s_ashr_i32 s19, s30, 31
	s_add_i32 s40, s40, s15
	s_ashr_i32 s35, s35, 31
	s_mul_hi_u32 s39, s18, s40
	s_ashr_i32 s40, s29, 31
	s_load_dwordx2 s[8:9], s[4:5], 0xa8
	s_mul_i32 s41, s39, s31
	v_lshrrev_b32_e32 v0, 3, v78
	v_add3_u32 v11, s33, v172, 1
	buffer_store_dword v172, off, s[52:55], 0 offset:96 ; 4-byte Folded Spill
	v_lshlrev_b32_e32 v115, 2, v78
	v_mul_lo_u32 v86, v2, s38
	v_lshl_add_u32 v0, v1, 2, v0
	s_waitcnt lgkmcnt(0)
	s_ashr_i32 s15, s26, 2
	s_mul_hi_u32 s26, s24, s29
	s_mul_i32 s42, s24, s40
	s_mul_i32 s25, s25, s29
	s_add_i32 s26, s26, s42
	s_mul_i32 s24, s24, s29
	s_ashr_i32 s6, s6, 2
	s_add_i32 s26, s26, s25
	s_add_u32 s10, s10, s24
	s_addc_u32 s11, s11, s26
	s_sub_i32 s18, s18, s41
	s_xor_b32 s19, s19, s35
	s_add_i32 s24, s39, 1
	s_sub_i32 s25, s18, s31
	s_cmp_ge_u32 s18, s31
	v_mul_lo_u32 v4, s6, v0
	s_cselect_b32 s24, s24, s39
	s_cselect_b32 s18, s25, s18
	s_add_i32 s25, s24, 1
	s_cmp_ge_u32 s18, s31
	v_mul_hi_u32 v1, s0, v11
	s_cselect_b32 s18, s25, s24
	s_mul_hi_u32 s24, s8, s29
	s_xor_b32 s18, s18, s19
	s_mul_i32 s25, s9, s29
	s_sub_i32 s18, s18, s19
	s_mul_i32 s19, s8, s40
	s_mul_i32 s7, s18, s7
	;; [unrolled: 1-line block ×3, first 2 shown]
	s_ashr_i32 s9, s7, 31
	s_add_u32 s7, s10, s7
	s_addc_u32 s9, s11, s9
	s_add_i32 s10, s24, s19
	s_mul_i32 s18, s18, s27
	s_add_i32 s10, s10, s25
	s_add_u32 s8, s12, s8
	s_addc_u32 s10, s13, s10
	s_ashr_i32 s0, s18, 31
	s_add_u32 s8, s8, s18
	s_addc_u32 s10, s10, s0
	s_lshl_b32 s0, s6, 4
	v_ashrrev_i32_e32 v5, 31, v4
	v_add_nc_u32_e32 v6, s0, v4
	v_mul_lo_u32 v10, s15, v0
	v_add_nc_u32_e32 v1, v11, v1
	v_and_b32_e32 v18, 28, v115
	v_lshlrev_b64 v[4:5], 2, v[4:5]
	v_add_nc_u32_e32 v8, s0, v6
	v_ashrrev_i32_e32 v7, 31, v6
	buffer_store_dword v4, off, s[52:55], 0 ; 4-byte Folded Spill
	buffer_store_dword v5, off, s[52:55], 0 offset:4 ; 4-byte Folded Spill
	v_add_nc_u32_e32 v12, s0, v8
	s_lshl_b32 s0, s15, 4
	v_lshrrev_b32_e32 v1, s1, v1
	v_add_nc_u32_e32 v14, s0, v10
	v_lshlrev_b64 v[4:5], 2, v[6:7]
	v_ashrrev_i32_e32 v9, 31, v8
	buffer_store_dword v4, off, s[52:55], 0 offset:8 ; 4-byte Folded Spill
	buffer_store_dword v5, off, s[52:55], 0 offset:12 ; 4-byte Folded Spill
	v_mul_lo_u32 v1, v1, s2
	v_add_nc_u32_e32 v16, s0, v14
	v_lshlrev_b64 v[4:5], 2, v[8:9]
	v_ashrrev_i32_e32 v13, 31, v12
	v_lshlrev_b32_e32 v15, 2, v18
	buffer_store_dword v4, off, s[52:55], 0 offset:16 ; 4-byte Folded Spill
	buffer_store_dword v5, off, s[52:55], 0 offset:20 ; 4-byte Folded Spill
	v_add_nc_u32_e32 v2, s0, v16
	v_sub_nc_u32_e32 v1, v11, v1
	v_lshlrev_b64 v[4:5], 2, v[12:13]
	v_mad_u32_u24 v116, 0x90, v0, v15
	v_add_nc_u32_e32 v117, 0x4400, v3
	v_lshl_or_b32 v121, v0, 7, v15
	v_add_nc_u32_e32 v122, 0x2400, v3
	v_ashrrev_i32_e32 v11, 31, v10
	v_ashrrev_i32_e32 v15, 31, v14
	;; [unrolled: 1-line block ×4, first 2 shown]
	v_lshlrev_b32_e32 v0, 4, v78
	v_mul_lo_u32 v106, v1, s38
	buffer_store_dword v4, off, s[52:55], 0 offset:24 ; 4-byte Folded Spill
	buffer_store_dword v5, off, s[52:55], 0 offset:28 ; 4-byte Folded Spill
	v_lshlrev_b64 v[104:105], 2, v[10:11]
	v_lshlrev_b64 v[130:131], 2, v[14:15]
	;; [unrolled: 1-line block ×4, first 2 shown]
	v_mov_b32_e32 v133, 0
	v_mul_u32_u24_e32 v118, 0x90, v78
	v_mov_b32_e32 v1, 0xfeffffff
	v_lshlrev_b32_e32 v123, 2, v18
	v_xor_b32_e32 v113, 16, v107
	v_xor_b32_e32 v114, 8, v107
	;; [unrolled: 1-line block ×5, first 2 shown]
	v_add_nc_u32_e32 v124, v122, v0
	v_mov_b32_e32 v125, 0x10001
	v_add_nc_u32_e32 v109, 0x400, v115
	v_add_nc_u32_e32 v0, 0x800, v115
	;; [unrolled: 1-line block ×6, first 2 shown]
	v_mov_b32_e32 v134, 0
	v_mov_b32_e32 v135, 0
	v_mov_b32_e32 v136, 0
	v_mov_b32_e32 v137, 0
	v_mov_b32_e32 v138, 0
	v_mov_b32_e32 v139, 0
	v_mov_b32_e32 v140, 0
	v_mov_b32_e32 v141, 0
	v_mov_b32_e32 v142, 0
	v_mov_b32_e32 v143, 0
	v_mov_b32_e32 v144, 0
	v_mov_b32_e32 v151, 0
	v_mov_b32_e32 v152, 0
	v_mov_b32_e32 v158, 0
	v_mov_b32_e32 v163, 0
	v_mov_b32_e32 v2, 0xfeffffff
	v_mov_b32_e32 v3, 0xfeffffff
	v_mov_b32_e32 v4, 0xfeffffff
	v_mov_b32_e32 v5, 0xfeffffff
	v_mov_b32_e32 v6, 0xfeffffff
	v_mov_b32_e32 v7, 0xfeffffff
	v_mov_b32_e32 v8, 0xfeffffff
	v_mov_b32_e32 v9, 0xfeffffff
	v_mov_b32_e32 v10, 0xfeffffff
	v_mov_b32_e32 v11, 0xfeffffff
	v_mov_b32_e32 v12, 0xfeffffff
	v_mov_b32_e32 v13, 0xfeffffff
	v_mov_b32_e32 v14, 0xfeffffff
	v_mov_b32_e32 v15, 0xfeffffff
	v_mov_b32_e32 v16, 0xfeffffff
	v_mov_b32_e32 v25, 0
	v_mov_b32_e32 v26, 0
	v_mov_b32_e32 v27, 0
	v_mov_b32_e32 v28, 0
	v_mov_b32_e32 v29, 0
	v_mov_b32_e32 v30, 0
	v_mov_b32_e32 v31, 0
	v_mov_b32_e32 v32, 0
	v_mov_b32_e32 v33, 0
	v_mov_b32_e32 v34, 0
	v_mov_b32_e32 v35, 0
	v_mov_b32_e32 v36, 0
	v_mov_b32_e32 v37, 0
	v_mov_b32_e32 v38, 0
	v_mov_b32_e32 v39, 0
	v_mov_b32_e32 v108, 0
	s_add_u32 s0, s4, 0xd0
	s_addc_u32 s1, s5, 0
.LBB0_9:                                ; =>This Inner Loop Header: Depth=1
	v_mov_b32_e32 v178, v2
	v_mov_b32_e32 v179, v1
	s_clause 0x1
	buffer_load_dword v1, off, s[52:55], 0
	buffer_load_dword v2, off, s[52:55], 0 offset:4
	s_mul_hi_i32 s13, s14, s6
	s_mul_i32 s12, s14, s6
	v_mov_b32_e32 v174, v4
	s_lshl_b64 s[12:13], s[12:13], 2
	v_mov_b32_e32 v176, v3
	s_add_u32 s11, s7, s12
	s_addc_u32 s12, s9, s13
	v_mov_b32_e32 v172, v5
	v_add_nc_u32_e32 v5, 0x900, v116
	v_mov_b32_e32 v145, v39
	v_mov_b32_e32 v147, v38
	;; [unrolled: 1-line block ×42, first 2 shown]
	s_mul_hi_i32 s13, s14, s15
	s_waitcnt vmcnt(1)
	v_add_co_u32 v1, vcc_lo, s11, v1
	s_waitcnt vmcnt(0)
	v_add_co_ci_u32_e64 v2, null, s12, v2, vcc_lo
	v_add_co_u32 v1, vcc_lo, v1, v123
	v_add_co_ci_u32_e64 v2, null, 0, v2, vcc_lo
	global_load_dwordx4 v[1:4], v[1:2], off
	s_waitcnt vmcnt(0)
	ds_write_b128 v116, v[1:4]
	s_clause 0x1
	buffer_load_dword v1, off, s[52:55], 0 offset:8
	buffer_load_dword v2, off, s[52:55], 0 offset:12
	s_waitcnt vmcnt(1)
	v_add_co_u32 v1, vcc_lo, s11, v1
	s_waitcnt vmcnt(0)
	v_add_co_ci_u32_e64 v2, null, s12, v2, vcc_lo
	v_add_co_u32 v1, vcc_lo, v1, v123
	v_add_co_ci_u32_e64 v2, null, 0, v2, vcc_lo
	global_load_dwordx4 v[1:4], v[1:2], off
	s_waitcnt vmcnt(0)
	ds_write_b128 v5, v[1:4]
	s_clause 0x1
	buffer_load_dword v1, off, s[52:55], 0 offset:16
	buffer_load_dword v2, off, s[52:55], 0 offset:20
	v_add_nc_u32_e32 v5, 0x1200, v116
	s_waitcnt vmcnt(1)
	v_add_co_u32 v1, vcc_lo, s11, v1
	s_waitcnt vmcnt(0)
	v_add_co_ci_u32_e64 v2, null, s12, v2, vcc_lo
	v_add_co_u32 v1, vcc_lo, v1, v123
	v_add_co_ci_u32_e64 v2, null, 0, v2, vcc_lo
	global_load_dwordx4 v[1:4], v[1:2], off
	s_waitcnt vmcnt(0)
	ds_write_b128 v5, v[1:4]
	s_clause 0x1
	buffer_load_dword v1, off, s[52:55], 0 offset:24
	buffer_load_dword v2, off, s[52:55], 0 offset:28
	v_add_nc_u32_e32 v5, 0x1b00, v116
	s_waitcnt vmcnt(1)
	v_add_co_u32 v1, vcc_lo, s11, v1
	s_waitcnt vmcnt(0)
	v_add_co_ci_u32_e64 v2, null, s12, v2, vcc_lo
	s_mul_i32 s12, s14, s15
	v_add_co_u32 v1, vcc_lo, v1, v123
	v_add_co_ci_u32_e64 v2, null, 0, v2, vcc_lo
	v_cmp_gt_i32_e32 vcc_lo, 32, v113
	s_lshl_b64 s[12:13], s[12:13], 2
	global_load_dwordx4 v[1:4], v[1:2], off
	s_add_u32 s11, s8, s12
	s_addc_u32 s12, s10, s13
	s_waitcnt vmcnt(0)
	ds_write_b128 v5, v[1:4]
	s_waitcnt lgkmcnt(0)
	s_waitcnt_vscnt null, 0x0
	s_barrier
	buffer_gl0_inv
	ds_read_b128 v[69:72], v118
	ds_read_b128 v[1:4], v118 offset:4608
	ds_read_b128 v[65:68], v117
	ds_read_b128 v[61:64], v117 offset:128
	ds_read_b128 v[57:60], v117 offset:256
	;; [unrolled: 1-line block ×15, first 2 shown]
	s_waitcnt lgkmcnt(15)
	;;#ASMSTART
	v_dot2_f32_f16 v188, v69, v65, v188
	;;#ASMEND
	;;#ASMSTART
	v_dot2_f32_f16 v188, v70, v66, v188
	;;#ASMEND
	;;#ASMSTART
	v_dot2_f32_f16 v188, v71, v67, v188
	;;#ASMEND
	;;#ASMSTART
	v_dot2_f32_f16 v188, v72, v68, v188
	;;#ASMEND
	s_waitcnt lgkmcnt(14)
	;;#ASMSTART
	v_dot2_f32_f16 v189, v69, v61, v189
	;;#ASMEND
	;;#ASMSTART
	v_dot2_f32_f16 v189, v70, v62, v189
	;;#ASMEND
	;;#ASMSTART
	v_dot2_f32_f16 v189, v71, v63, v189
	;;#ASMEND
	;;#ASMSTART
	v_dot2_f32_f16 v189, v72, v64, v189
	;;#ASMEND
	;; [unrolled: 13-line block ×15, first 2 shown]
	s_waitcnt lgkmcnt(0)
	;;#ASMSTART
	v_dot2_f32_f16 v180, v69, v5, v180
	;;#ASMEND
	;;#ASMSTART
	v_dot2_f32_f16 v180, v70, v6, v180
	;;#ASMEND
	;;#ASMSTART
	v_dot2_f32_f16 v180, v71, v7, v180
	;;#ASMEND
	v_mov_b32_e32 v69, 0
	;;#ASMSTART
	v_dot2_f32_f16 v180, v72, v8, v180
	;;#ASMEND
	;;#ASMSTART
	v_dot2_f32_f16 v69, v1, v65, v69
	;;#ASMEND
	;;#ASMSTART
	v_dot2_f32_f16 v69, v2, v66, v69
	;;#ASMEND
	;;#ASMSTART
	v_dot2_f32_f16 v69, v3, v67, v69
	;;#ASMEND
	v_mov_b32_e32 v65, 0
	;;#ASMSTART
	v_dot2_f32_f16 v69, v4, v68, v69
	;;#ASMEND
	;; [unrolled: 13-line block ×16, first 2 shown]
	;;#ASMSTART
	v_dot2_f32_f16 v45, v1, v5, v45
	;;#ASMEND
	;;#ASMSTART
	v_dot2_f32_f16 v45, v2, v6, v45
	;;#ASMEND
	;; [unrolled: 3-line block ×4, first 2 shown]
	ds_read_b128 v[96:99], v118 offset:16
	ds_read_b128 v[1:4], v118 offset:4624
	;; [unrolled: 1-line block ×6, first 2 shown]
	v_mov_b32_e32 v58, v78
	ds_read_b128 v[78:81], v117 offset:528
	ds_read_b128 v[82:85], v117 offset:656
	;; [unrolled: 1-line block ×12, first 2 shown]
	s_waitcnt lgkmcnt(15)
	;;#ASMSTART
	v_dot2_f32_f16 v188, v96, v100, v188
	;;#ASMEND
	;;#ASMSTART
	v_dot2_f32_f16 v188, v97, v101, v188
	;;#ASMEND
	;;#ASMSTART
	v_dot2_f32_f16 v188, v98, v102, v188
	;;#ASMEND
	;;#ASMSTART
	v_dot2_f32_f16 v188, v99, v103, v188
	;;#ASMEND
	s_waitcnt lgkmcnt(14)
	;;#ASMSTART
	v_dot2_f32_f16 v189, v96, v126, v189
	;;#ASMEND
	;;#ASMSTART
	v_dot2_f32_f16 v189, v97, v127, v189
	;;#ASMEND
	;;#ASMSTART
	v_dot2_f32_f16 v189, v98, v128, v189
	;;#ASMEND
	;;#ASMSTART
	v_dot2_f32_f16 v189, v99, v129, v189
	;;#ASMEND
	;; [unrolled: 13-line block ×16, first 2 shown]
	;;#ASMSTART
	v_dot2_f32_f16 v69, v1, v100, v69
	;;#ASMEND
	;;#ASMSTART
	v_dot2_f32_f16 v69, v2, v101, v69
	;;#ASMEND
	;;#ASMSTART
	v_dot2_f32_f16 v69, v3, v102, v69
	;;#ASMEND
	;;#ASMSTART
	v_dot2_f32_f16 v69, v4, v103, v69
	;;#ASMEND
	;;#ASMSTART
	v_dot2_f32_f16 v65, v1, v126, v65
	;;#ASMEND
	;;#ASMSTART
	v_dot2_f32_f16 v65, v2, v127, v65
	;;#ASMEND
	;;#ASMSTART
	v_dot2_f32_f16 v65, v3, v128, v65
	;;#ASMEND
	;;#ASMSTART
	v_dot2_f32_f16 v65, v4, v129, v65
	;;#ASMEND
	;;#ASMSTART
	v_dot2_f32_f16 v61, v1, v70, v61
	;;#ASMEND
	;;#ASMSTART
	v_dot2_f32_f16 v61, v2, v71, v61
	;;#ASMEND
	;;#ASMSTART
	v_dot2_f32_f16 v61, v3, v72, v61
	;;#ASMEND
	;;#ASMSTART
	v_dot2_f32_f16 v61, v4, v73, v61
	;;#ASMEND
	;;#ASMSTART
	v_dot2_f32_f16 v57, v1, v74, v57
	;;#ASMEND
	;;#ASMSTART
	v_dot2_f32_f16 v57, v2, v75, v57
	;;#ASMEND
	;;#ASMSTART
	v_dot2_f32_f16 v57, v3, v76, v57
	;;#ASMEND
	;;#ASMSTART
	v_dot2_f32_f16 v57, v4, v77, v57
	;;#ASMEND
	;;#ASMSTART
	v_dot2_f32_f16 v53, v1, v78, v53
	;;#ASMEND
	;;#ASMSTART
	v_dot2_f32_f16 v53, v2, v79, v53
	;;#ASMEND
	;;#ASMSTART
	v_dot2_f32_f16 v53, v3, v80, v53
	;;#ASMEND
	;;#ASMSTART
	v_dot2_f32_f16 v53, v4, v81, v53
	;;#ASMEND
	;;#ASMSTART
	v_dot2_f32_f16 v56, v1, v82, v56
	;;#ASMEND
	;;#ASMSTART
	v_dot2_f32_f16 v56, v2, v83, v56
	;;#ASMEND
	;;#ASMSTART
	v_dot2_f32_f16 v56, v3, v84, v56
	;;#ASMEND
	;;#ASMSTART
	v_dot2_f32_f16 v56, v4, v85, v56
	;;#ASMEND
	;;#ASMSTART
	v_dot2_f32_f16 v55, v1, v41, v55
	;;#ASMEND
	;;#ASMSTART
	v_dot2_f32_f16 v55, v2, v42, v55
	;;#ASMEND
	;;#ASMSTART
	v_dot2_f32_f16 v55, v3, v43, v55
	;;#ASMEND
	;;#ASMSTART
	v_dot2_f32_f16 v55, v4, v44, v55
	;;#ASMEND
	;;#ASMSTART
	v_dot2_f32_f16 v54, v1, v37, v54
	;;#ASMEND
	;;#ASMSTART
	v_dot2_f32_f16 v54, v2, v38, v54
	;;#ASMEND
	;;#ASMSTART
	v_dot2_f32_f16 v54, v3, v39, v54
	;;#ASMEND
	;;#ASMSTART
	v_dot2_f32_f16 v54, v4, v40, v54
	;;#ASMEND
	;;#ASMSTART
	v_dot2_f32_f16 v51, v1, v33, v51
	;;#ASMEND
	;;#ASMSTART
	v_dot2_f32_f16 v51, v2, v34, v51
	;;#ASMEND
	;;#ASMSTART
	v_dot2_f32_f16 v51, v3, v35, v51
	;;#ASMEND
	;;#ASMSTART
	v_dot2_f32_f16 v51, v4, v36, v51
	;;#ASMEND
	;;#ASMSTART
	v_dot2_f32_f16 v52, v1, v29, v52
	;;#ASMEND
	;;#ASMSTART
	v_dot2_f32_f16 v52, v2, v30, v52
	;;#ASMEND
	;;#ASMSTART
	v_dot2_f32_f16 v52, v3, v31, v52
	;;#ASMEND
	;;#ASMSTART
	v_dot2_f32_f16 v52, v4, v32, v52
	;;#ASMEND
	;;#ASMSTART
	v_dot2_f32_f16 v50, v1, v25, v50
	;;#ASMEND
	;;#ASMSTART
	v_dot2_f32_f16 v50, v2, v26, v50
	;;#ASMEND
	;;#ASMSTART
	v_dot2_f32_f16 v50, v3, v27, v50
	;;#ASMEND
	;;#ASMSTART
	v_dot2_f32_f16 v50, v4, v28, v50
	;;#ASMEND
	;;#ASMSTART
	v_dot2_f32_f16 v49, v1, v21, v49
	;;#ASMEND
	;;#ASMSTART
	v_dot2_f32_f16 v49, v2, v22, v49
	;;#ASMEND
	;;#ASMSTART
	v_dot2_f32_f16 v49, v3, v23, v49
	;;#ASMEND
	;;#ASMSTART
	v_dot2_f32_f16 v49, v4, v24, v49
	;;#ASMEND
	;;#ASMSTART
	v_dot2_f32_f16 v47, v1, v17, v47
	;;#ASMEND
	;;#ASMSTART
	v_dot2_f32_f16 v47, v2, v18, v47
	;;#ASMEND
	;;#ASMSTART
	v_dot2_f32_f16 v47, v3, v19, v47
	;;#ASMEND
	;;#ASMSTART
	v_dot2_f32_f16 v47, v4, v20, v47
	;;#ASMEND
	;;#ASMSTART
	v_dot2_f32_f16 v48, v1, v13, v48
	;;#ASMEND
	;;#ASMSTART
	v_dot2_f32_f16 v48, v2, v14, v48
	;;#ASMEND
	;;#ASMSTART
	v_dot2_f32_f16 v48, v3, v15, v48
	;;#ASMEND
	;;#ASMSTART
	v_dot2_f32_f16 v48, v4, v16, v48
	;;#ASMEND
	;;#ASMSTART
	v_dot2_f32_f16 v46, v1, v9, v46
	;;#ASMEND
	;;#ASMSTART
	v_dot2_f32_f16 v46, v2, v10, v46
	;;#ASMEND
	;;#ASMSTART
	v_dot2_f32_f16 v46, v3, v11, v46
	;;#ASMEND
	;;#ASMSTART
	v_dot2_f32_f16 v46, v4, v12, v46
	;;#ASMEND
	;;#ASMSTART
	v_dot2_f32_f16 v45, v1, v5, v45
	;;#ASMEND
	;;#ASMSTART
	v_dot2_f32_f16 v45, v2, v6, v45
	;;#ASMEND
	;;#ASMSTART
	v_dot2_f32_f16 v45, v3, v7, v45
	;;#ASMEND
	;;#ASMSTART
	v_dot2_f32_f16 v45, v4, v8, v45
	;;#ASMEND
	ds_read_b128 v[70:73], v118 offset:32
	ds_read_b128 v[1:4], v118 offset:4640
	;; [unrolled: 1-line block ×18, first 2 shown]
	s_waitcnt lgkmcnt(15)
	;;#ASMSTART
	v_dot2_f32_f16 v188, v70, v74, v188
	;;#ASMEND
	;;#ASMSTART
	v_dot2_f32_f16 v188, v71, v75, v188
	;;#ASMEND
	;;#ASMSTART
	v_dot2_f32_f16 v188, v72, v76, v188
	;;#ASMEND
	;;#ASMSTART
	v_dot2_f32_f16 v188, v73, v77, v188
	;;#ASMEND
	s_waitcnt lgkmcnt(14)
	;;#ASMSTART
	v_dot2_f32_f16 v189, v70, v78, v189
	;;#ASMEND
	;;#ASMSTART
	v_dot2_f32_f16 v189, v71, v79, v189
	;;#ASMEND
	;;#ASMSTART
	v_dot2_f32_f16 v189, v72, v80, v189
	;;#ASMEND
	;;#ASMSTART
	v_dot2_f32_f16 v189, v73, v81, v189
	;;#ASMEND
	;; [unrolled: 13-line block ×16, first 2 shown]
	;;#ASMSTART
	v_dot2_f32_f16 v69, v1, v74, v69
	;;#ASMEND
	;;#ASMSTART
	v_dot2_f32_f16 v69, v2, v75, v69
	;;#ASMEND
	;;#ASMSTART
	v_dot2_f32_f16 v69, v3, v76, v69
	;;#ASMEND
	;;#ASMSTART
	v_dot2_f32_f16 v69, v4, v77, v69
	;;#ASMEND
	;;#ASMSTART
	v_dot2_f32_f16 v65, v1, v78, v65
	;;#ASMEND
	;;#ASMSTART
	v_dot2_f32_f16 v65, v2, v79, v65
	;;#ASMEND
	;;#ASMSTART
	v_dot2_f32_f16 v65, v3, v80, v65
	;;#ASMEND
	;;#ASMSTART
	v_dot2_f32_f16 v65, v4, v81, v65
	;;#ASMEND
	;;#ASMSTART
	v_dot2_f32_f16 v61, v1, v82, v61
	;;#ASMEND
	;;#ASMSTART
	v_dot2_f32_f16 v61, v2, v83, v61
	;;#ASMEND
	;;#ASMSTART
	v_dot2_f32_f16 v61, v3, v84, v61
	;;#ASMEND
	;;#ASMSTART
	v_dot2_f32_f16 v61, v4, v85, v61
	;;#ASMEND
	;;#ASMSTART
	v_dot2_f32_f16 v57, v1, v96, v57
	;;#ASMEND
	;;#ASMSTART
	v_dot2_f32_f16 v57, v2, v97, v57
	;;#ASMEND
	;;#ASMSTART
	v_dot2_f32_f16 v57, v3, v98, v57
	;;#ASMEND
	;;#ASMSTART
	v_dot2_f32_f16 v57, v4, v99, v57
	;;#ASMEND
	;;#ASMSTART
	v_dot2_f32_f16 v53, v1, v100, v53
	;;#ASMEND
	;;#ASMSTART
	v_dot2_f32_f16 v53, v2, v101, v53
	;;#ASMEND
	;;#ASMSTART
	v_dot2_f32_f16 v53, v3, v102, v53
	;;#ASMEND
	;;#ASMSTART
	v_dot2_f32_f16 v53, v4, v103, v53
	;;#ASMEND
	;;#ASMSTART
	v_dot2_f32_f16 v56, v1, v126, v56
	;;#ASMEND
	;;#ASMSTART
	v_dot2_f32_f16 v56, v2, v127, v56
	;;#ASMEND
	;;#ASMSTART
	v_dot2_f32_f16 v56, v3, v128, v56
	;;#ASMEND
	;;#ASMSTART
	v_dot2_f32_f16 v56, v4, v129, v56
	;;#ASMEND
	;;#ASMSTART
	v_dot2_f32_f16 v55, v1, v41, v55
	;;#ASMEND
	;;#ASMSTART
	v_dot2_f32_f16 v55, v2, v42, v55
	;;#ASMEND
	;;#ASMSTART
	v_dot2_f32_f16 v55, v3, v43, v55
	;;#ASMEND
	;;#ASMSTART
	v_dot2_f32_f16 v55, v4, v44, v55
	;;#ASMEND
	;;#ASMSTART
	v_dot2_f32_f16 v54, v1, v37, v54
	;;#ASMEND
	;;#ASMSTART
	v_dot2_f32_f16 v54, v2, v38, v54
	;;#ASMEND
	;;#ASMSTART
	v_dot2_f32_f16 v54, v3, v39, v54
	;;#ASMEND
	;;#ASMSTART
	v_dot2_f32_f16 v54, v4, v40, v54
	;;#ASMEND
	;;#ASMSTART
	v_dot2_f32_f16 v51, v1, v33, v51
	;;#ASMEND
	;;#ASMSTART
	v_dot2_f32_f16 v51, v2, v34, v51
	;;#ASMEND
	;;#ASMSTART
	v_dot2_f32_f16 v51, v3, v35, v51
	;;#ASMEND
	;;#ASMSTART
	v_dot2_f32_f16 v51, v4, v36, v51
	;;#ASMEND
	;;#ASMSTART
	v_dot2_f32_f16 v52, v1, v29, v52
	;;#ASMEND
	;;#ASMSTART
	v_dot2_f32_f16 v52, v2, v30, v52
	;;#ASMEND
	;;#ASMSTART
	v_dot2_f32_f16 v52, v3, v31, v52
	;;#ASMEND
	;;#ASMSTART
	v_dot2_f32_f16 v52, v4, v32, v52
	;;#ASMEND
	;;#ASMSTART
	v_dot2_f32_f16 v50, v1, v25, v50
	;;#ASMEND
	;;#ASMSTART
	v_dot2_f32_f16 v50, v2, v26, v50
	;;#ASMEND
	;;#ASMSTART
	v_dot2_f32_f16 v50, v3, v27, v50
	;;#ASMEND
	;;#ASMSTART
	v_dot2_f32_f16 v50, v4, v28, v50
	;;#ASMEND
	;;#ASMSTART
	v_dot2_f32_f16 v49, v1, v21, v49
	;;#ASMEND
	;;#ASMSTART
	v_dot2_f32_f16 v49, v2, v22, v49
	;;#ASMEND
	;;#ASMSTART
	v_dot2_f32_f16 v49, v3, v23, v49
	;;#ASMEND
	;;#ASMSTART
	v_dot2_f32_f16 v49, v4, v24, v49
	;;#ASMEND
	;;#ASMSTART
	v_dot2_f32_f16 v47, v1, v17, v47
	;;#ASMEND
	;;#ASMSTART
	v_dot2_f32_f16 v47, v2, v18, v47
	;;#ASMEND
	;;#ASMSTART
	v_dot2_f32_f16 v47, v3, v19, v47
	;;#ASMEND
	;;#ASMSTART
	v_dot2_f32_f16 v47, v4, v20, v47
	;;#ASMEND
	;;#ASMSTART
	v_dot2_f32_f16 v48, v1, v13, v48
	;;#ASMEND
	;;#ASMSTART
	v_dot2_f32_f16 v48, v2, v14, v48
	;;#ASMEND
	;;#ASMSTART
	v_dot2_f32_f16 v48, v3, v15, v48
	;;#ASMEND
	;;#ASMSTART
	v_dot2_f32_f16 v48, v4, v16, v48
	;;#ASMEND
	;;#ASMSTART
	v_dot2_f32_f16 v46, v1, v9, v46
	;;#ASMEND
	;;#ASMSTART
	v_dot2_f32_f16 v46, v2, v10, v46
	;;#ASMEND
	;;#ASMSTART
	v_dot2_f32_f16 v46, v3, v11, v46
	;;#ASMEND
	;;#ASMSTART
	v_dot2_f32_f16 v46, v4, v12, v46
	;;#ASMEND
	;;#ASMSTART
	v_dot2_f32_f16 v45, v1, v5, v45
	;;#ASMEND
	;;#ASMSTART
	v_dot2_f32_f16 v45, v2, v6, v45
	;;#ASMEND
	;;#ASMSTART
	v_dot2_f32_f16 v45, v3, v7, v45
	;;#ASMEND
	;;#ASMSTART
	v_dot2_f32_f16 v45, v4, v8, v45
	;;#ASMEND
	ds_read_b128 v[70:73], v118 offset:48
	ds_read_b128 v[1:4], v118 offset:4656
	;; [unrolled: 1-line block ×18, first 2 shown]
	s_waitcnt lgkmcnt(15)
	;;#ASMSTART
	v_dot2_f32_f16 v188, v70, v74, v188
	;;#ASMEND
	;;#ASMSTART
	v_dot2_f32_f16 v188, v71, v75, v188
	;;#ASMEND
	;;#ASMSTART
	v_dot2_f32_f16 v188, v72, v76, v188
	;;#ASMEND
	;;#ASMSTART
	v_dot2_f32_f16 v188, v73, v77, v188
	;;#ASMEND
	s_waitcnt lgkmcnt(14)
	;;#ASMSTART
	v_dot2_f32_f16 v189, v70, v78, v189
	;;#ASMEND
	;;#ASMSTART
	v_dot2_f32_f16 v189, v71, v79, v189
	;;#ASMEND
	;;#ASMSTART
	v_dot2_f32_f16 v189, v72, v80, v189
	;;#ASMEND
	;;#ASMSTART
	v_dot2_f32_f16 v189, v73, v81, v189
	;;#ASMEND
	;; [unrolled: 13-line block ×16, first 2 shown]
	;;#ASMSTART
	v_dot2_f32_f16 v69, v1, v74, v69
	;;#ASMEND
	;;#ASMSTART
	v_dot2_f32_f16 v69, v2, v75, v69
	;;#ASMEND
	;; [unrolled: 3-line block ×64, first 2 shown]
	ds_read_b128 v[70:73], v118 offset:64
	ds_read_b128 v[1:4], v118 offset:4672
	;; [unrolled: 1-line block ×18, first 2 shown]
	s_waitcnt lgkmcnt(15)
	;;#ASMSTART
	v_dot2_f32_f16 v188, v70, v74, v188
	;;#ASMEND
	;;#ASMSTART
	v_dot2_f32_f16 v188, v71, v75, v188
	;;#ASMEND
	;;#ASMSTART
	v_dot2_f32_f16 v188, v72, v76, v188
	;;#ASMEND
	;;#ASMSTART
	v_dot2_f32_f16 v188, v73, v77, v188
	;;#ASMEND
	s_waitcnt lgkmcnt(14)
	;;#ASMSTART
	v_dot2_f32_f16 v189, v70, v78, v189
	;;#ASMEND
	;;#ASMSTART
	v_dot2_f32_f16 v189, v71, v79, v189
	;;#ASMEND
	;;#ASMSTART
	v_dot2_f32_f16 v189, v72, v80, v189
	;;#ASMEND
	;;#ASMSTART
	v_dot2_f32_f16 v189, v73, v81, v189
	;;#ASMEND
	;; [unrolled: 13-line block ×16, first 2 shown]
	;;#ASMSTART
	v_dot2_f32_f16 v69, v1, v74, v69
	;;#ASMEND
	;;#ASMSTART
	v_dot2_f32_f16 v69, v2, v75, v69
	;;#ASMEND
	;; [unrolled: 3-line block ×64, first 2 shown]
	ds_read_b128 v[70:73], v118 offset:80
	ds_read_b128 v[1:4], v118 offset:4688
	;; [unrolled: 1-line block ×18, first 2 shown]
	s_waitcnt lgkmcnt(15)
	;;#ASMSTART
	v_dot2_f32_f16 v188, v70, v74, v188
	;;#ASMEND
	;;#ASMSTART
	v_dot2_f32_f16 v188, v71, v75, v188
	;;#ASMEND
	;;#ASMSTART
	v_dot2_f32_f16 v188, v72, v76, v188
	;;#ASMEND
	;;#ASMSTART
	v_dot2_f32_f16 v188, v73, v77, v188
	;;#ASMEND
	s_waitcnt lgkmcnt(14)
	;;#ASMSTART
	v_dot2_f32_f16 v189, v70, v78, v189
	;;#ASMEND
	;;#ASMSTART
	v_dot2_f32_f16 v189, v71, v79, v189
	;;#ASMEND
	;;#ASMSTART
	v_dot2_f32_f16 v189, v72, v80, v189
	;;#ASMEND
	;;#ASMSTART
	v_dot2_f32_f16 v189, v73, v81, v189
	;;#ASMEND
	;; [unrolled: 13-line block ×16, first 2 shown]
	;;#ASMSTART
	v_dot2_f32_f16 v69, v1, v74, v69
	;;#ASMEND
	;;#ASMSTART
	v_dot2_f32_f16 v69, v2, v75, v69
	;;#ASMEND
	;; [unrolled: 3-line block ×64, first 2 shown]
	ds_read_b128 v[70:73], v118 offset:96
	ds_read_b128 v[1:4], v118 offset:4704
	ds_read_b128 v[74:77], v117 offset:96
	ds_read_b128 v[78:81], v117 offset:224
	ds_read_b128 v[82:85], v117 offset:352
	ds_read_b128 v[96:99], v117 offset:480
	ds_read_b128 v[100:103], v117 offset:608
	ds_read_b128 v[126:129], v117 offset:736
	ds_read_b128 v[41:44], v117 offset:864
	ds_read_b128 v[37:40], v117 offset:992
	ds_read_b128 v[33:36], v117 offset:1120
	ds_read_b128 v[29:32], v117 offset:1248
	ds_read_b128 v[25:28], v117 offset:1376
	ds_read_b128 v[21:24], v117 offset:1504
	ds_read_b128 v[17:20], v117 offset:1632
	ds_read_b128 v[13:16], v117 offset:1760
	ds_read_b128 v[9:12], v117 offset:1888
	ds_read_b128 v[5:8], v117 offset:2016
	s_waitcnt lgkmcnt(15)
	;;#ASMSTART
	v_dot2_f32_f16 v188, v70, v74, v188
	;;#ASMEND
	;;#ASMSTART
	v_dot2_f32_f16 v188, v71, v75, v188
	;;#ASMEND
	;;#ASMSTART
	v_dot2_f32_f16 v188, v72, v76, v188
	;;#ASMEND
	;;#ASMSTART
	v_dot2_f32_f16 v188, v73, v77, v188
	;;#ASMEND
	s_waitcnt lgkmcnt(14)
	;;#ASMSTART
	v_dot2_f32_f16 v189, v70, v78, v189
	;;#ASMEND
	;;#ASMSTART
	v_dot2_f32_f16 v189, v71, v79, v189
	;;#ASMEND
	;;#ASMSTART
	v_dot2_f32_f16 v189, v72, v80, v189
	;;#ASMEND
	;;#ASMSTART
	v_dot2_f32_f16 v189, v73, v81, v189
	;;#ASMEND
	;; [unrolled: 13-line block ×16, first 2 shown]
	;;#ASMSTART
	v_dot2_f32_f16 v69, v1, v74, v69
	;;#ASMEND
	;;#ASMSTART
	v_dot2_f32_f16 v69, v2, v75, v69
	;;#ASMEND
	;; [unrolled: 3-line block ×64, first 2 shown]
	ds_read_b128 v[5:8], v118 offset:112
	ds_read_b128 v[1:4], v118 offset:4720
	;; [unrolled: 1-line block ×18, first 2 shown]
	s_waitcnt lgkmcnt(15)
	;;#ASMSTART
	v_dot2_f32_f16 v188, v5, v9, v188
	;;#ASMEND
	;;#ASMSTART
	v_dot2_f32_f16 v188, v6, v10, v188
	;;#ASMEND
	;;#ASMSTART
	v_dot2_f32_f16 v188, v7, v11, v188
	;;#ASMEND
	;;#ASMSTART
	v_dot2_f32_f16 v188, v8, v12, v188
	;;#ASMEND
	s_waitcnt lgkmcnt(14)
	;;#ASMSTART
	v_dot2_f32_f16 v189, v5, v13, v189
	;;#ASMEND
	;;#ASMSTART
	v_dot2_f32_f16 v189, v6, v14, v189
	;;#ASMEND
	;;#ASMSTART
	v_dot2_f32_f16 v189, v7, v15, v189
	;;#ASMEND
	;;#ASMSTART
	v_dot2_f32_f16 v189, v8, v16, v189
	;;#ASMEND
	;; [unrolled: 13-line block ×16, first 2 shown]
	;;#ASMSTART
	v_dot2_f32_f16 v69, v1, v9, v69
	;;#ASMEND
	;;#ASMSTART
	v_dot2_f32_f16 v69, v2, v10, v69
	;;#ASMEND
	;; [unrolled: 3-line block ×61, first 2 shown]
	v_cndmask_b32_e32 v1, v107, v113, vcc_lo
	v_cmp_gt_i32_e32 vcc_lo, 32, v114
	v_mov_b32_e32 v78, v58
	;;#ASMSTART
	v_dot2_f32_f16 v45, v2, v127, v45
	;;#ASMEND
	;;#ASMSTART
	v_dot2_f32_f16 v45, v3, v128, v45
	;;#ASMEND
	v_lshlrev_b32_e32 v16, 2, v1
	v_cndmask_b32_e32 v1, v107, v114, vcc_lo
	v_cmp_gt_i32_e32 vcc_lo, 32, v111
	v_add_nc_u32_e32 v9, s14, v78
	;;#ASMSTART
	v_dot2_f32_f16 v45, v4, v129, v45
	;;#ASMEND
	v_lshlrev_b32_e32 v25, 2, v1
	v_cndmask_b32_e32 v1, v107, v111, vcc_lo
	v_cmp_gt_i32_e32 vcc_lo, 32, v112
	v_lshlrev_b32_e32 v26, 2, v1
	v_cndmask_b32_e32 v1, v107, v112, vcc_lo
	v_cmp_gt_i32_e32 vcc_lo, 32, v110
	v_lshlrev_b32_e32 v40, 2, v1
	v_cndmask_b32_e32 v1, v107, v110, vcc_lo
	v_lshlrev_b32_e32 v41, 2, v1
	v_add_nc_u32_e32 v1, v9, v86
	v_add_nc_u32_e32 v9, v9, v106
	v_ashrrev_i32_e32 v2, 31, v1
	v_lshlrev_b64 v[1:2], 1, v[1:2]
	v_add_co_u32 v1, vcc_lo, s36, v1
	v_add_co_ci_u32_e64 v2, null, s37, v2, vcc_lo
	s_clause 0x1
	global_load_ushort v3, v[1:2], off
	global_load_ushort v1, v[1:2], off offset:64
	s_waitcnt vmcnt(1)
	v_cvt_f32_f16_e32 v8, v3
	s_waitcnt vmcnt(0)
	v_cvt_f32_f16_e32 v10, v1
	v_add_f32_e32 v62, v188, v8
	v_add_f32_e32 v60, v69, v10
	v_add_f32_e32 v59, v189, v8
	v_add_f32_e32 v58, v65, v10
	v_add_f32_e32 v42, v190, v8
	v_add_f32_e32 v3, 0x40051340, v62
	v_add_f32_e32 v1, 0x40051340, v60
	v_add_f32_e32 v27, v61, v10
	v_add_f32_e32 v43, v191, v8
	v_add_f32_e32 v28, v57, v10
	v_add_f32_e32 v44, v89, v8
	v_max3_f32 v1, v179, v3, v1
	v_add_f32_e32 v3, 0x40051340, v58
	v_add_f32_e32 v4, 0x40051340, v27
	;; [unrolled: 1-line block ×4, first 2 shown]
	ds_bpermute_b32 v2, v16, v1
	v_add_f32_e32 v57, v91, v8
	v_add_f32_e32 v30, v56, v10
	;; [unrolled: 1-line block ×11, first 2 shown]
	v_max3_f32 v8, v166, v8, v10
	s_waitcnt lgkmcnt(0)
	v_max_f32_e32 v2, v2, v2
	ds_bpermute_b32 v10, v16, v8
	v_max_f32_e32 v1, v1, v2
	ds_bpermute_b32 v2, v25, v1
	s_waitcnt lgkmcnt(1)
	v_max_f32_e32 v10, v10, v10
	v_max_f32_e32 v8, v8, v10
	s_waitcnt lgkmcnt(0)
	v_max_f32_e32 v2, v2, v2
	ds_bpermute_b32 v10, v25, v8
	v_max_f32_e32 v1, v1, v2
	ds_bpermute_b32 v2, v26, v1
	s_waitcnt lgkmcnt(1)
	v_max_f32_e32 v10, v10, v10
	v_max_f32_e32 v8, v8, v10
	;; [unrolled: 8-line block ×4, first 2 shown]
	s_waitcnt lgkmcnt(0)
	v_max_f32_e32 v2, v2, v2
	ds_bpermute_b32 v10, v41, v8
	v_max_f32_e32 v1, v1, v2
	v_add_f32_e32 v2, 0x40051340, v59
	v_max3_f32 v2, v178, v2, v3
	ds_bpermute_b32 v3, v16, v2
	s_waitcnt lgkmcnt(1)
	v_max_f32_e32 v10, v10, v10
	v_max_f32_e32 v8, v8, v10
	v_ashrrev_i32_e32 v10, 31, v9
	v_sub_f32_e32 v55, v55, v8
	v_lshlrev_b64 v[9:10], 1, v[9:10]
	v_sub_f32_e32 v32, v32, v8
	s_waitcnt lgkmcnt(0)
	v_max_f32_e32 v3, v3, v3
	v_add_co_u32 v9, vcc_lo, s36, v9
	v_add_co_ci_u32_e64 v10, null, s37, v10, vcc_lo
	v_max_f32_e32 v2, v2, v3
	ds_bpermute_b32 v3, v25, v2
	s_waitcnt lgkmcnt(0)
	v_max_f32_e32 v3, v3, v3
	v_max_f32_e32 v2, v2, v3
	ds_bpermute_b32 v3, v26, v2
	s_waitcnt lgkmcnt(0)
	v_max_f32_e32 v3, v3, v3
	;; [unrolled: 4-line block ×4, first 2 shown]
	v_max_f32_e32 v2, v2, v3
	v_add_f32_e32 v3, 0x40051340, v42
	v_max3_f32 v3, v176, v3, v4
	ds_bpermute_b32 v4, v16, v3
	s_waitcnt lgkmcnt(0)
	v_max_f32_e32 v4, v4, v4
	v_max_f32_e32 v3, v3, v4
	ds_bpermute_b32 v4, v25, v3
	s_waitcnt lgkmcnt(0)
	v_max_f32_e32 v4, v4, v4
	v_max_f32_e32 v3, v3, v4
	ds_bpermute_b32 v4, v26, v3
	s_waitcnt lgkmcnt(0)
	v_max_f32_e32 v4, v4, v4
	v_max_f32_e32 v3, v3, v4
	ds_bpermute_b32 v4, v40, v3
	s_waitcnt lgkmcnt(0)
	v_max_f32_e32 v4, v4, v4
	v_max_f32_e32 v3, v3, v4
	ds_bpermute_b32 v4, v41, v3
	s_waitcnt lgkmcnt(0)
	v_max_f32_e32 v4, v4, v4
	v_max_f32_e32 v3, v3, v4
	v_add_f32_e32 v4, 0x40051340, v43
	v_sub_f32_e32 v42, v42, v3
	v_max3_f32 v4, v174, v4, v5
	v_sub_f32_e32 v27, v27, v3
	ds_bpermute_b32 v5, v16, v4
	s_waitcnt lgkmcnt(0)
	v_max_f32_e32 v5, v5, v5
	v_max_f32_e32 v4, v4, v5
	ds_bpermute_b32 v5, v25, v4
	s_waitcnt lgkmcnt(0)
	v_max_f32_e32 v5, v5, v5
	v_max_f32_e32 v4, v4, v5
	ds_bpermute_b32 v5, v26, v4
	s_waitcnt lgkmcnt(0)
	v_max_f32_e32 v5, v5, v5
	v_max_f32_e32 v4, v4, v5
	ds_bpermute_b32 v5, v40, v4
	s_waitcnt lgkmcnt(0)
	v_max_f32_e32 v5, v5, v5
	v_max_f32_e32 v4, v4, v5
	ds_bpermute_b32 v5, v41, v4
	s_waitcnt lgkmcnt(0)
	v_max_f32_e32 v5, v5, v5
	v_max_f32_e32 v4, v4, v5
	v_add_f32_e32 v5, 0x40051340, v44
	v_sub_f32_e32 v43, v43, v4
	v_max3_f32 v5, v172, v5, v6
	v_sub_f32_e32 v28, v28, v4
	;; [unrolled: 24-line block ×3, first 2 shown]
	ds_bpermute_b32 v7, v16, v6
	s_waitcnt lgkmcnt(0)
	v_max_f32_e32 v7, v7, v7
	v_max_f32_e32 v6, v6, v7
	ds_bpermute_b32 v7, v25, v6
	s_waitcnt lgkmcnt(0)
	v_max_f32_e32 v7, v7, v7
	v_max_f32_e32 v6, v6, v7
	;; [unrolled: 4-line block ×5, first 2 shown]
	v_add_f32_e32 v7, 0x40051340, v56
	v_sub_f32_e32 v30, v30, v6
	v_max3_f32 v7, v168, v7, v11
	ds_bpermute_b32 v11, v16, v7
	s_waitcnt lgkmcnt(0)
	v_max_f32_e32 v11, v11, v11
	v_max_f32_e32 v7, v7, v11
	ds_bpermute_b32 v11, v25, v7
	s_waitcnt lgkmcnt(0)
	v_max_f32_e32 v11, v11, v11
	v_max_f32_e32 v7, v7, v11
	;; [unrolled: 4-line block ×5, first 2 shown]
	s_clause 0x1
	global_load_ushort v11, v[9:10], off
	global_load_ushort v9, v[9:10], off offset:64
	s_waitcnt vmcnt(0)
	s_barrier
	v_sub_f32_e32 v31, v31, v7
	buffer_gl0_inv
	v_cvt_f32_f16_e32 v17, v11
	v_cvt_f32_f16_e32 v54, v9
	v_add_f32_e32 v53, v187, v17
	v_add_f32_e32 v33, v51, v54
	;; [unrolled: 1-line block ×11, first 2 shown]
	v_max3_f32 v9, v162, v11, v9
	v_add_f32_e32 v11, 0x40051340, v34
	v_add_f32_e32 v12, 0x40051340, v35
	;; [unrolled: 1-line block ×4, first 2 shown]
	ds_bpermute_b32 v10, v16, v9
	v_add_f32_e32 v22, v185, v17
	v_add_f32_e32 v21, v48, v54
	;; [unrolled: 1-line block ×7, first 2 shown]
	s_waitcnt lgkmcnt(0)
	v_max_f32_e32 v10, v10, v10
	v_max_f32_e32 v9, v9, v10
	ds_bpermute_b32 v10, v25, v9
	s_waitcnt lgkmcnt(0)
	v_max_f32_e32 v10, v10, v10
	v_max_f32_e32 v9, v9, v10
	ds_bpermute_b32 v10, v26, v9
	;; [unrolled: 4-line block ×4, first 2 shown]
	s_waitcnt lgkmcnt(0)
	v_max_f32_e32 v10, v10, v10
	v_max_f32_e32 v9, v9, v10
	v_add_f32_e32 v10, 0x40051340, v39
	v_sub_f32_e32 v33, v33, v9
	v_max3_f32 v10, v161, v10, v11
	ds_bpermute_b32 v11, v16, v10
	s_waitcnt lgkmcnt(0)
	v_max_f32_e32 v11, v11, v11
	v_max_f32_e32 v10, v10, v11
	ds_bpermute_b32 v11, v25, v10
	s_waitcnt lgkmcnt(0)
	v_max_f32_e32 v11, v11, v11
	v_max_f32_e32 v10, v10, v11
	ds_bpermute_b32 v11, v26, v10
	s_waitcnt lgkmcnt(0)
	v_max_f32_e32 v11, v11, v11
	v_max_f32_e32 v10, v10, v11
	ds_bpermute_b32 v11, v40, v10
	s_waitcnt lgkmcnt(0)
	v_max_f32_e32 v11, v11, v11
	v_max_f32_e32 v10, v10, v11
	ds_bpermute_b32 v11, v41, v10
	s_waitcnt lgkmcnt(0)
	v_max_f32_e32 v11, v11, v11
	v_max_f32_e32 v10, v10, v11
	v_add_f32_e32 v11, 0x40051340, v38
	v_sub_f32_e32 v39, v39, v10
	v_max3_f32 v11, v159, v11, v12
	v_sub_f32_e32 v34, v34, v10
	ds_bpermute_b32 v12, v16, v11
	s_waitcnt lgkmcnt(0)
	v_max_f32_e32 v12, v12, v12
	v_max_f32_e32 v11, v11, v12
	ds_bpermute_b32 v12, v25, v11
	s_waitcnt lgkmcnt(0)
	v_max_f32_e32 v12, v12, v12
	v_max_f32_e32 v11, v11, v12
	ds_bpermute_b32 v12, v26, v11
	s_waitcnt lgkmcnt(0)
	v_max_f32_e32 v12, v12, v12
	v_max_f32_e32 v11, v11, v12
	ds_bpermute_b32 v12, v40, v11
	s_waitcnt lgkmcnt(0)
	v_max_f32_e32 v12, v12, v12
	v_max_f32_e32 v11, v11, v12
	ds_bpermute_b32 v12, v41, v11
	s_waitcnt lgkmcnt(0)
	v_max_f32_e32 v12, v12, v12
	v_max_f32_e32 v11, v11, v12
	v_add_f32_e32 v12, 0x40051340, v37
	v_sub_f32_e32 v38, v38, v11
	v_max3_f32 v12, v156, v12, v13
	v_sub_f32_e32 v35, v35, v11
	;; [unrolled: 24-line block ×5, first 2 shown]
	ds_bpermute_b32 v18, v16, v15
	s_waitcnt lgkmcnt(0)
	v_max_f32_e32 v18, v18, v18
	v_max_f32_e32 v15, v15, v18
	ds_bpermute_b32 v18, v25, v15
	s_waitcnt lgkmcnt(0)
	v_max_f32_e32 v18, v18, v18
	v_max_f32_e32 v15, v15, v18
	;; [unrolled: 4-line block ×5, first 2 shown]
	v_add_f32_e32 v18, v180, v17
	v_add_f32_e32 v17, v45, v54
	v_sub_f32_e32 v20, v20, v15
	v_add_f32_e32 v46, 0x40051340, v18
	v_add_f32_e32 v45, 0x40051340, v17
	v_sub_f32_e32 v19, v19, v15
	v_max3_f32 v45, v146, v46, v45
	ds_bpermute_b32 v16, v16, v45
	s_waitcnt lgkmcnt(0)
	v_max_f32_e32 v16, v16, v16
	v_max_f32_e32 v16, v45, v16
	ds_bpermute_b32 v25, v25, v16
	s_waitcnt lgkmcnt(0)
	v_max_f32_e32 v25, v25, v25
	v_max_f32_e32 v16, v16, v25
	ds_bpermute_b32 v25, v26, v16
	v_sub_f32_e32 v26, v179, v1
	s_waitcnt lgkmcnt(0)
	v_max_f32_e32 v25, v25, v25
	v_max_f32_e32 v16, v16, v25
	ds_bpermute_b32 v25, v40, v16
	s_waitcnt lgkmcnt(0)
	v_max_f32_e32 v25, v25, v25
	v_max_f32_e32 v16, v16, v25
	ds_bpermute_b32 v25, v41, v16
	s_waitcnt lgkmcnt(0)
	v_max_f32_e32 v25, v25, v25
	v_max_f32_e32 v16, v16, v25
	v_sub_f32_e32 v25, v62, v1
	v_sub_f32_e32 v18, v18, v16
	v_mul_f32_e32 v40, 0x3fb8aa3b, v25
	v_cmp_ngt_f32_e32 vcc_lo, 0xc2ce8ed0, v25
	v_sub_f32_e32 v17, v17, v16
	v_fma_f32 v41, 0x3fb8aa3b, v25, -v40
	v_rndne_f32_e32 v45, v40
	v_fmac_f32_e32 v41, 0x32a5705f, v25
	v_sub_f32_e32 v40, v40, v45
	v_add_f32_e32 v40, v40, v41
	v_cvt_i32_f32_e32 v41, v45
	v_exp_f32_e32 v40, v40
	v_ldexp_f32 v40, v40, v41
	v_cndmask_b32_e32 v40, 0, v40, vcc_lo
	v_cmp_nlt_f32_e32 vcc_lo, 0x42b17218, v25
	v_cndmask_b32_e32 v25, 0x7f800000, v40, vcc_lo
	v_sub_f32_e32 v40, v60, v1
	v_cvt_f16_f32_e32 v52, v25
	v_mul_f32_e32 v41, 0x3fb8aa3b, v40
	v_cmp_ngt_f32_e32 vcc_lo, 0xc2ce8ed0, v40
	v_fma_f32 v45, 0x3fb8aa3b, v40, -v41
	v_rndne_f32_e32 v46, v41
	v_fmac_f32_e32 v45, 0x32a5705f, v40
	v_sub_f32_e32 v41, v41, v46
	v_add_f32_e32 v41, v41, v45
	v_cvt_i32_f32_e32 v45, v46
	v_exp_f32_e32 v41, v41
	v_ldexp_f32 v41, v41, v45
	v_cndmask_b32_e32 v41, 0, v41, vcc_lo
	v_cmp_nlt_f32_e32 vcc_lo, 0x42b17218, v40
	v_cndmask_b32_e32 v40, 0x7f800000, v41, vcc_lo
	v_cmp_ngt_f32_e32 vcc_lo, 0xc2ce8ed0, v26
	v_add_f32_e32 v25, v25, v40
	v_cvt_f16_f32_e32 v48, v40
	v_mul_f32_e32 v40, 0x3fb8aa3b, v26
	v_fma_f32 v41, 0x3fb8aa3b, v26, -v40
	v_rndne_f32_e32 v45, v40
	v_fmac_f32_e32 v41, 0x32a5705f, v26
	v_sub_f32_e32 v40, v40, v45
	v_add_f32_e32 v40, v40, v41
	v_cvt_i32_f32_e32 v41, v45
	v_exp_f32_e32 v40, v40
	v_ldexp_f32 v40, v40, v41
	v_sub_f32_e32 v41, v178, v2
	v_cndmask_b32_e32 v40, 0, v40, vcc_lo
	v_cmp_nlt_f32_e32 vcc_lo, 0x42b17218, v26
	v_cndmask_b32_e32 v26, 0x7f800000, v40, vcc_lo
	v_fmac_f32_e32 v25, v177, v26
	v_cvt_f16_f32_e32 v26, v26
	v_mul_u32_u24_sdwa v26, v26, v125 dst_sel:DWORD dst_unused:UNUSED_PAD src0_sel:WORD_0 src1_sel:DWORD
	v_pk_mul_f16 v40, v163, v26
	v_sub_f32_e32 v26, v59, v2
	v_mul_f32_e32 v45, 0x3fb8aa3b, v26
	v_cmp_ngt_f32_e32 vcc_lo, 0xc2ce8ed0, v26
	v_fma_f32 v46, 0x3fb8aa3b, v26, -v45
	v_rndne_f32_e32 v47, v45
	v_fmac_f32_e32 v46, 0x32a5705f, v26
	v_sub_f32_e32 v45, v45, v47
	v_add_f32_e32 v45, v45, v46
	v_cvt_i32_f32_e32 v46, v47
	v_exp_f32_e32 v45, v45
	v_ldexp_f32 v45, v45, v46
	v_cndmask_b32_e32 v45, 0, v45, vcc_lo
	v_cmp_nlt_f32_e32 vcc_lo, 0x42b17218, v26
	v_cndmask_b32_e32 v26, 0x7f800000, v45, vcc_lo
	v_sub_f32_e32 v45, v58, v2
	v_cvt_f16_f32_e32 v54, v26
	v_mul_f32_e32 v46, 0x3fb8aa3b, v45
	v_cmp_ngt_f32_e32 vcc_lo, 0xc2ce8ed0, v45
	v_fma_f32 v47, 0x3fb8aa3b, v45, -v46
	v_rndne_f32_e32 v49, v46
	v_fmac_f32_e32 v47, 0x32a5705f, v45
	v_sub_f32_e32 v46, v46, v49
	v_add_f32_e32 v46, v46, v47
	v_cvt_i32_f32_e32 v47, v49
	v_exp_f32_e32 v46, v46
	v_ldexp_f32 v46, v46, v47
	v_cndmask_b32_e32 v46, 0, v46, vcc_lo
	v_cmp_nlt_f32_e32 vcc_lo, 0x42b17218, v45
	v_cndmask_b32_e32 v45, 0x7f800000, v46, vcc_lo
	v_cmp_ngt_f32_e32 vcc_lo, 0xc2ce8ed0, v41
	v_add_f32_e32 v26, v26, v45
	v_cvt_f16_f32_e32 v49, v45
	v_mul_f32_e32 v45, 0x3fb8aa3b, v41
	v_fma_f32 v46, 0x3fb8aa3b, v41, -v45
	v_rndne_f32_e32 v47, v45
	v_fmac_f32_e32 v46, 0x32a5705f, v41
	v_sub_f32_e32 v45, v45, v47
	v_add_f32_e32 v45, v45, v46
	v_cvt_i32_f32_e32 v46, v47
	v_exp_f32_e32 v45, v45
	v_ldexp_f32 v45, v45, v46
	v_mul_f32_e32 v46, 0x3fb8aa3b, v42
	v_cndmask_b32_e32 v45, 0, v45, vcc_lo
	v_fma_f32 v47, 0x3fb8aa3b, v42, -v46
	v_rndne_f32_e32 v50, v46
	v_cmp_nlt_f32_e32 vcc_lo, 0x42b17218, v41
	v_fmac_f32_e32 v47, 0x32a5705f, v42
	v_sub_f32_e32 v46, v46, v50
	v_cndmask_b32_e32 v41, 0x7f800000, v45, vcc_lo
	v_cmp_ngt_f32_e32 vcc_lo, 0xc2ce8ed0, v42
	v_sub_f32_e32 v45, v176, v3
	v_add_f32_e32 v46, v46, v47
	v_cvt_i32_f32_e32 v47, v50
	v_fmac_f32_e32 v26, v175, v41
	v_cvt_f16_f32_e32 v41, v41
	v_exp_f32_e32 v46, v46
	v_mul_u32_u24_sdwa v41, v41, v125 dst_sel:DWORD dst_unused:UNUSED_PAD src0_sel:WORD_0 src1_sel:DWORD
	v_pk_mul_f16 v41, v158, v41
	v_ldexp_f32 v46, v46, v47
	v_cndmask_b32_e32 v46, 0, v46, vcc_lo
	v_cmp_nlt_f32_e32 vcc_lo, 0x42b17218, v42
	v_cndmask_b32_e32 v42, 0x7f800000, v46, vcc_lo
	v_mul_f32_e32 v46, 0x3fb8aa3b, v27
	v_cmp_ngt_f32_e32 vcc_lo, 0xc2ce8ed0, v27
	v_cvt_f16_f32_e32 v58, v42
	v_fma_f32 v47, 0x3fb8aa3b, v27, -v46
	v_rndne_f32_e32 v50, v46
	v_fmac_f32_e32 v47, 0x32a5705f, v27
	v_sub_f32_e32 v46, v46, v50
	v_add_f32_e32 v46, v46, v47
	v_cvt_i32_f32_e32 v47, v50
	v_exp_f32_e32 v46, v46
	v_ldexp_f32 v46, v46, v47
	v_cndmask_b32_e32 v46, 0, v46, vcc_lo
	v_cmp_nlt_f32_e32 vcc_lo, 0x42b17218, v27
	v_cndmask_b32_e32 v46, 0x7f800000, v46, vcc_lo
	v_cmp_ngt_f32_e32 vcc_lo, 0xc2ce8ed0, v45
	v_add_f32_e32 v27, v42, v46
	v_mul_f32_e32 v42, 0x3fb8aa3b, v45
	v_cvt_f16_f32_e32 v50, v46
	v_fma_f32 v46, 0x3fb8aa3b, v45, -v42
	v_rndne_f32_e32 v47, v42
	v_fmac_f32_e32 v46, 0x32a5705f, v45
	v_sub_f32_e32 v42, v42, v47
	v_add_f32_e32 v42, v42, v46
	v_cvt_i32_f32_e32 v46, v47
	v_exp_f32_e32 v42, v42
	v_ldexp_f32 v42, v42, v46
	v_mul_f32_e32 v46, 0x3fb8aa3b, v43
	v_cndmask_b32_e32 v42, 0, v42, vcc_lo
	v_fma_f32 v47, 0x3fb8aa3b, v43, -v46
	v_rndne_f32_e32 v51, v46
	v_cmp_nlt_f32_e32 vcc_lo, 0x42b17218, v45
	v_sub_f32_e32 v45, v174, v4
	v_fmac_f32_e32 v47, 0x32a5705f, v43
	v_sub_f32_e32 v46, v46, v51
	v_cndmask_b32_e32 v42, 0x7f800000, v42, vcc_lo
	v_cmp_ngt_f32_e32 vcc_lo, 0xc2ce8ed0, v43
	v_add_f32_e32 v46, v46, v47
	v_cvt_i32_f32_e32 v47, v51
	v_fmac_f32_e32 v27, v173, v42
	v_cvt_f16_f32_e32 v42, v42
	v_exp_f32_e32 v46, v46
	v_mul_u32_u24_sdwa v42, v42, v125 dst_sel:DWORD dst_unused:UNUSED_PAD src0_sel:WORD_0 src1_sel:DWORD
	v_pk_mul_f16 v42, v152, v42
	v_ldexp_f32 v46, v46, v47
	v_cndmask_b32_e32 v46, 0, v46, vcc_lo
	v_cmp_nlt_f32_e32 vcc_lo, 0x42b17218, v43
	v_cndmask_b32_e32 v43, 0x7f800000, v46, vcc_lo
	v_mul_f32_e32 v46, 0x3fb8aa3b, v28
	v_cmp_ngt_f32_e32 vcc_lo, 0xc2ce8ed0, v28
	v_cvt_f16_f32_e32 v59, v43
	v_fma_f32 v47, 0x3fb8aa3b, v28, -v46
	v_rndne_f32_e32 v51, v46
	v_fmac_f32_e32 v47, 0x32a5705f, v28
	v_sub_f32_e32 v46, v46, v51
	v_add_f32_e32 v46, v46, v47
	v_cvt_i32_f32_e32 v47, v51
	v_exp_f32_e32 v46, v46
	v_ldexp_f32 v46, v46, v47
	v_cndmask_b32_e32 v46, 0, v46, vcc_lo
	v_cmp_nlt_f32_e32 vcc_lo, 0x42b17218, v28
	v_cndmask_b32_e32 v46, 0x7f800000, v46, vcc_lo
	v_cmp_ngt_f32_e32 vcc_lo, 0xc2ce8ed0, v45
	v_add_f32_e32 v28, v43, v46
	v_mul_f32_e32 v43, 0x3fb8aa3b, v45
	v_cvt_f16_f32_e32 v51, v46
	v_fma_f32 v46, 0x3fb8aa3b, v45, -v43
	v_rndne_f32_e32 v47, v43
	v_fmac_f32_e32 v46, 0x32a5705f, v45
	v_sub_f32_e32 v43, v43, v47
	v_add_f32_e32 v43, v43, v46
	v_cvt_i32_f32_e32 v46, v47
	v_exp_f32_e32 v43, v43
	v_ldexp_f32 v43, v43, v46
	v_mul_f32_e32 v46, 0x3fb8aa3b, v44
	v_cndmask_b32_e32 v43, 0, v43, vcc_lo
	v_fma_f32 v47, 0x3fb8aa3b, v44, -v46
	v_rndne_f32_e32 v60, v46
	v_cmp_nlt_f32_e32 vcc_lo, 0x42b17218, v45
	v_sub_f32_e32 v45, v172, v5
	v_fmac_f32_e32 v47, 0x32a5705f, v44
	v_sub_f32_e32 v46, v46, v60
	v_cndmask_b32_e32 v43, 0x7f800000, v43, vcc_lo
	v_cmp_ngt_f32_e32 vcc_lo, 0xc2ce8ed0, v44
	v_add_f32_e32 v46, v46, v47
	v_cvt_i32_f32_e32 v47, v60
	v_fmac_f32_e32 v28, v171, v43
	v_cvt_f16_f32_e32 v43, v43
	v_exp_f32_e32 v46, v46
	v_mul_u32_u24_sdwa v43, v43, v125 dst_sel:DWORD dst_unused:UNUSED_PAD src0_sel:WORD_0 src1_sel:DWORD
	v_pk_mul_f16 v43, v151, v43
	v_ldexp_f32 v46, v46, v47
	v_cndmask_b32_e32 v46, 0, v46, vcc_lo
	v_cmp_nlt_f32_e32 vcc_lo, 0x42b17218, v44
	v_cndmask_b32_e32 v44, 0x7f800000, v46, vcc_lo
	v_mul_f32_e32 v46, 0x3fb8aa3b, v29
	v_cmp_ngt_f32_e32 vcc_lo, 0xc2ce8ed0, v29
	v_cvt_f16_f32_e32 v61, v44
	v_fma_f32 v47, 0x3fb8aa3b, v29, -v46
	v_rndne_f32_e32 v60, v46
	v_fmac_f32_e32 v47, 0x32a5705f, v29
	v_sub_f32_e32 v46, v46, v60
	v_add_f32_e32 v46, v46, v47
	v_cvt_i32_f32_e32 v47, v60
	v_exp_f32_e32 v46, v46
	v_ldexp_f32 v46, v46, v47
	v_cndmask_b32_e32 v46, 0, v46, vcc_lo
	v_cmp_nlt_f32_e32 vcc_lo, 0x42b17218, v29
	v_cndmask_b32_e32 v46, 0x7f800000, v46, vcc_lo
	v_cmp_ngt_f32_e32 vcc_lo, 0xc2ce8ed0, v45
	v_add_f32_e32 v29, v44, v46
	v_mul_f32_e32 v44, 0x3fb8aa3b, v45
	v_cvt_f16_f32_e32 v60, v46
	v_fma_f32 v46, 0x3fb8aa3b, v45, -v44
	v_rndne_f32_e32 v47, v44
	v_fmac_f32_e32 v46, 0x32a5705f, v45
	v_sub_f32_e32 v44, v44, v47
	v_add_f32_e32 v44, v44, v46
	v_cvt_i32_f32_e32 v46, v47
	v_exp_f32_e32 v44, v44
	v_ldexp_f32 v44, v44, v46
	v_sub_f32_e32 v46, v57, v6
	v_cndmask_b32_e32 v44, 0, v44, vcc_lo
	v_mul_f32_e32 v47, 0x3fb8aa3b, v46
	v_cmp_nlt_f32_e32 vcc_lo, 0x42b17218, v45
	v_sub_f32_e32 v45, v170, v6
	v_fma_f32 v57, 0x3fb8aa3b, v46, -v47
	v_rndne_f32_e32 v62, v47
	v_cndmask_b32_e32 v44, 0x7f800000, v44, vcc_lo
	v_cmp_ngt_f32_e32 vcc_lo, 0xc2ce8ed0, v46
	v_fmac_f32_e32 v57, 0x32a5705f, v46
	v_sub_f32_e32 v47, v47, v62
	v_fmac_f32_e32 v29, v169, v44
	v_cvt_f16_f32_e32 v44, v44
	v_add_f32_e32 v47, v47, v57
	v_cvt_i32_f32_e32 v57, v62
	v_mul_u32_u24_sdwa v44, v44, v125 dst_sel:DWORD dst_unused:UNUSED_PAD src0_sel:WORD_0 src1_sel:DWORD
	v_exp_f32_e32 v47, v47
	v_pk_mul_f16 v44, v144, v44
	v_ldexp_f32 v47, v47, v57
	v_cndmask_b32_e32 v47, 0, v47, vcc_lo
	v_cmp_nlt_f32_e32 vcc_lo, 0x42b17218, v46
	v_cndmask_b32_e32 v46, 0x7f800000, v47, vcc_lo
	v_mul_f32_e32 v47, 0x3fb8aa3b, v30
	v_cmp_ngt_f32_e32 vcc_lo, 0xc2ce8ed0, v30
	v_cvt_f16_f32_e32 v62, v46
	v_fma_f32 v57, 0x3fb8aa3b, v30, -v47
	v_rndne_f32_e32 v63, v47
	v_fmac_f32_e32 v57, 0x32a5705f, v30
	v_sub_f32_e32 v47, v47, v63
	v_add_f32_e32 v47, v47, v57
	v_cvt_i32_f32_e32 v57, v63
	v_exp_f32_e32 v47, v47
	v_ldexp_f32 v47, v47, v57
	v_cndmask_b32_e32 v47, 0, v47, vcc_lo
	v_cmp_nlt_f32_e32 vcc_lo, 0x42b17218, v30
	v_cndmask_b32_e32 v47, 0x7f800000, v47, vcc_lo
	v_cmp_ngt_f32_e32 vcc_lo, 0xc2ce8ed0, v45
	v_add_f32_e32 v30, v46, v47
	v_mul_f32_e32 v46, 0x3fb8aa3b, v45
	v_cvt_f16_f32_e32 v57, v47
	v_fma_f32 v47, 0x3fb8aa3b, v45, -v46
	v_rndne_f32_e32 v63, v46
	v_pack_b32_f16 v57, v60, v57
	v_fmac_f32_e32 v47, 0x32a5705f, v45
	v_sub_f32_e32 v46, v46, v63
	v_add_f32_e32 v46, v46, v47
	v_cvt_i32_f32_e32 v47, v63
	v_exp_f32_e32 v46, v46
	v_ldexp_f32 v46, v46, v47
	v_sub_f32_e32 v47, v56, v7
	v_cndmask_b32_e32 v46, 0, v46, vcc_lo
	v_mul_f32_e32 v56, 0x3fb8aa3b, v47
	v_cmp_nlt_f32_e32 vcc_lo, 0x42b17218, v45
	v_fma_f32 v63, 0x3fb8aa3b, v47, -v56
	v_rndne_f32_e32 v64, v56
	v_cndmask_b32_e32 v45, 0x7f800000, v46, vcc_lo
	v_cmp_ngt_f32_e32 vcc_lo, 0xc2ce8ed0, v47
	v_sub_f32_e32 v46, v168, v7
	v_fmac_f32_e32 v63, 0x32a5705f, v47
	v_sub_f32_e32 v56, v56, v64
	v_fmac_f32_e32 v30, v167, v45
	v_cvt_f16_f32_e32 v45, v45
	v_add_f32_e32 v56, v56, v63
	v_cvt_i32_f32_e32 v63, v64
	v_mul_u32_u24_sdwa v45, v45, v125 dst_sel:DWORD dst_unused:UNUSED_PAD src0_sel:WORD_0 src1_sel:DWORD
	v_exp_f32_e32 v56, v56
	v_pk_mul_f16 v45, v143, v45
	v_ldexp_f32 v56, v56, v63
	v_cndmask_b32_e32 v56, 0, v56, vcc_lo
	v_cmp_nlt_f32_e32 vcc_lo, 0x42b17218, v47
	v_cndmask_b32_e32 v47, 0x7f800000, v56, vcc_lo
	v_mul_f32_e32 v56, 0x3fb8aa3b, v31
	v_cmp_ngt_f32_e32 vcc_lo, 0xc2ce8ed0, v31
	v_cvt_f16_f32_e32 v63, v47
	v_fma_f32 v64, 0x3fb8aa3b, v31, -v56
	v_rndne_f32_e32 v65, v56
	v_fmac_f32_e32 v64, 0x32a5705f, v31
	v_sub_f32_e32 v56, v56, v65
	v_add_f32_e32 v56, v56, v64
	v_cvt_i32_f32_e32 v64, v65
	v_exp_f32_e32 v56, v56
	v_ldexp_f32 v56, v56, v64
	v_cndmask_b32_e32 v56, 0, v56, vcc_lo
	v_cmp_nlt_f32_e32 vcc_lo, 0x42b17218, v31
	v_cndmask_b32_e32 v56, 0x7f800000, v56, vcc_lo
	v_cmp_ngt_f32_e32 vcc_lo, 0xc2ce8ed0, v46
	v_add_f32_e32 v31, v47, v56
	v_mul_f32_e32 v47, 0x3fb8aa3b, v46
	v_cvt_f16_f32_e32 v56, v56
	v_fma_f32 v64, 0x3fb8aa3b, v46, -v47
	v_rndne_f32_e32 v65, v47
	v_fmac_f32_e32 v64, 0x32a5705f, v46
	v_sub_f32_e32 v47, v47, v65
	v_add_f32_e32 v47, v47, v64
	v_cvt_i32_f32_e32 v64, v65
	v_exp_f32_e32 v47, v47
	v_ldexp_f32 v47, v47, v64
	v_mul_f32_e32 v64, 0x3fb8aa3b, v55
	v_cndmask_b32_e32 v47, 0, v47, vcc_lo
	v_fma_f32 v65, 0x3fb8aa3b, v55, -v64
	v_rndne_f32_e32 v66, v64
	v_cmp_nlt_f32_e32 vcc_lo, 0x42b17218, v46
	v_fmac_f32_e32 v65, 0x32a5705f, v55
	v_sub_f32_e32 v64, v64, v66
	v_cndmask_b32_e32 v46, 0x7f800000, v47, vcc_lo
	v_cmp_ngt_f32_e32 vcc_lo, 0xc2ce8ed0, v55
	v_sub_f32_e32 v47, v166, v8
	v_add_f32_e32 v64, v64, v65
	v_cvt_i32_f32_e32 v65, v66
	v_fmac_f32_e32 v31, v165, v46
	v_cvt_f16_f32_e32 v46, v46
	v_exp_f32_e32 v64, v64
	v_mul_u32_u24_sdwa v46, v46, v125 dst_sel:DWORD dst_unused:UNUSED_PAD src0_sel:WORD_0 src1_sel:DWORD
	v_pk_mul_f16 v46, v142, v46
	v_ldexp_f32 v64, v64, v65
	v_mul_f32_e32 v65, 0x3fb8aa3b, v32
	v_cndmask_b32_e32 v64, 0, v64, vcc_lo
	v_fma_f32 v66, 0x3fb8aa3b, v32, -v65
	v_rndne_f32_e32 v67, v65
	v_cmp_nlt_f32_e32 vcc_lo, 0x42b17218, v55
	v_fmac_f32_e32 v66, 0x32a5705f, v32
	v_sub_f32_e32 v65, v65, v67
	v_cndmask_b32_e32 v55, 0x7f800000, v64, vcc_lo
	v_cmp_ngt_f32_e32 vcc_lo, 0xc2ce8ed0, v32
	v_add_f32_e32 v65, v65, v66
	v_cvt_i32_f32_e32 v66, v67
	v_cvt_f16_f32_e32 v64, v55
	v_exp_f32_e32 v65, v65
	v_pack_b32_f16 v64, v63, v64
	v_pack_b32_f16 v63, v61, v62
	;; [unrolled: 1-line block ×4, first 2 shown]
	v_ldexp_f32 v65, v65, v66
	ds_write_b128 v124, v[61:64]
	v_cndmask_b32_e32 v65, 0, v65, vcc_lo
	v_cmp_nlt_f32_e32 vcc_lo, 0x42b17218, v32
	v_cndmask_b32_e32 v65, 0x7f800000, v65, vcc_lo
	v_cmp_ngt_f32_e32 vcc_lo, 0xc2ce8ed0, v47
	v_add_f32_e32 v32, v55, v65
	v_cvt_f16_f32_e32 v55, v65
	v_mul_f32_e32 v65, 0x3fb8aa3b, v47
	v_pack_b32_f16 v58, v56, v55
	v_fma_f32 v66, 0x3fb8aa3b, v47, -v65
	v_rndne_f32_e32 v67, v65
	v_pack_b32_f16 v55, v48, v49
	v_sub_f32_e32 v49, v53, v9
	v_pack_b32_f16 v56, v50, v51
	v_fmac_f32_e32 v66, 0x32a5705f, v47
	v_sub_f32_e32 v65, v65, v67
	v_sub_f32_e32 v48, v162, v9
	v_mul_f32_e32 v50, 0x3fb8aa3b, v49
	ds_write_b128 v124, v[55:58] offset:512
	v_add_f32_e32 v65, v65, v66
	v_cvt_i32_f32_e32 v66, v67
	v_fma_f32 v51, 0x3fb8aa3b, v49, -v50
	v_rndne_f32_e32 v52, v50
	v_exp_f32_e32 v65, v65
	v_fmac_f32_e32 v51, 0x32a5705f, v49
	v_sub_f32_e32 v50, v50, v52
	v_add_f32_e32 v50, v50, v51
	v_cvt_i32_f32_e32 v51, v52
	v_ldexp_f32 v65, v65, v66
	v_exp_f32_e32 v50, v50
	v_cndmask_b32_e32 v65, 0, v65, vcc_lo
	v_cmp_nlt_f32_e32 vcc_lo, 0x42b17218, v47
	v_cndmask_b32_e32 v47, 0x7f800000, v65, vcc_lo
	v_cmp_ngt_f32_e32 vcc_lo, 0xc2ce8ed0, v49
	v_ldexp_f32 v50, v50, v51
	v_fmac_f32_e32 v32, v164, v47
	v_cvt_f16_f32_e32 v47, v47
	v_cndmask_b32_e32 v50, 0, v50, vcc_lo
	v_cmp_nlt_f32_e32 vcc_lo, 0x42b17218, v49
	v_mul_u32_u24_sdwa v47, v47, v125 dst_sel:DWORD dst_unused:UNUSED_PAD src0_sel:WORD_0 src1_sel:DWORD
	v_cndmask_b32_e32 v49, 0x7f800000, v50, vcc_lo
	v_mul_f32_e32 v50, 0x3fb8aa3b, v33
	v_cmp_ngt_f32_e32 vcc_lo, 0xc2ce8ed0, v33
	v_pk_mul_f16 v47, v141, v47
	v_cvt_f16_f32_e32 v60, v49
	v_fma_f32 v51, 0x3fb8aa3b, v33, -v50
	v_rndne_f32_e32 v52, v50
	v_fmac_f32_e32 v51, 0x32a5705f, v33
	v_sub_f32_e32 v50, v50, v52
	v_add_f32_e32 v50, v50, v51
	v_cvt_i32_f32_e32 v51, v52
	v_exp_f32_e32 v50, v50
	v_ldexp_f32 v50, v50, v51
	v_cndmask_b32_e32 v50, 0, v50, vcc_lo
	v_cmp_nlt_f32_e32 vcc_lo, 0x42b17218, v33
	v_cndmask_b32_e32 v50, 0x7f800000, v50, vcc_lo
	v_cmp_ngt_f32_e32 vcc_lo, 0xc2ce8ed0, v48
	v_add_f32_e32 v33, v49, v50
	v_mul_f32_e32 v49, 0x3fb8aa3b, v48
	v_cvt_f16_f32_e32 v56, v50
	v_fma_f32 v50, 0x3fb8aa3b, v48, -v49
	v_rndne_f32_e32 v51, v49
	v_fmac_f32_e32 v50, 0x32a5705f, v48
	v_sub_f32_e32 v49, v49, v51
	v_add_f32_e32 v49, v49, v50
	v_cvt_i32_f32_e32 v50, v51
	v_exp_f32_e32 v49, v49
	v_ldexp_f32 v49, v49, v50
	v_mul_f32_e32 v50, 0x3fb8aa3b, v39
	v_cndmask_b32_e32 v49, 0, v49, vcc_lo
	v_fma_f32 v51, 0x3fb8aa3b, v39, -v50
	v_rndne_f32_e32 v52, v50
	v_cmp_nlt_f32_e32 vcc_lo, 0x42b17218, v48
	v_fmac_f32_e32 v51, 0x32a5705f, v39
	v_sub_f32_e32 v50, v50, v52
	v_cndmask_b32_e32 v48, 0x7f800000, v49, vcc_lo
	v_cmp_ngt_f32_e32 vcc_lo, 0xc2ce8ed0, v39
	v_sub_f32_e32 v49, v161, v10
	v_add_f32_e32 v50, v50, v51
	v_cvt_i32_f32_e32 v51, v52
	v_fmac_f32_e32 v33, v160, v48
	v_cvt_f16_f32_e32 v48, v48
	v_exp_f32_e32 v50, v50
	v_mul_u32_u24_sdwa v48, v48, v125 dst_sel:DWORD dst_unused:UNUSED_PAD src0_sel:WORD_0 src1_sel:DWORD
	v_pk_mul_f16 v48, v140, v48
	v_ldexp_f32 v50, v50, v51
	v_cndmask_b32_e32 v50, 0, v50, vcc_lo
	v_cmp_nlt_f32_e32 vcc_lo, 0x42b17218, v39
	v_cndmask_b32_e32 v39, 0x7f800000, v50, vcc_lo
	v_mul_f32_e32 v50, 0x3fb8aa3b, v34
	v_cmp_ngt_f32_e32 vcc_lo, 0xc2ce8ed0, v34
	v_cvt_f16_f32_e32 v61, v39
	v_fma_f32 v51, 0x3fb8aa3b, v34, -v50
	v_rndne_f32_e32 v52, v50
	v_fmac_f32_e32 v51, 0x32a5705f, v34
	v_sub_f32_e32 v50, v50, v52
	v_add_f32_e32 v50, v50, v51
	v_cvt_i32_f32_e32 v51, v52
	v_exp_f32_e32 v50, v50
	v_ldexp_f32 v50, v50, v51
	v_cndmask_b32_e32 v50, 0, v50, vcc_lo
	v_cmp_nlt_f32_e32 vcc_lo, 0x42b17218, v34
	v_cndmask_b32_e32 v50, 0x7f800000, v50, vcc_lo
	v_cmp_ngt_f32_e32 vcc_lo, 0xc2ce8ed0, v49
	v_add_f32_e32 v34, v39, v50
	v_mul_f32_e32 v39, 0x3fb8aa3b, v49
	v_cvt_f16_f32_e32 v57, v50
	v_fma_f32 v50, 0x3fb8aa3b, v49, -v39
	v_rndne_f32_e32 v51, v39
	v_fmac_f32_e32 v50, 0x32a5705f, v49
	v_sub_f32_e32 v39, v39, v51
	v_add_f32_e32 v39, v39, v50
	v_cvt_i32_f32_e32 v50, v51
	v_exp_f32_e32 v39, v39
	v_ldexp_f32 v39, v39, v50
	v_mul_f32_e32 v50, 0x3fb8aa3b, v38
	v_cndmask_b32_e32 v39, 0, v39, vcc_lo
	v_fma_f32 v51, 0x3fb8aa3b, v38, -v50
	v_rndne_f32_e32 v52, v50
	v_cmp_nlt_f32_e32 vcc_lo, 0x42b17218, v49
	v_fmac_f32_e32 v51, 0x32a5705f, v38
	v_sub_f32_e32 v50, v50, v52
	v_cndmask_b32_e32 v39, 0x7f800000, v39, vcc_lo
	v_cmp_ngt_f32_e32 vcc_lo, 0xc2ce8ed0, v38
	v_add_f32_e32 v50, v50, v51
	v_cvt_i32_f32_e32 v51, v52
	v_fmac_f32_e32 v34, v157, v39
	v_cvt_f16_f32_e32 v39, v39
	v_exp_f32_e32 v50, v50
	v_mul_u32_u24_sdwa v39, v39, v125 dst_sel:DWORD dst_unused:UNUSED_PAD src0_sel:WORD_0 src1_sel:DWORD
	v_pk_mul_f16 v49, v139, v39
	v_sub_f32_e32 v39, v159, v11
	v_ldexp_f32 v50, v50, v51
	v_cndmask_b32_e32 v50, 0, v50, vcc_lo
	v_cmp_nlt_f32_e32 vcc_lo, 0x42b17218, v38
	v_cndmask_b32_e32 v38, 0x7f800000, v50, vcc_lo
	v_mul_f32_e32 v50, 0x3fb8aa3b, v35
	v_cmp_ngt_f32_e32 vcc_lo, 0xc2ce8ed0, v35
	v_cvt_f16_f32_e32 v62, v38
	v_fma_f32 v51, 0x3fb8aa3b, v35, -v50
	v_rndne_f32_e32 v52, v50
	v_fmac_f32_e32 v51, 0x32a5705f, v35
	v_sub_f32_e32 v50, v50, v52
	v_add_f32_e32 v50, v50, v51
	v_cvt_i32_f32_e32 v51, v52
	v_exp_f32_e32 v50, v50
	v_ldexp_f32 v50, v50, v51
	v_cndmask_b32_e32 v50, 0, v50, vcc_lo
	v_cmp_nlt_f32_e32 vcc_lo, 0x42b17218, v35
	v_cndmask_b32_e32 v50, 0x7f800000, v50, vcc_lo
	v_cmp_ngt_f32_e32 vcc_lo, 0xc2ce8ed0, v39
	v_add_f32_e32 v35, v38, v50
	v_mul_f32_e32 v38, 0x3fb8aa3b, v39
	v_cvt_f16_f32_e32 v58, v50
	v_fma_f32 v50, 0x3fb8aa3b, v39, -v38
	v_rndne_f32_e32 v51, v38
	v_fmac_f32_e32 v50, 0x32a5705f, v39
	v_sub_f32_e32 v38, v38, v51
	v_add_f32_e32 v38, v38, v50
	v_cvt_i32_f32_e32 v50, v51
	v_exp_f32_e32 v38, v38
	v_ldexp_f32 v38, v38, v50
	v_cndmask_b32_e32 v38, 0, v38, vcc_lo
	v_cmp_nlt_f32_e32 vcc_lo, 0x42b17218, v39
	v_mul_f32_e32 v39, 0x3fb8aa3b, v37
	v_cndmask_b32_e32 v38, 0x7f800000, v38, vcc_lo
	v_fma_f32 v51, 0x3fb8aa3b, v37, -v39
	v_rndne_f32_e32 v52, v39
	v_cmp_ngt_f32_e32 vcc_lo, 0xc2ce8ed0, v37
	v_fmac_f32_e32 v35, v155, v38
	v_fmac_f32_e32 v51, 0x32a5705f, v37
	v_sub_f32_e32 v39, v39, v52
	v_cvt_f16_f32_e32 v38, v38
	v_add_f32_e32 v39, v39, v51
	v_cvt_i32_f32_e32 v51, v52
	v_mul_u32_u24_sdwa v38, v38, v125 dst_sel:DWORD dst_unused:UNUSED_PAD src0_sel:WORD_0 src1_sel:DWORD
	v_exp_f32_e32 v39, v39
	v_pk_mul_f16 v50, v138, v38
	v_sub_f32_e32 v38, v156, v12
	v_ldexp_f32 v39, v39, v51
	v_cndmask_b32_e32 v39, 0, v39, vcc_lo
	v_cmp_nlt_f32_e32 vcc_lo, 0x42b17218, v37
	v_cndmask_b32_e32 v37, 0x7f800000, v39, vcc_lo
	v_mul_f32_e32 v39, 0x3fb8aa3b, v36
	v_cmp_ngt_f32_e32 vcc_lo, 0xc2ce8ed0, v36
	v_cvt_f16_f32_e32 v63, v37
	v_fma_f32 v51, 0x3fb8aa3b, v36, -v39
	v_rndne_f32_e32 v52, v39
	v_pack_b32_f16 v63, v62, v63
	v_fmac_f32_e32 v51, 0x32a5705f, v36
	v_sub_f32_e32 v39, v39, v52
	v_pack_b32_f16 v62, v60, v61
	v_add_f32_e32 v39, v39, v51
	v_cvt_i32_f32_e32 v51, v52
	v_exp_f32_e32 v39, v39
	v_ldexp_f32 v39, v39, v51
	v_cndmask_b32_e32 v39, 0, v39, vcc_lo
	v_cmp_nlt_f32_e32 vcc_lo, 0x42b17218, v36
	v_cndmask_b32_e32 v39, 0x7f800000, v39, vcc_lo
	v_cmp_ngt_f32_e32 vcc_lo, 0xc2ce8ed0, v38
	v_add_f32_e32 v36, v37, v39
	v_mul_f32_e32 v37, 0x3fb8aa3b, v38
	v_cvt_f16_f32_e32 v59, v39
	v_fma_f32 v39, 0x3fb8aa3b, v38, -v37
	v_rndne_f32_e32 v51, v37
	v_fmac_f32_e32 v39, 0x32a5705f, v38
	v_sub_f32_e32 v37, v37, v51
	v_add_f32_e32 v37, v37, v39
	v_cvt_i32_f32_e32 v39, v51
	v_exp_f32_e32 v37, v37
	v_ldexp_f32 v37, v37, v39
	v_cndmask_b32_e32 v37, 0, v37, vcc_lo
	v_cmp_nlt_f32_e32 vcc_lo, 0x42b17218, v38
	v_sub_f32_e32 v38, v154, v13
	v_cndmask_b32_e32 v37, 0x7f800000, v37, vcc_lo
	v_cmp_ngt_f32_e32 vcc_lo, 0xc2ce8ed0, v24
	v_fmac_f32_e32 v36, v153, v37
	v_cvt_f16_f32_e32 v37, v37
	v_mul_u32_u24_sdwa v37, v37, v125 dst_sel:DWORD dst_unused:UNUSED_PAD src0_sel:WORD_0 src1_sel:DWORD
	v_pk_mul_f16 v51, v137, v37
	v_mul_f32_e32 v37, 0x3fb8aa3b, v24
	v_fma_f32 v39, 0x3fb8aa3b, v24, -v37
	v_rndne_f32_e32 v52, v37
	v_fmac_f32_e32 v39, 0x32a5705f, v24
	v_sub_f32_e32 v37, v37, v52
	v_add_f32_e32 v37, v37, v39
	v_cvt_i32_f32_e32 v39, v52
	v_exp_f32_e32 v37, v37
	v_ldexp_f32 v37, v37, v39
	v_mul_f32_e32 v39, 0x3fb8aa3b, v23
	v_cndmask_b32_e32 v37, 0, v37, vcc_lo
	v_fma_f32 v52, 0x3fb8aa3b, v23, -v39
	v_rndne_f32_e32 v53, v39
	v_cmp_nlt_f32_e32 vcc_lo, 0x42b17218, v24
	v_fmac_f32_e32 v52, 0x32a5705f, v23
	v_sub_f32_e32 v39, v39, v53
	v_cndmask_b32_e32 v37, 0x7f800000, v37, vcc_lo
	v_cmp_ngt_f32_e32 vcc_lo, 0xc2ce8ed0, v23
	v_add_f32_e32 v39, v39, v52
	v_cvt_i32_f32_e32 v52, v53
	v_cvt_f16_f32_e32 v24, v37
	v_exp_f32_e32 v39, v39
	v_ldexp_f32 v39, v39, v52
	v_cndmask_b32_e32 v39, 0, v39, vcc_lo
	v_cmp_nlt_f32_e32 vcc_lo, 0x42b17218, v23
	v_cndmask_b32_e32 v23, 0x7f800000, v39, vcc_lo
	v_mul_f32_e32 v39, 0x3fb8aa3b, v38
	v_cmp_ngt_f32_e32 vcc_lo, 0xc2ce8ed0, v38
	v_add_f32_e32 v37, v37, v23
	v_fma_f32 v52, 0x3fb8aa3b, v38, -v39
	v_rndne_f32_e32 v53, v39
	v_cvt_f16_f32_e32 v23, v23
	v_fmac_f32_e32 v52, 0x32a5705f, v38
	v_sub_f32_e32 v39, v39, v53
	v_add_f32_e32 v39, v39, v52
	v_cvt_i32_f32_e32 v52, v53
	v_exp_f32_e32 v39, v39
	v_ldexp_f32 v39, v39, v52
	v_cndmask_b32_e32 v39, 0, v39, vcc_lo
	v_cmp_nlt_f32_e32 vcc_lo, 0x42b17218, v38
	v_cndmask_b32_e32 v38, 0x7f800000, v39, vcc_lo
	v_cmp_ngt_f32_e32 vcc_lo, 0xc2ce8ed0, v22
	v_sub_f32_e32 v39, v150, v14
	v_fmac_f32_e32 v37, v149, v38
	v_cvt_f16_f32_e32 v38, v38
	v_mul_u32_u24_sdwa v38, v38, v125 dst_sel:DWORD dst_unused:UNUSED_PAD src0_sel:WORD_0 src1_sel:DWORD
	v_pk_mul_f16 v52, v136, v38
	v_mul_f32_e32 v38, 0x3fb8aa3b, v22
	v_fma_f32 v53, 0x3fb8aa3b, v22, -v38
	v_rndne_f32_e32 v54, v38
	v_fmac_f32_e32 v53, 0x32a5705f, v22
	v_sub_f32_e32 v38, v38, v54
	v_add_f32_e32 v38, v38, v53
	v_cvt_i32_f32_e32 v53, v54
	v_exp_f32_e32 v38, v38
	v_ldexp_f32 v38, v38, v53
	v_mul_f32_e32 v53, 0x3fb8aa3b, v21
	v_cndmask_b32_e32 v38, 0, v38, vcc_lo
	v_fma_f32 v54, 0x3fb8aa3b, v21, -v53
	v_rndne_f32_e32 v55, v53
	v_cmp_nlt_f32_e32 vcc_lo, 0x42b17218, v22
	v_fmac_f32_e32 v54, 0x32a5705f, v21
	v_sub_f32_e32 v53, v53, v55
	v_cndmask_b32_e32 v38, 0x7f800000, v38, vcc_lo
	v_cmp_ngt_f32_e32 vcc_lo, 0xc2ce8ed0, v21
	v_add_f32_e32 v53, v53, v54
	v_cvt_i32_f32_e32 v54, v55
	v_cvt_f16_f32_e32 v22, v38
	v_exp_f32_e32 v53, v53
	v_ldexp_f32 v53, v53, v54
	v_cndmask_b32_e32 v53, 0, v53, vcc_lo
	v_cmp_nlt_f32_e32 vcc_lo, 0x42b17218, v21
	v_cndmask_b32_e32 v21, 0x7f800000, v53, vcc_lo
	v_mul_f32_e32 v53, 0x3fb8aa3b, v39
	v_cmp_ngt_f32_e32 vcc_lo, 0xc2ce8ed0, v39
	v_add_f32_e32 v38, v38, v21
	v_fma_f32 v54, 0x3fb8aa3b, v39, -v53
	v_rndne_f32_e32 v55, v53
	v_cvt_f16_f32_e32 v21, v21
	v_fmac_f32_e32 v54, 0x32a5705f, v39
	v_sub_f32_e32 v53, v53, v55
	v_add_f32_e32 v53, v53, v54
	v_cvt_i32_f32_e32 v54, v55
	v_exp_f32_e32 v53, v53
	v_ldexp_f32 v53, v53, v54
	v_sub_f32_e32 v54, v148, v15
	v_cndmask_b32_e32 v53, 0, v53, vcc_lo
	v_cmp_nlt_f32_e32 vcc_lo, 0x42b17218, v39
	v_cndmask_b32_e32 v39, 0x7f800000, v53, vcc_lo
	v_cmp_ngt_f32_e32 vcc_lo, 0xc2ce8ed0, v20
	v_fmac_f32_e32 v38, v147, v39
	v_cvt_f16_f32_e32 v39, v39
	v_mul_u32_u24_sdwa v39, v39, v125 dst_sel:DWORD dst_unused:UNUSED_PAD src0_sel:WORD_0 src1_sel:DWORD
	v_pk_mul_f16 v53, v135, v39
	v_mul_f32_e32 v39, 0x3fb8aa3b, v20
	v_fma_f32 v55, 0x3fb8aa3b, v20, -v39
	v_rndne_f32_e32 v64, v39
	v_fmac_f32_e32 v55, 0x32a5705f, v20
	v_sub_f32_e32 v39, v39, v64
	v_add_f32_e32 v39, v39, v55
	v_cvt_i32_f32_e32 v55, v64
	v_exp_f32_e32 v39, v39
	v_ldexp_f32 v39, v39, v55
	v_mul_f32_e32 v55, 0x3fb8aa3b, v19
	v_cndmask_b32_e32 v39, 0, v39, vcc_lo
	v_fma_f32 v64, 0x3fb8aa3b, v19, -v55
	v_rndne_f32_e32 v65, v55
	v_cmp_nlt_f32_e32 vcc_lo, 0x42b17218, v20
	v_fmac_f32_e32 v64, 0x32a5705f, v19
	v_sub_f32_e32 v55, v55, v65
	v_cndmask_b32_e32 v39, 0x7f800000, v39, vcc_lo
	v_cmp_ngt_f32_e32 vcc_lo, 0xc2ce8ed0, v19
	v_add_f32_e32 v55, v55, v64
	v_cvt_i32_f32_e32 v64, v65
	v_cvt_f16_f32_e32 v20, v39
	v_exp_f32_e32 v55, v55
	v_ldexp_f32 v55, v55, v64
	v_cndmask_b32_e32 v55, 0, v55, vcc_lo
	v_cmp_nlt_f32_e32 vcc_lo, 0x42b17218, v19
	v_cndmask_b32_e32 v19, 0x7f800000, v55, vcc_lo
	v_mul_f32_e32 v55, 0x3fb8aa3b, v54
	v_cmp_ngt_f32_e32 vcc_lo, 0xc2ce8ed0, v54
	v_add_f32_e32 v39, v39, v19
	v_fma_f32 v64, 0x3fb8aa3b, v54, -v55
	v_rndne_f32_e32 v65, v55
	v_cvt_f16_f32_e32 v19, v19
	v_fmac_f32_e32 v64, 0x32a5705f, v54
	v_sub_f32_e32 v55, v55, v65
	v_add_f32_e32 v55, v55, v64
	v_cvt_i32_f32_e32 v64, v65
	v_exp_f32_e32 v55, v55
	v_ldexp_f32 v55, v55, v64
	v_mul_f32_e32 v64, 0x3fb8aa3b, v18
	v_cndmask_b32_e32 v55, 0, v55, vcc_lo
	v_fma_f32 v65, 0x3fb8aa3b, v18, -v64
	v_rndne_f32_e32 v66, v64
	v_cmp_nlt_f32_e32 vcc_lo, 0x42b17218, v54
	v_fmac_f32_e32 v65, 0x32a5705f, v18
	v_sub_f32_e32 v64, v64, v66
	v_cndmask_b32_e32 v54, 0x7f800000, v55, vcc_lo
	v_cmp_ngt_f32_e32 vcc_lo, 0xc2ce8ed0, v18
	v_sub_f32_e32 v55, v146, v16
	v_add_f32_e32 v64, v64, v65
	v_cvt_i32_f32_e32 v65, v66
	v_fmac_f32_e32 v39, v145, v54
	v_cvt_f16_f32_e32 v54, v54
	v_exp_f32_e32 v64, v64
	v_mul_u32_u24_sdwa v54, v54, v125 dst_sel:DWORD dst_unused:UNUSED_PAD src0_sel:WORD_0 src1_sel:DWORD
	v_pk_mul_f16 v54, v134, v54
	v_ldexp_f32 v64, v64, v65
	v_mul_f32_e32 v65, 0x3fb8aa3b, v17
	v_cndmask_b32_e32 v64, 0, v64, vcc_lo
	v_fma_f32 v66, 0x3fb8aa3b, v17, -v65
	v_rndne_f32_e32 v67, v65
	v_cmp_nlt_f32_e32 vcc_lo, 0x42b17218, v18
	v_fmac_f32_e32 v66, 0x32a5705f, v17
	v_sub_f32_e32 v65, v65, v67
	v_cndmask_b32_e32 v18, 0x7f800000, v64, vcc_lo
	v_cmp_ngt_f32_e32 vcc_lo, 0xc2ce8ed0, v17
	v_add_f32_e32 v65, v65, v66
	v_cvt_i32_f32_e32 v66, v67
	v_cvt_f16_f32_e32 v64, v18
	v_exp_f32_e32 v65, v65
	v_ldexp_f32 v65, v65, v66
	v_cndmask_b32_e32 v65, 0, v65, vcc_lo
	v_cmp_nlt_f32_e32 vcc_lo, 0x42b17218, v17
	v_cndmask_b32_e32 v17, 0x7f800000, v65, vcc_lo
	v_mul_f32_e32 v65, 0x3fb8aa3b, v55
	v_cmp_ngt_f32_e32 vcc_lo, 0xc2ce8ed0, v55
	v_add_f32_e32 v18, v18, v17
	v_fma_f32 v66, 0x3fb8aa3b, v55, -v65
	v_rndne_f32_e32 v67, v65
	v_cvt_f16_f32_e32 v17, v17
	v_fmac_f32_e32 v66, 0x32a5705f, v55
	v_sub_f32_e32 v65, v65, v67
	v_add_f32_e32 v65, v65, v66
	v_cvt_i32_f32_e32 v66, v67
	v_exp_f32_e32 v65, v65
	v_ldexp_f32 v65, v65, v66
	v_cndmask_b32_e32 v65, 0, v65, vcc_lo
	v_cmp_nlt_f32_e32 vcc_lo, 0x42b17218, v55
	v_cndmask_b32_e32 v55, 0x7f800000, v65, vcc_lo
	v_mov_b32_e32 v65, v108
	v_mov_b32_e32 v108, v18
	v_cvt_f16_f32_e32 v18, v55
	v_fmac_f32_e32 v108, v65, v55
	v_pack_b32_f16 v65, v20, v64
	v_pack_b32_f16 v20, v19, v17
	v_mul_u32_u24_sdwa v18, v18, v125 dst_sel:DWORD dst_unused:UNUSED_PAD src0_sel:WORD_0 src1_sel:DWORD
	v_pack_b32_f16 v19, v23, v21
	v_pack_b32_f16 v17, v56, v57
	;; [unrolled: 1-line block ×3, first 2 shown]
	v_pk_mul_f16 v55, v133, v18
	v_pack_b32_f16 v18, v58, v59
	ds_write_b128 v124, v[62:65] offset:1024
	ds_write_b128 v124, v[17:20] offset:1536
	v_add_co_u32 v17, vcc_lo, s11, v104
	v_add_co_ci_u32_e64 v18, null, s12, v105, vcc_lo
	v_add_co_u32 v17, vcc_lo, v17, v123
	v_add_co_ci_u32_e64 v18, null, 0, v18, vcc_lo
	;; [unrolled: 2-line block ×8, first 2 shown]
	global_load_dwordx4 v[17:20], v[17:18], off
	s_waitcnt vmcnt(0)
	ds_write_b128 v121, v[17:20]
	global_load_dwordx4 v[17:20], v[56:57], off
	v_add_nc_u32_e32 v56, 0x800, v121
	s_waitcnt vmcnt(0)
	ds_write_b128 v56, v[17:20]
	global_load_dwordx4 v[17:20], v[23:24], off
	v_add_nc_u32_e32 v23, 0x1000, v121
	;; [unrolled: 4-line block ×3, first 2 shown]
	s_waitcnt vmcnt(0)
	ds_write_b128 v21, v[17:20]
	s_waitcnt lgkmcnt(0)
	s_barrier
	buffer_gl0_inv
	ds_read2_b32 v[64:65], v115 offset1:32
	ds_read_b128 v[17:20], v122
	ds_read_b128 v[21:24], v122 offset:16
	ds_read_b128 v[56:59], v122 offset:32
	;; [unrolled: 1-line block ×3, first 2 shown]
	s_waitcnt lgkmcnt(3)
	v_mul_u32_u24_sdwa v66, v17, v125 dst_sel:DWORD dst_unused:UNUSED_PAD src0_sel:WORD_0 src1_sel:DWORD
	v_mul_u32_u24_sdwa v67, v17, v125 dst_sel:DWORD dst_unused:UNUSED_PAD src0_sel:WORD_1 src1_sel:DWORD
	v_mul_u32_u24_sdwa v68, v18, v125 dst_sel:DWORD dst_unused:UNUSED_PAD src0_sel:WORD_0 src1_sel:DWORD
	v_mul_u32_u24_sdwa v69, v18, v125 dst_sel:DWORD dst_unused:UNUSED_PAD src0_sel:WORD_1 src1_sel:DWORD
	;; [unrolled: 2-line block ×4, first 2 shown]
	ds_read_b128 v[17:20], v122 offset:1024
	v_pk_fma_f16 v42, v64, v68, v42
	v_pk_fma_f16 v43, v64, v69, v43
	;; [unrolled: 1-line block ×6, first 2 shown]
	s_waitcnt lgkmcnt(3)
	v_mul_u32_u24_sdwa v68, v24, v125 dst_sel:DWORD dst_unused:UNUSED_PAD src0_sel:WORD_0 src1_sel:DWORD
	v_mul_u32_u24_sdwa v24, v24, v125 dst_sel:DWORD dst_unused:UNUSED_PAD src0_sel:WORD_1 src1_sel:DWORD
	v_pk_fma_f16 v40, v64, v66, v40
	v_pk_fma_f16 v41, v64, v67, v41
	v_mul_u32_u24_sdwa v66, v22, v125 dst_sel:DWORD dst_unused:UNUSED_PAD src0_sel:WORD_0 src1_sel:DWORD
	v_mul_u32_u24_sdwa v22, v22, v125 dst_sel:DWORD dst_unused:UNUSED_PAD src0_sel:WORD_1 src1_sel:DWORD
	v_pk_fma_f16 v24, v65, v24, v47
	v_mul_u32_u24_sdwa v67, v23, v125 dst_sel:DWORD dst_unused:UNUSED_PAD src0_sel:WORD_0 src1_sel:DWORD
	v_mul_u32_u24_sdwa v23, v23, v125 dst_sel:DWORD dst_unused:UNUSED_PAD src0_sel:WORD_1 src1_sel:DWORD
	v_pk_fma_f16 v42, v65, v66, v42
	v_pk_fma_f16 v43, v65, v22, v43
	;; [unrolled: 1-line block ×3, first 2 shown]
	s_waitcnt lgkmcnt(0)
	v_mul_u32_u24_sdwa v74, v17, v125 dst_sel:DWORD dst_unused:UNUSED_PAD src0_sel:WORD_0 src1_sel:DWORD
	v_mul_u32_u24_sdwa v17, v17, v125 dst_sel:DWORD dst_unused:UNUSED_PAD src0_sel:WORD_1 src1_sel:DWORD
	v_mul_u32_u24_sdwa v75, v18, v125 dst_sel:DWORD dst_unused:UNUSED_PAD src0_sel:WORD_0 src1_sel:DWORD
	v_mul_u32_u24_sdwa v18, v18, v125 dst_sel:DWORD dst_unused:UNUSED_PAD src0_sel:WORD_1 src1_sel:DWORD
	;; [unrolled: 2-line block ×4, first 2 shown]
	v_pk_fma_f16 v49, v64, v17, v49
	v_pk_fma_f16 v51, v64, v18, v51
	v_pk_fma_f16 v53, v64, v19, v53
	v_pk_fma_f16 v48, v64, v74, v48
	v_pk_fma_f16 v55, v64, v20, v55
	ds_read_b128 v[17:20], v122 offset:1040
	v_pk_fma_f16 v50, v64, v75, v50
	v_pk_fma_f16 v52, v64, v76, v52
	v_pk_fma_f16 v54, v64, v77, v54
	v_mul_u32_u24_sdwa v64, v21, v125 dst_sel:DWORD dst_unused:UNUSED_PAD src0_sel:WORD_0 src1_sel:DWORD
	v_mul_u32_u24_sdwa v21, v21, v125 dst_sel:DWORD dst_unused:UNUSED_PAD src0_sel:WORD_1 src1_sel:DWORD
	v_pk_fma_f16 v23, v65, v23, v45
	v_pk_fma_f16 v45, v65, v68, v46
	;; [unrolled: 1-line block ×4, first 2 shown]
	ds_read2_b32 v[21:22], v115 offset0:64 offset1:96
	v_mul_u32_u24_sdwa v64, v58, v125 dst_sel:DWORD dst_unused:UNUSED_PAD src0_sel:WORD_0 src1_sel:DWORD
	v_mul_u32_u24_sdwa v58, v58, v125 dst_sel:DWORD dst_unused:UNUSED_PAD src0_sel:WORD_1 src1_sel:DWORD
	s_waitcnt lgkmcnt(1)
	v_mul_u32_u24_sdwa v69, v17, v125 dst_sel:DWORD dst_unused:UNUSED_PAD src0_sel:WORD_0 src1_sel:DWORD
	v_mul_u32_u24_sdwa v17, v17, v125 dst_sel:DWORD dst_unused:UNUSED_PAD src0_sel:WORD_1 src1_sel:DWORD
	v_mul_u32_u24_sdwa v70, v18, v125 dst_sel:DWORD dst_unused:UNUSED_PAD src0_sel:WORD_0 src1_sel:DWORD
	v_mul_u32_u24_sdwa v18, v18, v125 dst_sel:DWORD dst_unused:UNUSED_PAD src0_sel:WORD_1 src1_sel:DWORD
	;; [unrolled: 2-line block ×4, first 2 shown]
	v_pk_fma_f16 v47, v65, v17, v49
	v_pk_fma_f16 v49, v65, v18, v51
	;; [unrolled: 1-line block ×5, first 2 shown]
	ds_read_b128 v[17:20], v122 offset:1056
	v_pk_fma_f16 v48, v65, v70, v50
	v_pk_fma_f16 v50, v65, v71, v52
	v_pk_fma_f16 v52, v65, v72, v54
	v_mul_u32_u24_sdwa v54, v56, v125 dst_sel:DWORD dst_unused:UNUSED_PAD src0_sel:WORD_0 src1_sel:DWORD
	v_mul_u32_u24_sdwa v55, v56, v125 dst_sel:DWORD dst_unused:UNUSED_PAD src0_sel:WORD_1 src1_sel:DWORD
	v_mul_u32_u24_sdwa v56, v57, v125 dst_sel:DWORD dst_unused:UNUSED_PAD src0_sel:WORD_0 src1_sel:DWORD
	v_mul_u32_u24_sdwa v57, v57, v125 dst_sel:DWORD dst_unused:UNUSED_PAD src0_sel:WORD_1 src1_sel:DWORD
	;; [unrolled: 2-line block ×3, first 2 shown]
	s_waitcnt lgkmcnt(1)
	v_pk_fma_f16 v40, v21, v54, v40
	v_pk_fma_f16 v41, v21, v55, v41
	;; [unrolled: 1-line block ×8, first 2 shown]
	v_mul_u32_u24_sdwa v54, v60, v125 dst_sel:DWORD dst_unused:UNUSED_PAD src0_sel:WORD_1 src1_sel:DWORD
	v_mul_u32_u24_sdwa v55, v61, v125 dst_sel:DWORD dst_unused:UNUSED_PAD src0_sel:WORD_0 src1_sel:DWORD
	s_waitcnt lgkmcnt(0)
	v_mul_u32_u24_sdwa v66, v17, v125 dst_sel:DWORD dst_unused:UNUSED_PAD src0_sel:WORD_0 src1_sel:DWORD
	v_mul_u32_u24_sdwa v17, v17, v125 dst_sel:DWORD dst_unused:UNUSED_PAD src0_sel:WORD_1 src1_sel:DWORD
	v_mul_u32_u24_sdwa v67, v18, v125 dst_sel:DWORD dst_unused:UNUSED_PAD src0_sel:WORD_0 src1_sel:DWORD
	v_mul_u32_u24_sdwa v18, v18, v125 dst_sel:DWORD dst_unused:UNUSED_PAD src0_sel:WORD_1 src1_sel:DWORD
	;; [unrolled: 2-line block ×4, first 2 shown]
	v_pk_fma_f16 v46, v21, v66, v46
	v_pk_fma_f16 v47, v21, v17, v47
	;; [unrolled: 1-line block ×8, first 2 shown]
	ds_read_b128 v[17:20], v122 offset:1072
	v_mul_u32_u24_sdwa v53, v60, v125 dst_sel:DWORD dst_unused:UNUSED_PAD src0_sel:WORD_0 src1_sel:DWORD
	v_mul_u32_u24_sdwa v56, v61, v125 dst_sel:DWORD dst_unused:UNUSED_PAD src0_sel:WORD_1 src1_sel:DWORD
	v_mul_u32_u24_sdwa v57, v62, v125 dst_sel:DWORD dst_unused:UNUSED_PAD src0_sel:WORD_0 src1_sel:DWORD
	v_mul_u32_u24_sdwa v58, v62, v125 dst_sel:DWORD dst_unused:UNUSED_PAD src0_sel:WORD_1 src1_sel:DWORD
	;; [unrolled: 2-line block ×3, first 2 shown]
	v_pk_fma_f16 v40, v22, v53, v40
	v_pk_fma_f16 v41, v22, v54, v41
	;; [unrolled: 1-line block ×8, first 2 shown]
	v_add_nc_u32_e32 v66, 0xc00, v115
	s_waitcnt lgkmcnt(0)
	v_mul_u32_u24_sdwa v61, v17, v125 dst_sel:DWORD dst_unused:UNUSED_PAD src0_sel:WORD_0 src1_sel:DWORD
	v_mul_u32_u24_sdwa v17, v17, v125 dst_sel:DWORD dst_unused:UNUSED_PAD src0_sel:WORD_1 src1_sel:DWORD
	v_mul_u32_u24_sdwa v62, v18, v125 dst_sel:DWORD dst_unused:UNUSED_PAD src0_sel:WORD_0 src1_sel:DWORD
	v_mul_u32_u24_sdwa v18, v18, v125 dst_sel:DWORD dst_unused:UNUSED_PAD src0_sel:WORD_1 src1_sel:DWORD
	;; [unrolled: 2-line block ×4, first 2 shown]
	v_pk_fma_f16 v46, v22, v61, v46
	v_pk_fma_f16 v47, v22, v17, v47
	;; [unrolled: 1-line block ×8, first 2 shown]
	ds_read2_b32 v[21:22], v115 offset0:128 offset1:160
	ds_read_b128 v[17:20], v122 offset:64
	s_waitcnt lgkmcnt(0)
	v_mul_u32_u24_sdwa v54, v17, v125 dst_sel:DWORD dst_unused:UNUSED_PAD src0_sel:WORD_0 src1_sel:DWORD
	v_mul_u32_u24_sdwa v55, v17, v125 dst_sel:DWORD dst_unused:UNUSED_PAD src0_sel:WORD_1 src1_sel:DWORD
	v_mul_u32_u24_sdwa v56, v18, v125 dst_sel:DWORD dst_unused:UNUSED_PAD src0_sel:WORD_0 src1_sel:DWORD
	v_mul_u32_u24_sdwa v57, v18, v125 dst_sel:DWORD dst_unused:UNUSED_PAD src0_sel:WORD_1 src1_sel:DWORD
	;; [unrolled: 2-line block ×4, first 2 shown]
	ds_read_b128 v[17:20], v122 offset:1088
	v_pk_fma_f16 v40, v21, v54, v40
	v_pk_fma_f16 v41, v21, v55, v41
	;; [unrolled: 1-line block ×8, first 2 shown]
	s_waitcnt lgkmcnt(0)
	v_mul_u32_u24_sdwa v62, v17, v125 dst_sel:DWORD dst_unused:UNUSED_PAD src0_sel:WORD_0 src1_sel:DWORD
	v_mul_u32_u24_sdwa v17, v17, v125 dst_sel:DWORD dst_unused:UNUSED_PAD src0_sel:WORD_1 src1_sel:DWORD
	v_mul_u32_u24_sdwa v63, v18, v125 dst_sel:DWORD dst_unused:UNUSED_PAD src0_sel:WORD_0 src1_sel:DWORD
	v_mul_u32_u24_sdwa v18, v18, v125 dst_sel:DWORD dst_unused:UNUSED_PAD src0_sel:WORD_1 src1_sel:DWORD
	;; [unrolled: 2-line block ×4, first 2 shown]
	v_pk_fma_f16 v46, v21, v62, v46
	v_pk_fma_f16 v47, v21, v17, v47
	;; [unrolled: 1-line block ×8, first 2 shown]
	ds_read_b128 v[17:20], v122 offset:80
	s_waitcnt lgkmcnt(0)
	v_mul_u32_u24_sdwa v53, v17, v125 dst_sel:DWORD dst_unused:UNUSED_PAD src0_sel:WORD_0 src1_sel:DWORD
	v_mul_u32_u24_sdwa v54, v17, v125 dst_sel:DWORD dst_unused:UNUSED_PAD src0_sel:WORD_1 src1_sel:DWORD
	v_mul_u32_u24_sdwa v55, v18, v125 dst_sel:DWORD dst_unused:UNUSED_PAD src0_sel:WORD_0 src1_sel:DWORD
	v_mul_u32_u24_sdwa v56, v18, v125 dst_sel:DWORD dst_unused:UNUSED_PAD src0_sel:WORD_1 src1_sel:DWORD
	;; [unrolled: 2-line block ×4, first 2 shown]
	ds_read_b128 v[17:20], v122 offset:1104
	v_pk_fma_f16 v40, v22, v53, v40
	v_pk_fma_f16 v41, v22, v54, v41
	;; [unrolled: 1-line block ×8, first 2 shown]
	s_waitcnt lgkmcnt(0)
	v_mul_u32_u24_sdwa v61, v17, v125 dst_sel:DWORD dst_unused:UNUSED_PAD src0_sel:WORD_0 src1_sel:DWORD
	v_mul_u32_u24_sdwa v17, v17, v125 dst_sel:DWORD dst_unused:UNUSED_PAD src0_sel:WORD_1 src1_sel:DWORD
	v_mul_u32_u24_sdwa v62, v18, v125 dst_sel:DWORD dst_unused:UNUSED_PAD src0_sel:WORD_0 src1_sel:DWORD
	v_mul_u32_u24_sdwa v18, v18, v125 dst_sel:DWORD dst_unused:UNUSED_PAD src0_sel:WORD_1 src1_sel:DWORD
	;; [unrolled: 2-line block ×4, first 2 shown]
	v_pk_fma_f16 v46, v22, v61, v46
	v_pk_fma_f16 v47, v22, v17, v47
	;; [unrolled: 1-line block ×8, first 2 shown]
	ds_read2_b32 v[21:22], v115 offset0:192 offset1:224
	ds_read_b128 v[17:20], v122 offset:96
	s_waitcnt lgkmcnt(0)
	v_mul_u32_u24_sdwa v54, v17, v125 dst_sel:DWORD dst_unused:UNUSED_PAD src0_sel:WORD_0 src1_sel:DWORD
	v_mul_u32_u24_sdwa v55, v17, v125 dst_sel:DWORD dst_unused:UNUSED_PAD src0_sel:WORD_1 src1_sel:DWORD
	v_mul_u32_u24_sdwa v56, v18, v125 dst_sel:DWORD dst_unused:UNUSED_PAD src0_sel:WORD_0 src1_sel:DWORD
	v_mul_u32_u24_sdwa v57, v18, v125 dst_sel:DWORD dst_unused:UNUSED_PAD src0_sel:WORD_1 src1_sel:DWORD
	;; [unrolled: 2-line block ×4, first 2 shown]
	ds_read_b128 v[17:20], v122 offset:1120
	v_pk_fma_f16 v40, v21, v54, v40
	v_pk_fma_f16 v41, v21, v55, v41
	;; [unrolled: 1-line block ×8, first 2 shown]
	s_waitcnt lgkmcnt(0)
	v_mul_u32_u24_sdwa v62, v17, v125 dst_sel:DWORD dst_unused:UNUSED_PAD src0_sel:WORD_0 src1_sel:DWORD
	v_mul_u32_u24_sdwa v17, v17, v125 dst_sel:DWORD dst_unused:UNUSED_PAD src0_sel:WORD_1 src1_sel:DWORD
	v_mul_u32_u24_sdwa v63, v18, v125 dst_sel:DWORD dst_unused:UNUSED_PAD src0_sel:WORD_0 src1_sel:DWORD
	v_mul_u32_u24_sdwa v18, v18, v125 dst_sel:DWORD dst_unused:UNUSED_PAD src0_sel:WORD_1 src1_sel:DWORD
	v_mul_u32_u24_sdwa v64, v19, v125 dst_sel:DWORD dst_unused:UNUSED_PAD src0_sel:WORD_0 src1_sel:DWORD
	v_mul_u32_u24_sdwa v19, v19, v125 dst_sel:DWORD dst_unused:UNUSED_PAD src0_sel:WORD_1 src1_sel:DWORD
	v_mul_u32_u24_sdwa v65, v20, v125 dst_sel:DWORD dst_unused:UNUSED_PAD src0_sel:WORD_0 src1_sel:DWORD
	v_mul_u32_u24_sdwa v20, v20, v125 dst_sel:DWORD dst_unused:UNUSED_PAD src0_sel:WORD_1 src1_sel:DWORD
	v_pk_fma_f16 v46, v21, v62, v46
	v_pk_fma_f16 v47, v21, v17, v47
	;; [unrolled: 1-line block ×8, first 2 shown]
	ds_read_b128 v[17:20], v122 offset:112
	s_waitcnt lgkmcnt(0)
	v_mul_u32_u24_sdwa v53, v17, v125 dst_sel:DWORD dst_unused:UNUSED_PAD src0_sel:WORD_0 src1_sel:DWORD
	v_mul_u32_u24_sdwa v54, v17, v125 dst_sel:DWORD dst_unused:UNUSED_PAD src0_sel:WORD_1 src1_sel:DWORD
	v_mul_u32_u24_sdwa v55, v18, v125 dst_sel:DWORD dst_unused:UNUSED_PAD src0_sel:WORD_0 src1_sel:DWORD
	v_mul_u32_u24_sdwa v56, v18, v125 dst_sel:DWORD dst_unused:UNUSED_PAD src0_sel:WORD_1 src1_sel:DWORD
	;; [unrolled: 2-line block ×4, first 2 shown]
	ds_read_b128 v[17:20], v122 offset:1136
	v_pk_fma_f16 v40, v22, v53, v40
	v_pk_fma_f16 v41, v22, v54, v41
	;; [unrolled: 1-line block ×8, first 2 shown]
	s_waitcnt lgkmcnt(0)
	v_mul_u32_u24_sdwa v61, v17, v125 dst_sel:DWORD dst_unused:UNUSED_PAD src0_sel:WORD_0 src1_sel:DWORD
	v_mul_u32_u24_sdwa v17, v17, v125 dst_sel:DWORD dst_unused:UNUSED_PAD src0_sel:WORD_1 src1_sel:DWORD
	v_mul_u32_u24_sdwa v62, v18, v125 dst_sel:DWORD dst_unused:UNUSED_PAD src0_sel:WORD_0 src1_sel:DWORD
	v_mul_u32_u24_sdwa v18, v18, v125 dst_sel:DWORD dst_unused:UNUSED_PAD src0_sel:WORD_1 src1_sel:DWORD
	;; [unrolled: 2-line block ×4, first 2 shown]
	v_pk_fma_f16 v46, v22, v61, v46
	v_pk_fma_f16 v47, v22, v17, v47
	;; [unrolled: 1-line block ×8, first 2 shown]
	ds_read2_b32 v[21:22], v109 offset1:32
	ds_read_b128 v[17:20], v122 offset:128
	s_waitcnt lgkmcnt(0)
	v_mul_u32_u24_sdwa v54, v17, v125 dst_sel:DWORD dst_unused:UNUSED_PAD src0_sel:WORD_0 src1_sel:DWORD
	v_mul_u32_u24_sdwa v55, v17, v125 dst_sel:DWORD dst_unused:UNUSED_PAD src0_sel:WORD_1 src1_sel:DWORD
	v_mul_u32_u24_sdwa v56, v18, v125 dst_sel:DWORD dst_unused:UNUSED_PAD src0_sel:WORD_0 src1_sel:DWORD
	v_mul_u32_u24_sdwa v57, v18, v125 dst_sel:DWORD dst_unused:UNUSED_PAD src0_sel:WORD_1 src1_sel:DWORD
	;; [unrolled: 2-line block ×4, first 2 shown]
	ds_read_b128 v[17:20], v122 offset:1152
	v_pk_fma_f16 v40, v21, v54, v40
	v_pk_fma_f16 v41, v21, v55, v41
	;; [unrolled: 1-line block ×8, first 2 shown]
	s_waitcnt lgkmcnt(0)
	v_mul_u32_u24_sdwa v62, v17, v125 dst_sel:DWORD dst_unused:UNUSED_PAD src0_sel:WORD_0 src1_sel:DWORD
	v_mul_u32_u24_sdwa v17, v17, v125 dst_sel:DWORD dst_unused:UNUSED_PAD src0_sel:WORD_1 src1_sel:DWORD
	v_mul_u32_u24_sdwa v63, v18, v125 dst_sel:DWORD dst_unused:UNUSED_PAD src0_sel:WORD_0 src1_sel:DWORD
	v_mul_u32_u24_sdwa v18, v18, v125 dst_sel:DWORD dst_unused:UNUSED_PAD src0_sel:WORD_1 src1_sel:DWORD
	;; [unrolled: 2-line block ×4, first 2 shown]
	v_pk_fma_f16 v46, v21, v62, v46
	v_pk_fma_f16 v47, v21, v17, v47
	;; [unrolled: 1-line block ×8, first 2 shown]
	ds_read_b128 v[17:20], v122 offset:144
	s_waitcnt lgkmcnt(0)
	v_mul_u32_u24_sdwa v53, v17, v125 dst_sel:DWORD dst_unused:UNUSED_PAD src0_sel:WORD_0 src1_sel:DWORD
	v_mul_u32_u24_sdwa v54, v17, v125 dst_sel:DWORD dst_unused:UNUSED_PAD src0_sel:WORD_1 src1_sel:DWORD
	v_mul_u32_u24_sdwa v55, v18, v125 dst_sel:DWORD dst_unused:UNUSED_PAD src0_sel:WORD_0 src1_sel:DWORD
	v_mul_u32_u24_sdwa v56, v18, v125 dst_sel:DWORD dst_unused:UNUSED_PAD src0_sel:WORD_1 src1_sel:DWORD
	;; [unrolled: 2-line block ×4, first 2 shown]
	ds_read_b128 v[17:20], v122 offset:1168
	v_pk_fma_f16 v40, v22, v53, v40
	v_pk_fma_f16 v41, v22, v54, v41
	;; [unrolled: 1-line block ×8, first 2 shown]
	s_waitcnt lgkmcnt(0)
	v_mul_u32_u24_sdwa v61, v17, v125 dst_sel:DWORD dst_unused:UNUSED_PAD src0_sel:WORD_0 src1_sel:DWORD
	v_mul_u32_u24_sdwa v17, v17, v125 dst_sel:DWORD dst_unused:UNUSED_PAD src0_sel:WORD_1 src1_sel:DWORD
	v_mul_u32_u24_sdwa v62, v18, v125 dst_sel:DWORD dst_unused:UNUSED_PAD src0_sel:WORD_0 src1_sel:DWORD
	v_mul_u32_u24_sdwa v18, v18, v125 dst_sel:DWORD dst_unused:UNUSED_PAD src0_sel:WORD_1 src1_sel:DWORD
	;; [unrolled: 2-line block ×4, first 2 shown]
	v_pk_fma_f16 v46, v22, v61, v46
	v_pk_fma_f16 v47, v22, v17, v47
	;; [unrolled: 1-line block ×8, first 2 shown]
	ds_read2_b32 v[21:22], v109 offset0:64 offset1:96
	ds_read_b128 v[17:20], v122 offset:160
	s_waitcnt lgkmcnt(0)
	v_mul_u32_u24_sdwa v54, v17, v125 dst_sel:DWORD dst_unused:UNUSED_PAD src0_sel:WORD_0 src1_sel:DWORD
	v_mul_u32_u24_sdwa v55, v17, v125 dst_sel:DWORD dst_unused:UNUSED_PAD src0_sel:WORD_1 src1_sel:DWORD
	v_mul_u32_u24_sdwa v56, v18, v125 dst_sel:DWORD dst_unused:UNUSED_PAD src0_sel:WORD_0 src1_sel:DWORD
	v_mul_u32_u24_sdwa v57, v18, v125 dst_sel:DWORD dst_unused:UNUSED_PAD src0_sel:WORD_1 src1_sel:DWORD
	;; [unrolled: 2-line block ×4, first 2 shown]
	ds_read_b128 v[17:20], v122 offset:1184
	v_pk_fma_f16 v40, v21, v54, v40
	v_pk_fma_f16 v41, v21, v55, v41
	;; [unrolled: 1-line block ×8, first 2 shown]
	s_waitcnt lgkmcnt(0)
	v_mul_u32_u24_sdwa v62, v17, v125 dst_sel:DWORD dst_unused:UNUSED_PAD src0_sel:WORD_0 src1_sel:DWORD
	v_mul_u32_u24_sdwa v17, v17, v125 dst_sel:DWORD dst_unused:UNUSED_PAD src0_sel:WORD_1 src1_sel:DWORD
	v_mul_u32_u24_sdwa v63, v18, v125 dst_sel:DWORD dst_unused:UNUSED_PAD src0_sel:WORD_0 src1_sel:DWORD
	v_mul_u32_u24_sdwa v18, v18, v125 dst_sel:DWORD dst_unused:UNUSED_PAD src0_sel:WORD_1 src1_sel:DWORD
	;; [unrolled: 2-line block ×4, first 2 shown]
	v_pk_fma_f16 v46, v21, v62, v46
	v_pk_fma_f16 v47, v21, v17, v47
	;; [unrolled: 1-line block ×8, first 2 shown]
	ds_read_b128 v[17:20], v122 offset:176
	s_waitcnt lgkmcnt(0)
	v_mul_u32_u24_sdwa v53, v17, v125 dst_sel:DWORD dst_unused:UNUSED_PAD src0_sel:WORD_0 src1_sel:DWORD
	v_mul_u32_u24_sdwa v54, v17, v125 dst_sel:DWORD dst_unused:UNUSED_PAD src0_sel:WORD_1 src1_sel:DWORD
	v_mul_u32_u24_sdwa v55, v18, v125 dst_sel:DWORD dst_unused:UNUSED_PAD src0_sel:WORD_0 src1_sel:DWORD
	v_mul_u32_u24_sdwa v56, v18, v125 dst_sel:DWORD dst_unused:UNUSED_PAD src0_sel:WORD_1 src1_sel:DWORD
	;; [unrolled: 2-line block ×4, first 2 shown]
	ds_read_b128 v[17:20], v122 offset:1200
	v_pk_fma_f16 v40, v22, v53, v40
	v_pk_fma_f16 v41, v22, v54, v41
	;; [unrolled: 1-line block ×8, first 2 shown]
	s_waitcnt lgkmcnt(0)
	v_mul_u32_u24_sdwa v61, v17, v125 dst_sel:DWORD dst_unused:UNUSED_PAD src0_sel:WORD_0 src1_sel:DWORD
	v_mul_u32_u24_sdwa v17, v17, v125 dst_sel:DWORD dst_unused:UNUSED_PAD src0_sel:WORD_1 src1_sel:DWORD
	v_mul_u32_u24_sdwa v62, v18, v125 dst_sel:DWORD dst_unused:UNUSED_PAD src0_sel:WORD_0 src1_sel:DWORD
	v_mul_u32_u24_sdwa v18, v18, v125 dst_sel:DWORD dst_unused:UNUSED_PAD src0_sel:WORD_1 src1_sel:DWORD
	;; [unrolled: 2-line block ×4, first 2 shown]
	v_pk_fma_f16 v46, v22, v61, v46
	v_pk_fma_f16 v47, v22, v17, v47
	;; [unrolled: 1-line block ×8, first 2 shown]
	ds_read2_b32 v[21:22], v109 offset0:128 offset1:160
	ds_read_b128 v[17:20], v122 offset:192
	s_waitcnt lgkmcnt(0)
	v_mul_u32_u24_sdwa v54, v17, v125 dst_sel:DWORD dst_unused:UNUSED_PAD src0_sel:WORD_0 src1_sel:DWORD
	v_mul_u32_u24_sdwa v55, v17, v125 dst_sel:DWORD dst_unused:UNUSED_PAD src0_sel:WORD_1 src1_sel:DWORD
	v_mul_u32_u24_sdwa v56, v18, v125 dst_sel:DWORD dst_unused:UNUSED_PAD src0_sel:WORD_0 src1_sel:DWORD
	v_mul_u32_u24_sdwa v57, v18, v125 dst_sel:DWORD dst_unused:UNUSED_PAD src0_sel:WORD_1 src1_sel:DWORD
	;; [unrolled: 2-line block ×4, first 2 shown]
	ds_read_b128 v[17:20], v122 offset:1216
	v_pk_fma_f16 v40, v21, v54, v40
	v_pk_fma_f16 v41, v21, v55, v41
	;; [unrolled: 1-line block ×8, first 2 shown]
	s_waitcnt lgkmcnt(0)
	v_mul_u32_u24_sdwa v62, v17, v125 dst_sel:DWORD dst_unused:UNUSED_PAD src0_sel:WORD_0 src1_sel:DWORD
	v_mul_u32_u24_sdwa v17, v17, v125 dst_sel:DWORD dst_unused:UNUSED_PAD src0_sel:WORD_1 src1_sel:DWORD
	v_mul_u32_u24_sdwa v63, v18, v125 dst_sel:DWORD dst_unused:UNUSED_PAD src0_sel:WORD_0 src1_sel:DWORD
	v_mul_u32_u24_sdwa v18, v18, v125 dst_sel:DWORD dst_unused:UNUSED_PAD src0_sel:WORD_1 src1_sel:DWORD
	;; [unrolled: 2-line block ×4, first 2 shown]
	v_pk_fma_f16 v46, v21, v62, v46
	v_pk_fma_f16 v47, v21, v17, v47
	;; [unrolled: 1-line block ×8, first 2 shown]
	ds_read_b128 v[17:20], v122 offset:208
	s_waitcnt lgkmcnt(0)
	v_mul_u32_u24_sdwa v53, v17, v125 dst_sel:DWORD dst_unused:UNUSED_PAD src0_sel:WORD_0 src1_sel:DWORD
	v_mul_u32_u24_sdwa v54, v17, v125 dst_sel:DWORD dst_unused:UNUSED_PAD src0_sel:WORD_1 src1_sel:DWORD
	v_mul_u32_u24_sdwa v55, v18, v125 dst_sel:DWORD dst_unused:UNUSED_PAD src0_sel:WORD_0 src1_sel:DWORD
	v_mul_u32_u24_sdwa v56, v18, v125 dst_sel:DWORD dst_unused:UNUSED_PAD src0_sel:WORD_1 src1_sel:DWORD
	;; [unrolled: 2-line block ×4, first 2 shown]
	ds_read_b128 v[17:20], v122 offset:1232
	v_pk_fma_f16 v40, v22, v53, v40
	v_pk_fma_f16 v41, v22, v54, v41
	;; [unrolled: 1-line block ×8, first 2 shown]
	s_waitcnt lgkmcnt(0)
	v_mul_u32_u24_sdwa v61, v17, v125 dst_sel:DWORD dst_unused:UNUSED_PAD src0_sel:WORD_0 src1_sel:DWORD
	v_mul_u32_u24_sdwa v17, v17, v125 dst_sel:DWORD dst_unused:UNUSED_PAD src0_sel:WORD_1 src1_sel:DWORD
	v_mul_u32_u24_sdwa v62, v18, v125 dst_sel:DWORD dst_unused:UNUSED_PAD src0_sel:WORD_0 src1_sel:DWORD
	v_mul_u32_u24_sdwa v18, v18, v125 dst_sel:DWORD dst_unused:UNUSED_PAD src0_sel:WORD_1 src1_sel:DWORD
	;; [unrolled: 2-line block ×4, first 2 shown]
	v_pk_fma_f16 v46, v22, v61, v46
	v_pk_fma_f16 v47, v22, v17, v47
	;; [unrolled: 1-line block ×8, first 2 shown]
	ds_read2_b32 v[21:22], v109 offset0:192 offset1:224
	ds_read_b128 v[17:20], v122 offset:224
	s_waitcnt lgkmcnt(0)
	v_mul_u32_u24_sdwa v54, v17, v125 dst_sel:DWORD dst_unused:UNUSED_PAD src0_sel:WORD_0 src1_sel:DWORD
	v_mul_u32_u24_sdwa v55, v17, v125 dst_sel:DWORD dst_unused:UNUSED_PAD src0_sel:WORD_1 src1_sel:DWORD
	v_mul_u32_u24_sdwa v56, v18, v125 dst_sel:DWORD dst_unused:UNUSED_PAD src0_sel:WORD_0 src1_sel:DWORD
	v_mul_u32_u24_sdwa v57, v18, v125 dst_sel:DWORD dst_unused:UNUSED_PAD src0_sel:WORD_1 src1_sel:DWORD
	;; [unrolled: 2-line block ×4, first 2 shown]
	ds_read_b128 v[17:20], v122 offset:1248
	v_pk_fma_f16 v40, v21, v54, v40
	v_pk_fma_f16 v41, v21, v55, v41
	;; [unrolled: 1-line block ×8, first 2 shown]
	s_waitcnt lgkmcnt(0)
	v_mul_u32_u24_sdwa v62, v17, v125 dst_sel:DWORD dst_unused:UNUSED_PAD src0_sel:WORD_0 src1_sel:DWORD
	v_mul_u32_u24_sdwa v17, v17, v125 dst_sel:DWORD dst_unused:UNUSED_PAD src0_sel:WORD_1 src1_sel:DWORD
	v_mul_u32_u24_sdwa v63, v18, v125 dst_sel:DWORD dst_unused:UNUSED_PAD src0_sel:WORD_0 src1_sel:DWORD
	v_mul_u32_u24_sdwa v18, v18, v125 dst_sel:DWORD dst_unused:UNUSED_PAD src0_sel:WORD_1 src1_sel:DWORD
	;; [unrolled: 2-line block ×4, first 2 shown]
	v_pk_fma_f16 v46, v21, v62, v46
	v_pk_fma_f16 v47, v21, v17, v47
	;; [unrolled: 1-line block ×8, first 2 shown]
	ds_read_b128 v[17:20], v122 offset:240
	s_waitcnt lgkmcnt(0)
	v_mul_u32_u24_sdwa v53, v17, v125 dst_sel:DWORD dst_unused:UNUSED_PAD src0_sel:WORD_0 src1_sel:DWORD
	v_mul_u32_u24_sdwa v54, v17, v125 dst_sel:DWORD dst_unused:UNUSED_PAD src0_sel:WORD_1 src1_sel:DWORD
	v_mul_u32_u24_sdwa v55, v18, v125 dst_sel:DWORD dst_unused:UNUSED_PAD src0_sel:WORD_0 src1_sel:DWORD
	v_mul_u32_u24_sdwa v56, v18, v125 dst_sel:DWORD dst_unused:UNUSED_PAD src0_sel:WORD_1 src1_sel:DWORD
	;; [unrolled: 2-line block ×4, first 2 shown]
	ds_read_b128 v[17:20], v122 offset:1264
	v_pk_fma_f16 v40, v22, v53, v40
	v_pk_fma_f16 v41, v22, v54, v41
	;; [unrolled: 1-line block ×8, first 2 shown]
	s_waitcnt lgkmcnt(0)
	v_mul_u32_u24_sdwa v61, v17, v125 dst_sel:DWORD dst_unused:UNUSED_PAD src0_sel:WORD_0 src1_sel:DWORD
	v_mul_u32_u24_sdwa v17, v17, v125 dst_sel:DWORD dst_unused:UNUSED_PAD src0_sel:WORD_1 src1_sel:DWORD
	v_mul_u32_u24_sdwa v62, v18, v125 dst_sel:DWORD dst_unused:UNUSED_PAD src0_sel:WORD_0 src1_sel:DWORD
	v_mul_u32_u24_sdwa v18, v18, v125 dst_sel:DWORD dst_unused:UNUSED_PAD src0_sel:WORD_1 src1_sel:DWORD
	;; [unrolled: 2-line block ×4, first 2 shown]
	v_pk_fma_f16 v46, v22, v61, v46
	v_pk_fma_f16 v47, v22, v17, v47
	;; [unrolled: 1-line block ×8, first 2 shown]
	ds_read2_b32 v[21:22], v0 offset1:32
	ds_read_b128 v[17:20], v122 offset:256
	s_waitcnt lgkmcnt(0)
	v_mul_u32_u24_sdwa v54, v17, v125 dst_sel:DWORD dst_unused:UNUSED_PAD src0_sel:WORD_0 src1_sel:DWORD
	v_mul_u32_u24_sdwa v55, v17, v125 dst_sel:DWORD dst_unused:UNUSED_PAD src0_sel:WORD_1 src1_sel:DWORD
	v_mul_u32_u24_sdwa v56, v18, v125 dst_sel:DWORD dst_unused:UNUSED_PAD src0_sel:WORD_0 src1_sel:DWORD
	v_mul_u32_u24_sdwa v57, v18, v125 dst_sel:DWORD dst_unused:UNUSED_PAD src0_sel:WORD_1 src1_sel:DWORD
	;; [unrolled: 2-line block ×4, first 2 shown]
	ds_read_b128 v[17:20], v122 offset:1280
	v_pk_fma_f16 v40, v21, v54, v40
	v_pk_fma_f16 v41, v21, v55, v41
	;; [unrolled: 1-line block ×8, first 2 shown]
	s_waitcnt lgkmcnt(0)
	v_mul_u32_u24_sdwa v62, v17, v125 dst_sel:DWORD dst_unused:UNUSED_PAD src0_sel:WORD_0 src1_sel:DWORD
	v_mul_u32_u24_sdwa v17, v17, v125 dst_sel:DWORD dst_unused:UNUSED_PAD src0_sel:WORD_1 src1_sel:DWORD
	v_mul_u32_u24_sdwa v63, v18, v125 dst_sel:DWORD dst_unused:UNUSED_PAD src0_sel:WORD_0 src1_sel:DWORD
	v_mul_u32_u24_sdwa v18, v18, v125 dst_sel:DWORD dst_unused:UNUSED_PAD src0_sel:WORD_1 src1_sel:DWORD
	;; [unrolled: 2-line block ×4, first 2 shown]
	v_pk_fma_f16 v46, v21, v62, v46
	v_pk_fma_f16 v47, v21, v17, v47
	;; [unrolled: 1-line block ×8, first 2 shown]
	ds_read_b128 v[17:20], v122 offset:272
	s_waitcnt lgkmcnt(0)
	v_mul_u32_u24_sdwa v53, v17, v125 dst_sel:DWORD dst_unused:UNUSED_PAD src0_sel:WORD_0 src1_sel:DWORD
	v_mul_u32_u24_sdwa v54, v17, v125 dst_sel:DWORD dst_unused:UNUSED_PAD src0_sel:WORD_1 src1_sel:DWORD
	v_mul_u32_u24_sdwa v55, v18, v125 dst_sel:DWORD dst_unused:UNUSED_PAD src0_sel:WORD_0 src1_sel:DWORD
	v_mul_u32_u24_sdwa v56, v18, v125 dst_sel:DWORD dst_unused:UNUSED_PAD src0_sel:WORD_1 src1_sel:DWORD
	;; [unrolled: 2-line block ×4, first 2 shown]
	ds_read_b128 v[17:20], v122 offset:1296
	v_pk_fma_f16 v40, v22, v53, v40
	v_pk_fma_f16 v41, v22, v54, v41
	;; [unrolled: 1-line block ×8, first 2 shown]
	s_waitcnt lgkmcnt(0)
	v_mul_u32_u24_sdwa v61, v17, v125 dst_sel:DWORD dst_unused:UNUSED_PAD src0_sel:WORD_0 src1_sel:DWORD
	v_mul_u32_u24_sdwa v17, v17, v125 dst_sel:DWORD dst_unused:UNUSED_PAD src0_sel:WORD_1 src1_sel:DWORD
	v_mul_u32_u24_sdwa v62, v18, v125 dst_sel:DWORD dst_unused:UNUSED_PAD src0_sel:WORD_0 src1_sel:DWORD
	v_mul_u32_u24_sdwa v18, v18, v125 dst_sel:DWORD dst_unused:UNUSED_PAD src0_sel:WORD_1 src1_sel:DWORD
	;; [unrolled: 2-line block ×4, first 2 shown]
	v_pk_fma_f16 v46, v22, v61, v46
	v_pk_fma_f16 v47, v22, v17, v47
	;; [unrolled: 1-line block ×8, first 2 shown]
	ds_read2_b32 v[21:22], v0 offset0:64 offset1:96
	ds_read_b128 v[17:20], v122 offset:288
	s_waitcnt lgkmcnt(0)
	v_mul_u32_u24_sdwa v54, v17, v125 dst_sel:DWORD dst_unused:UNUSED_PAD src0_sel:WORD_0 src1_sel:DWORD
	v_mul_u32_u24_sdwa v55, v17, v125 dst_sel:DWORD dst_unused:UNUSED_PAD src0_sel:WORD_1 src1_sel:DWORD
	v_mul_u32_u24_sdwa v56, v18, v125 dst_sel:DWORD dst_unused:UNUSED_PAD src0_sel:WORD_0 src1_sel:DWORD
	v_mul_u32_u24_sdwa v57, v18, v125 dst_sel:DWORD dst_unused:UNUSED_PAD src0_sel:WORD_1 src1_sel:DWORD
	;; [unrolled: 2-line block ×4, first 2 shown]
	ds_read_b128 v[17:20], v122 offset:1312
	v_pk_fma_f16 v40, v21, v54, v40
	v_pk_fma_f16 v41, v21, v55, v41
	;; [unrolled: 1-line block ×8, first 2 shown]
	s_waitcnt lgkmcnt(0)
	v_mul_u32_u24_sdwa v62, v17, v125 dst_sel:DWORD dst_unused:UNUSED_PAD src0_sel:WORD_0 src1_sel:DWORD
	v_mul_u32_u24_sdwa v17, v17, v125 dst_sel:DWORD dst_unused:UNUSED_PAD src0_sel:WORD_1 src1_sel:DWORD
	v_mul_u32_u24_sdwa v63, v18, v125 dst_sel:DWORD dst_unused:UNUSED_PAD src0_sel:WORD_0 src1_sel:DWORD
	v_mul_u32_u24_sdwa v18, v18, v125 dst_sel:DWORD dst_unused:UNUSED_PAD src0_sel:WORD_1 src1_sel:DWORD
	;; [unrolled: 2-line block ×4, first 2 shown]
	v_pk_fma_f16 v46, v21, v62, v46
	v_pk_fma_f16 v47, v21, v17, v47
	;; [unrolled: 1-line block ×8, first 2 shown]
	ds_read_b128 v[17:20], v122 offset:304
	s_waitcnt lgkmcnt(0)
	v_mul_u32_u24_sdwa v53, v17, v125 dst_sel:DWORD dst_unused:UNUSED_PAD src0_sel:WORD_0 src1_sel:DWORD
	v_mul_u32_u24_sdwa v54, v17, v125 dst_sel:DWORD dst_unused:UNUSED_PAD src0_sel:WORD_1 src1_sel:DWORD
	v_mul_u32_u24_sdwa v55, v18, v125 dst_sel:DWORD dst_unused:UNUSED_PAD src0_sel:WORD_0 src1_sel:DWORD
	v_mul_u32_u24_sdwa v56, v18, v125 dst_sel:DWORD dst_unused:UNUSED_PAD src0_sel:WORD_1 src1_sel:DWORD
	;; [unrolled: 2-line block ×4, first 2 shown]
	ds_read_b128 v[17:20], v122 offset:1328
	v_pk_fma_f16 v40, v22, v53, v40
	v_pk_fma_f16 v41, v22, v54, v41
	;; [unrolled: 1-line block ×8, first 2 shown]
	s_waitcnt lgkmcnt(0)
	v_mul_u32_u24_sdwa v61, v17, v125 dst_sel:DWORD dst_unused:UNUSED_PAD src0_sel:WORD_0 src1_sel:DWORD
	v_mul_u32_u24_sdwa v17, v17, v125 dst_sel:DWORD dst_unused:UNUSED_PAD src0_sel:WORD_1 src1_sel:DWORD
	v_mul_u32_u24_sdwa v62, v18, v125 dst_sel:DWORD dst_unused:UNUSED_PAD src0_sel:WORD_0 src1_sel:DWORD
	v_mul_u32_u24_sdwa v18, v18, v125 dst_sel:DWORD dst_unused:UNUSED_PAD src0_sel:WORD_1 src1_sel:DWORD
	;; [unrolled: 2-line block ×4, first 2 shown]
	v_pk_fma_f16 v46, v22, v61, v46
	v_pk_fma_f16 v47, v22, v17, v47
	;; [unrolled: 1-line block ×8, first 2 shown]
	ds_read2_b32 v[21:22], v0 offset0:128 offset1:160
	ds_read_b128 v[17:20], v122 offset:320
	s_waitcnt lgkmcnt(0)
	v_mul_u32_u24_sdwa v54, v17, v125 dst_sel:DWORD dst_unused:UNUSED_PAD src0_sel:WORD_0 src1_sel:DWORD
	v_mul_u32_u24_sdwa v55, v17, v125 dst_sel:DWORD dst_unused:UNUSED_PAD src0_sel:WORD_1 src1_sel:DWORD
	v_mul_u32_u24_sdwa v56, v18, v125 dst_sel:DWORD dst_unused:UNUSED_PAD src0_sel:WORD_0 src1_sel:DWORD
	v_mul_u32_u24_sdwa v57, v18, v125 dst_sel:DWORD dst_unused:UNUSED_PAD src0_sel:WORD_1 src1_sel:DWORD
	;; [unrolled: 2-line block ×4, first 2 shown]
	ds_read_b128 v[17:20], v122 offset:1344
	v_pk_fma_f16 v40, v21, v54, v40
	v_pk_fma_f16 v41, v21, v55, v41
	v_pk_fma_f16 v42, v21, v56, v42
	v_pk_fma_f16 v43, v21, v57, v43
	v_pk_fma_f16 v44, v21, v58, v44
	v_pk_fma_f16 v23, v21, v59, v23
	v_pk_fma_f16 v45, v21, v60, v45
	v_pk_fma_f16 v24, v21, v61, v24
	s_waitcnt lgkmcnt(0)
	v_mul_u32_u24_sdwa v62, v17, v125 dst_sel:DWORD dst_unused:UNUSED_PAD src0_sel:WORD_0 src1_sel:DWORD
	v_mul_u32_u24_sdwa v17, v17, v125 dst_sel:DWORD dst_unused:UNUSED_PAD src0_sel:WORD_1 src1_sel:DWORD
	v_mul_u32_u24_sdwa v63, v18, v125 dst_sel:DWORD dst_unused:UNUSED_PAD src0_sel:WORD_0 src1_sel:DWORD
	v_mul_u32_u24_sdwa v18, v18, v125 dst_sel:DWORD dst_unused:UNUSED_PAD src0_sel:WORD_1 src1_sel:DWORD
	;; [unrolled: 2-line block ×4, first 2 shown]
	v_pk_fma_f16 v46, v21, v62, v46
	v_pk_fma_f16 v47, v21, v17, v47
	;; [unrolled: 1-line block ×8, first 2 shown]
	ds_read_b128 v[17:20], v122 offset:336
	s_waitcnt lgkmcnt(0)
	v_mul_u32_u24_sdwa v53, v17, v125 dst_sel:DWORD dst_unused:UNUSED_PAD src0_sel:WORD_0 src1_sel:DWORD
	v_mul_u32_u24_sdwa v54, v17, v125 dst_sel:DWORD dst_unused:UNUSED_PAD src0_sel:WORD_1 src1_sel:DWORD
	v_mul_u32_u24_sdwa v55, v18, v125 dst_sel:DWORD dst_unused:UNUSED_PAD src0_sel:WORD_0 src1_sel:DWORD
	v_mul_u32_u24_sdwa v56, v18, v125 dst_sel:DWORD dst_unused:UNUSED_PAD src0_sel:WORD_1 src1_sel:DWORD
	;; [unrolled: 2-line block ×4, first 2 shown]
	ds_read_b128 v[17:20], v122 offset:1360
	v_pk_fma_f16 v40, v22, v53, v40
	v_pk_fma_f16 v41, v22, v54, v41
	;; [unrolled: 1-line block ×8, first 2 shown]
	s_waitcnt lgkmcnt(0)
	v_mul_u32_u24_sdwa v61, v17, v125 dst_sel:DWORD dst_unused:UNUSED_PAD src0_sel:WORD_0 src1_sel:DWORD
	v_mul_u32_u24_sdwa v17, v17, v125 dst_sel:DWORD dst_unused:UNUSED_PAD src0_sel:WORD_1 src1_sel:DWORD
	v_mul_u32_u24_sdwa v62, v18, v125 dst_sel:DWORD dst_unused:UNUSED_PAD src0_sel:WORD_0 src1_sel:DWORD
	v_mul_u32_u24_sdwa v18, v18, v125 dst_sel:DWORD dst_unused:UNUSED_PAD src0_sel:WORD_1 src1_sel:DWORD
	;; [unrolled: 2-line block ×4, first 2 shown]
	v_pk_fma_f16 v46, v22, v61, v46
	v_pk_fma_f16 v47, v22, v17, v47
	;; [unrolled: 1-line block ×8, first 2 shown]
	ds_read2_b32 v[21:22], v0 offset0:192 offset1:224
	ds_read_b128 v[17:20], v122 offset:352
	s_waitcnt lgkmcnt(0)
	v_mul_u32_u24_sdwa v54, v17, v125 dst_sel:DWORD dst_unused:UNUSED_PAD src0_sel:WORD_0 src1_sel:DWORD
	v_mul_u32_u24_sdwa v55, v17, v125 dst_sel:DWORD dst_unused:UNUSED_PAD src0_sel:WORD_1 src1_sel:DWORD
	v_mul_u32_u24_sdwa v56, v18, v125 dst_sel:DWORD dst_unused:UNUSED_PAD src0_sel:WORD_0 src1_sel:DWORD
	v_mul_u32_u24_sdwa v57, v18, v125 dst_sel:DWORD dst_unused:UNUSED_PAD src0_sel:WORD_1 src1_sel:DWORD
	v_mul_u32_u24_sdwa v58, v19, v125 dst_sel:DWORD dst_unused:UNUSED_PAD src0_sel:WORD_0 src1_sel:DWORD
	v_mul_u32_u24_sdwa v59, v19, v125 dst_sel:DWORD dst_unused:UNUSED_PAD src0_sel:WORD_1 src1_sel:DWORD
	v_mul_u32_u24_sdwa v60, v20, v125 dst_sel:DWORD dst_unused:UNUSED_PAD src0_sel:WORD_0 src1_sel:DWORD
	v_mul_u32_u24_sdwa v61, v20, v125 dst_sel:DWORD dst_unused:UNUSED_PAD src0_sel:WORD_1 src1_sel:DWORD
	ds_read_b128 v[17:20], v122 offset:1376
	v_pk_fma_f16 v40, v21, v54, v40
	v_pk_fma_f16 v41, v21, v55, v41
	;; [unrolled: 1-line block ×8, first 2 shown]
	s_waitcnt lgkmcnt(0)
	v_mul_u32_u24_sdwa v62, v17, v125 dst_sel:DWORD dst_unused:UNUSED_PAD src0_sel:WORD_0 src1_sel:DWORD
	v_mul_u32_u24_sdwa v17, v17, v125 dst_sel:DWORD dst_unused:UNUSED_PAD src0_sel:WORD_1 src1_sel:DWORD
	v_mul_u32_u24_sdwa v63, v18, v125 dst_sel:DWORD dst_unused:UNUSED_PAD src0_sel:WORD_0 src1_sel:DWORD
	v_mul_u32_u24_sdwa v18, v18, v125 dst_sel:DWORD dst_unused:UNUSED_PAD src0_sel:WORD_1 src1_sel:DWORD
	;; [unrolled: 2-line block ×4, first 2 shown]
	v_pk_fma_f16 v46, v21, v62, v46
	v_pk_fma_f16 v47, v21, v17, v47
	;; [unrolled: 1-line block ×8, first 2 shown]
	ds_read_b128 v[17:20], v122 offset:368
	s_waitcnt lgkmcnt(0)
	v_mul_u32_u24_sdwa v53, v17, v125 dst_sel:DWORD dst_unused:UNUSED_PAD src0_sel:WORD_0 src1_sel:DWORD
	v_mul_u32_u24_sdwa v54, v17, v125 dst_sel:DWORD dst_unused:UNUSED_PAD src0_sel:WORD_1 src1_sel:DWORD
	v_mul_u32_u24_sdwa v55, v18, v125 dst_sel:DWORD dst_unused:UNUSED_PAD src0_sel:WORD_0 src1_sel:DWORD
	v_mul_u32_u24_sdwa v56, v18, v125 dst_sel:DWORD dst_unused:UNUSED_PAD src0_sel:WORD_1 src1_sel:DWORD
	;; [unrolled: 2-line block ×4, first 2 shown]
	ds_read_b128 v[17:20], v122 offset:1392
	v_pk_fma_f16 v40, v22, v53, v40
	v_pk_fma_f16 v41, v22, v54, v41
	;; [unrolled: 1-line block ×8, first 2 shown]
	s_waitcnt lgkmcnt(0)
	v_mul_u32_u24_sdwa v61, v17, v125 dst_sel:DWORD dst_unused:UNUSED_PAD src0_sel:WORD_0 src1_sel:DWORD
	v_mul_u32_u24_sdwa v17, v17, v125 dst_sel:DWORD dst_unused:UNUSED_PAD src0_sel:WORD_1 src1_sel:DWORD
	v_mul_u32_u24_sdwa v62, v18, v125 dst_sel:DWORD dst_unused:UNUSED_PAD src0_sel:WORD_0 src1_sel:DWORD
	v_mul_u32_u24_sdwa v18, v18, v125 dst_sel:DWORD dst_unused:UNUSED_PAD src0_sel:WORD_1 src1_sel:DWORD
	v_mul_u32_u24_sdwa v63, v19, v125 dst_sel:DWORD dst_unused:UNUSED_PAD src0_sel:WORD_0 src1_sel:DWORD
	v_mul_u32_u24_sdwa v19, v19, v125 dst_sel:DWORD dst_unused:UNUSED_PAD src0_sel:WORD_1 src1_sel:DWORD
	v_mul_u32_u24_sdwa v64, v20, v125 dst_sel:DWORD dst_unused:UNUSED_PAD src0_sel:WORD_0 src1_sel:DWORD
	v_mul_u32_u24_sdwa v20, v20, v125 dst_sel:DWORD dst_unused:UNUSED_PAD src0_sel:WORD_1 src1_sel:DWORD
	v_pk_fma_f16 v46, v22, v61, v46
	v_pk_fma_f16 v47, v22, v17, v47
	;; [unrolled: 1-line block ×8, first 2 shown]
	ds_read2_b32 v[21:22], v66 offset1:32
	ds_read_b128 v[17:20], v122 offset:384
	s_waitcnt lgkmcnt(0)
	v_mul_u32_u24_sdwa v54, v17, v125 dst_sel:DWORD dst_unused:UNUSED_PAD src0_sel:WORD_0 src1_sel:DWORD
	v_mul_u32_u24_sdwa v55, v17, v125 dst_sel:DWORD dst_unused:UNUSED_PAD src0_sel:WORD_1 src1_sel:DWORD
	v_mul_u32_u24_sdwa v56, v18, v125 dst_sel:DWORD dst_unused:UNUSED_PAD src0_sel:WORD_0 src1_sel:DWORD
	v_mul_u32_u24_sdwa v57, v18, v125 dst_sel:DWORD dst_unused:UNUSED_PAD src0_sel:WORD_1 src1_sel:DWORD
	;; [unrolled: 2-line block ×4, first 2 shown]
	ds_read_b128 v[17:20], v122 offset:1408
	v_pk_fma_f16 v40, v21, v54, v40
	v_pk_fma_f16 v41, v21, v55, v41
	;; [unrolled: 1-line block ×8, first 2 shown]
	s_waitcnt lgkmcnt(0)
	v_mul_u32_u24_sdwa v62, v17, v125 dst_sel:DWORD dst_unused:UNUSED_PAD src0_sel:WORD_0 src1_sel:DWORD
	v_mul_u32_u24_sdwa v17, v17, v125 dst_sel:DWORD dst_unused:UNUSED_PAD src0_sel:WORD_1 src1_sel:DWORD
	v_mul_u32_u24_sdwa v63, v18, v125 dst_sel:DWORD dst_unused:UNUSED_PAD src0_sel:WORD_0 src1_sel:DWORD
	v_mul_u32_u24_sdwa v18, v18, v125 dst_sel:DWORD dst_unused:UNUSED_PAD src0_sel:WORD_1 src1_sel:DWORD
	;; [unrolled: 2-line block ×4, first 2 shown]
	v_pk_fma_f16 v46, v21, v62, v46
	v_pk_fma_f16 v47, v21, v17, v47
	;; [unrolled: 1-line block ×8, first 2 shown]
	ds_read_b128 v[17:20], v122 offset:400
	s_waitcnt lgkmcnt(0)
	v_mul_u32_u24_sdwa v53, v17, v125 dst_sel:DWORD dst_unused:UNUSED_PAD src0_sel:WORD_0 src1_sel:DWORD
	v_mul_u32_u24_sdwa v54, v17, v125 dst_sel:DWORD dst_unused:UNUSED_PAD src0_sel:WORD_1 src1_sel:DWORD
	v_mul_u32_u24_sdwa v55, v18, v125 dst_sel:DWORD dst_unused:UNUSED_PAD src0_sel:WORD_0 src1_sel:DWORD
	v_mul_u32_u24_sdwa v56, v18, v125 dst_sel:DWORD dst_unused:UNUSED_PAD src0_sel:WORD_1 src1_sel:DWORD
	;; [unrolled: 2-line block ×4, first 2 shown]
	ds_read_b128 v[17:20], v122 offset:1424
	v_pk_fma_f16 v40, v22, v53, v40
	v_pk_fma_f16 v41, v22, v54, v41
	v_pk_fma_f16 v42, v22, v55, v42
	v_pk_fma_f16 v43, v22, v56, v43
	v_pk_fma_f16 v44, v22, v57, v44
	v_pk_fma_f16 v23, v22, v58, v23
	v_pk_fma_f16 v45, v22, v59, v45
	v_pk_fma_f16 v24, v22, v60, v24
	s_waitcnt lgkmcnt(0)
	v_mul_u32_u24_sdwa v61, v17, v125 dst_sel:DWORD dst_unused:UNUSED_PAD src0_sel:WORD_0 src1_sel:DWORD
	v_mul_u32_u24_sdwa v17, v17, v125 dst_sel:DWORD dst_unused:UNUSED_PAD src0_sel:WORD_1 src1_sel:DWORD
	v_mul_u32_u24_sdwa v62, v18, v125 dst_sel:DWORD dst_unused:UNUSED_PAD src0_sel:WORD_0 src1_sel:DWORD
	v_mul_u32_u24_sdwa v18, v18, v125 dst_sel:DWORD dst_unused:UNUSED_PAD src0_sel:WORD_1 src1_sel:DWORD
	;; [unrolled: 2-line block ×4, first 2 shown]
	v_pk_fma_f16 v46, v22, v61, v46
	v_pk_fma_f16 v47, v22, v17, v47
	;; [unrolled: 1-line block ×8, first 2 shown]
	ds_read2_b32 v[21:22], v66 offset0:64 offset1:96
	ds_read_b128 v[17:20], v122 offset:416
	s_waitcnt lgkmcnt(0)
	v_mul_u32_u24_sdwa v54, v17, v125 dst_sel:DWORD dst_unused:UNUSED_PAD src0_sel:WORD_0 src1_sel:DWORD
	v_mul_u32_u24_sdwa v55, v17, v125 dst_sel:DWORD dst_unused:UNUSED_PAD src0_sel:WORD_1 src1_sel:DWORD
	v_mul_u32_u24_sdwa v56, v18, v125 dst_sel:DWORD dst_unused:UNUSED_PAD src0_sel:WORD_0 src1_sel:DWORD
	v_mul_u32_u24_sdwa v57, v18, v125 dst_sel:DWORD dst_unused:UNUSED_PAD src0_sel:WORD_1 src1_sel:DWORD
	;; [unrolled: 2-line block ×4, first 2 shown]
	ds_read_b128 v[17:20], v122 offset:1440
	v_pk_fma_f16 v40, v21, v54, v40
	v_pk_fma_f16 v41, v21, v55, v41
	;; [unrolled: 1-line block ×8, first 2 shown]
	s_waitcnt lgkmcnt(0)
	v_mul_u32_u24_sdwa v62, v17, v125 dst_sel:DWORD dst_unused:UNUSED_PAD src0_sel:WORD_0 src1_sel:DWORD
	v_mul_u32_u24_sdwa v17, v17, v125 dst_sel:DWORD dst_unused:UNUSED_PAD src0_sel:WORD_1 src1_sel:DWORD
	v_mul_u32_u24_sdwa v63, v18, v125 dst_sel:DWORD dst_unused:UNUSED_PAD src0_sel:WORD_0 src1_sel:DWORD
	v_mul_u32_u24_sdwa v18, v18, v125 dst_sel:DWORD dst_unused:UNUSED_PAD src0_sel:WORD_1 src1_sel:DWORD
	;; [unrolled: 2-line block ×4, first 2 shown]
	v_pk_fma_f16 v46, v21, v62, v46
	v_pk_fma_f16 v47, v21, v17, v47
	;; [unrolled: 1-line block ×8, first 2 shown]
	ds_read_b128 v[17:20], v122 offset:432
	s_waitcnt lgkmcnt(0)
	v_mul_u32_u24_sdwa v53, v17, v125 dst_sel:DWORD dst_unused:UNUSED_PAD src0_sel:WORD_0 src1_sel:DWORD
	v_mul_u32_u24_sdwa v54, v17, v125 dst_sel:DWORD dst_unused:UNUSED_PAD src0_sel:WORD_1 src1_sel:DWORD
	v_mul_u32_u24_sdwa v55, v18, v125 dst_sel:DWORD dst_unused:UNUSED_PAD src0_sel:WORD_0 src1_sel:DWORD
	v_mul_u32_u24_sdwa v56, v18, v125 dst_sel:DWORD dst_unused:UNUSED_PAD src0_sel:WORD_1 src1_sel:DWORD
	;; [unrolled: 2-line block ×4, first 2 shown]
	ds_read_b128 v[17:20], v122 offset:1456
	v_pk_fma_f16 v40, v22, v53, v40
	v_pk_fma_f16 v41, v22, v54, v41
	;; [unrolled: 1-line block ×8, first 2 shown]
	s_waitcnt lgkmcnt(0)
	v_mul_u32_u24_sdwa v61, v17, v125 dst_sel:DWORD dst_unused:UNUSED_PAD src0_sel:WORD_0 src1_sel:DWORD
	v_mul_u32_u24_sdwa v17, v17, v125 dst_sel:DWORD dst_unused:UNUSED_PAD src0_sel:WORD_1 src1_sel:DWORD
	v_mul_u32_u24_sdwa v62, v18, v125 dst_sel:DWORD dst_unused:UNUSED_PAD src0_sel:WORD_0 src1_sel:DWORD
	v_mul_u32_u24_sdwa v18, v18, v125 dst_sel:DWORD dst_unused:UNUSED_PAD src0_sel:WORD_1 src1_sel:DWORD
	;; [unrolled: 2-line block ×4, first 2 shown]
	v_pk_fma_f16 v46, v22, v61, v46
	v_pk_fma_f16 v47, v22, v17, v47
	;; [unrolled: 1-line block ×8, first 2 shown]
	ds_read2_b32 v[21:22], v66 offset0:128 offset1:160
	ds_read_b128 v[17:20], v122 offset:448
	s_waitcnt lgkmcnt(0)
	v_mul_u32_u24_sdwa v54, v17, v125 dst_sel:DWORD dst_unused:UNUSED_PAD src0_sel:WORD_0 src1_sel:DWORD
	v_mul_u32_u24_sdwa v55, v17, v125 dst_sel:DWORD dst_unused:UNUSED_PAD src0_sel:WORD_1 src1_sel:DWORD
	v_mul_u32_u24_sdwa v56, v18, v125 dst_sel:DWORD dst_unused:UNUSED_PAD src0_sel:WORD_0 src1_sel:DWORD
	v_mul_u32_u24_sdwa v57, v18, v125 dst_sel:DWORD dst_unused:UNUSED_PAD src0_sel:WORD_1 src1_sel:DWORD
	;; [unrolled: 2-line block ×4, first 2 shown]
	ds_read_b128 v[17:20], v122 offset:1472
	v_pk_fma_f16 v40, v21, v54, v40
	v_pk_fma_f16 v41, v21, v55, v41
	;; [unrolled: 1-line block ×8, first 2 shown]
	s_waitcnt lgkmcnt(0)
	v_mul_u32_u24_sdwa v62, v17, v125 dst_sel:DWORD dst_unused:UNUSED_PAD src0_sel:WORD_0 src1_sel:DWORD
	v_mul_u32_u24_sdwa v17, v17, v125 dst_sel:DWORD dst_unused:UNUSED_PAD src0_sel:WORD_1 src1_sel:DWORD
	v_mul_u32_u24_sdwa v63, v18, v125 dst_sel:DWORD dst_unused:UNUSED_PAD src0_sel:WORD_0 src1_sel:DWORD
	v_mul_u32_u24_sdwa v18, v18, v125 dst_sel:DWORD dst_unused:UNUSED_PAD src0_sel:WORD_1 src1_sel:DWORD
	;; [unrolled: 2-line block ×4, first 2 shown]
	v_pk_fma_f16 v46, v21, v62, v46
	v_pk_fma_f16 v47, v21, v17, v47
	;; [unrolled: 1-line block ×8, first 2 shown]
	ds_read_b128 v[17:20], v122 offset:464
	s_waitcnt lgkmcnt(0)
	v_mul_u32_u24_sdwa v53, v17, v125 dst_sel:DWORD dst_unused:UNUSED_PAD src0_sel:WORD_0 src1_sel:DWORD
	v_mul_u32_u24_sdwa v54, v17, v125 dst_sel:DWORD dst_unused:UNUSED_PAD src0_sel:WORD_1 src1_sel:DWORD
	v_mul_u32_u24_sdwa v55, v18, v125 dst_sel:DWORD dst_unused:UNUSED_PAD src0_sel:WORD_0 src1_sel:DWORD
	v_mul_u32_u24_sdwa v56, v18, v125 dst_sel:DWORD dst_unused:UNUSED_PAD src0_sel:WORD_1 src1_sel:DWORD
	;; [unrolled: 2-line block ×4, first 2 shown]
	ds_read_b128 v[17:20], v122 offset:1488
	v_pk_fma_f16 v40, v22, v53, v40
	v_pk_fma_f16 v41, v22, v54, v41
	;; [unrolled: 1-line block ×8, first 2 shown]
	s_waitcnt lgkmcnt(0)
	v_mul_u32_u24_sdwa v61, v17, v125 dst_sel:DWORD dst_unused:UNUSED_PAD src0_sel:WORD_0 src1_sel:DWORD
	v_mul_u32_u24_sdwa v17, v17, v125 dst_sel:DWORD dst_unused:UNUSED_PAD src0_sel:WORD_1 src1_sel:DWORD
	v_mul_u32_u24_sdwa v62, v18, v125 dst_sel:DWORD dst_unused:UNUSED_PAD src0_sel:WORD_0 src1_sel:DWORD
	v_mul_u32_u24_sdwa v18, v18, v125 dst_sel:DWORD dst_unused:UNUSED_PAD src0_sel:WORD_1 src1_sel:DWORD
	;; [unrolled: 2-line block ×4, first 2 shown]
	v_pk_fma_f16 v46, v22, v61, v46
	v_pk_fma_f16 v47, v22, v17, v47
	;; [unrolled: 1-line block ×8, first 2 shown]
	ds_read2_b32 v[21:22], v66 offset0:192 offset1:224
	ds_read_b128 v[17:20], v122 offset:480
	s_waitcnt lgkmcnt(0)
	v_mul_u32_u24_sdwa v54, v17, v125 dst_sel:DWORD dst_unused:UNUSED_PAD src0_sel:WORD_0 src1_sel:DWORD
	v_mul_u32_u24_sdwa v55, v17, v125 dst_sel:DWORD dst_unused:UNUSED_PAD src0_sel:WORD_1 src1_sel:DWORD
	v_mul_u32_u24_sdwa v56, v18, v125 dst_sel:DWORD dst_unused:UNUSED_PAD src0_sel:WORD_0 src1_sel:DWORD
	v_mul_u32_u24_sdwa v57, v18, v125 dst_sel:DWORD dst_unused:UNUSED_PAD src0_sel:WORD_1 src1_sel:DWORD
	;; [unrolled: 2-line block ×4, first 2 shown]
	ds_read_b128 v[17:20], v122 offset:1504
	v_pk_fma_f16 v40, v21, v54, v40
	v_pk_fma_f16 v41, v21, v55, v41
	;; [unrolled: 1-line block ×8, first 2 shown]
	s_waitcnt lgkmcnt(0)
	v_mul_u32_u24_sdwa v62, v17, v125 dst_sel:DWORD dst_unused:UNUSED_PAD src0_sel:WORD_0 src1_sel:DWORD
	v_mul_u32_u24_sdwa v17, v17, v125 dst_sel:DWORD dst_unused:UNUSED_PAD src0_sel:WORD_1 src1_sel:DWORD
	v_mul_u32_u24_sdwa v63, v18, v125 dst_sel:DWORD dst_unused:UNUSED_PAD src0_sel:WORD_0 src1_sel:DWORD
	v_mul_u32_u24_sdwa v18, v18, v125 dst_sel:DWORD dst_unused:UNUSED_PAD src0_sel:WORD_1 src1_sel:DWORD
	v_mul_u32_u24_sdwa v64, v19, v125 dst_sel:DWORD dst_unused:UNUSED_PAD src0_sel:WORD_0 src1_sel:DWORD
	v_mul_u32_u24_sdwa v19, v19, v125 dst_sel:DWORD dst_unused:UNUSED_PAD src0_sel:WORD_1 src1_sel:DWORD
	v_mul_u32_u24_sdwa v65, v20, v125 dst_sel:DWORD dst_unused:UNUSED_PAD src0_sel:WORD_0 src1_sel:DWORD
	v_mul_u32_u24_sdwa v20, v20, v125 dst_sel:DWORD dst_unused:UNUSED_PAD src0_sel:WORD_1 src1_sel:DWORD
	v_pk_fma_f16 v46, v21, v62, v46
	v_pk_fma_f16 v47, v21, v17, v47
	;; [unrolled: 1-line block ×8, first 2 shown]
	ds_read_b128 v[17:20], v122 offset:496
	s_waitcnt lgkmcnt(0)
	v_mul_u32_u24_sdwa v53, v17, v125 dst_sel:DWORD dst_unused:UNUSED_PAD src0_sel:WORD_0 src1_sel:DWORD
	v_mul_u32_u24_sdwa v54, v17, v125 dst_sel:DWORD dst_unused:UNUSED_PAD src0_sel:WORD_1 src1_sel:DWORD
	v_mul_u32_u24_sdwa v55, v18, v125 dst_sel:DWORD dst_unused:UNUSED_PAD src0_sel:WORD_0 src1_sel:DWORD
	v_mul_u32_u24_sdwa v56, v18, v125 dst_sel:DWORD dst_unused:UNUSED_PAD src0_sel:WORD_1 src1_sel:DWORD
	;; [unrolled: 2-line block ×4, first 2 shown]
	ds_read_b128 v[17:20], v122 offset:1520
	v_pk_fma_f16 v40, v22, v53, v40
	v_pk_fma_f16 v41, v22, v54, v41
	;; [unrolled: 1-line block ×8, first 2 shown]
	s_waitcnt lgkmcnt(0)
	v_mul_u32_u24_sdwa v61, v17, v125 dst_sel:DWORD dst_unused:UNUSED_PAD src0_sel:WORD_0 src1_sel:DWORD
	v_mul_u32_u24_sdwa v17, v17, v125 dst_sel:DWORD dst_unused:UNUSED_PAD src0_sel:WORD_1 src1_sel:DWORD
	v_mul_u32_u24_sdwa v62, v18, v125 dst_sel:DWORD dst_unused:UNUSED_PAD src0_sel:WORD_0 src1_sel:DWORD
	v_mul_u32_u24_sdwa v18, v18, v125 dst_sel:DWORD dst_unused:UNUSED_PAD src0_sel:WORD_1 src1_sel:DWORD
	;; [unrolled: 2-line block ×4, first 2 shown]
	v_pk_fma_f16 v46, v22, v61, v46
	v_pk_fma_f16 v47, v22, v17, v47
	;; [unrolled: 1-line block ×8, first 2 shown]
	ds_read2_b32 v[21:22], v94 offset1:32
	ds_read_b128 v[17:20], v122 offset:512
	s_waitcnt lgkmcnt(0)
	v_mul_u32_u24_sdwa v54, v17, v125 dst_sel:DWORD dst_unused:UNUSED_PAD src0_sel:WORD_0 src1_sel:DWORD
	v_mul_u32_u24_sdwa v55, v17, v125 dst_sel:DWORD dst_unused:UNUSED_PAD src0_sel:WORD_1 src1_sel:DWORD
	v_mul_u32_u24_sdwa v56, v18, v125 dst_sel:DWORD dst_unused:UNUSED_PAD src0_sel:WORD_0 src1_sel:DWORD
	v_mul_u32_u24_sdwa v57, v18, v125 dst_sel:DWORD dst_unused:UNUSED_PAD src0_sel:WORD_1 src1_sel:DWORD
	;; [unrolled: 2-line block ×4, first 2 shown]
	ds_read_b128 v[17:20], v122 offset:1536
	v_pk_fma_f16 v40, v21, v54, v40
	v_pk_fma_f16 v41, v21, v55, v41
	;; [unrolled: 1-line block ×8, first 2 shown]
	s_waitcnt lgkmcnt(0)
	v_mul_u32_u24_sdwa v62, v17, v125 dst_sel:DWORD dst_unused:UNUSED_PAD src0_sel:WORD_0 src1_sel:DWORD
	v_mul_u32_u24_sdwa v17, v17, v125 dst_sel:DWORD dst_unused:UNUSED_PAD src0_sel:WORD_1 src1_sel:DWORD
	v_mul_u32_u24_sdwa v63, v18, v125 dst_sel:DWORD dst_unused:UNUSED_PAD src0_sel:WORD_0 src1_sel:DWORD
	v_mul_u32_u24_sdwa v18, v18, v125 dst_sel:DWORD dst_unused:UNUSED_PAD src0_sel:WORD_1 src1_sel:DWORD
	;; [unrolled: 2-line block ×4, first 2 shown]
	v_pk_fma_f16 v46, v21, v62, v46
	v_pk_fma_f16 v47, v21, v17, v47
	;; [unrolled: 1-line block ×8, first 2 shown]
	ds_read_b128 v[17:20], v122 offset:528
	s_waitcnt lgkmcnt(0)
	v_mul_u32_u24_sdwa v53, v17, v125 dst_sel:DWORD dst_unused:UNUSED_PAD src0_sel:WORD_0 src1_sel:DWORD
	v_mul_u32_u24_sdwa v54, v17, v125 dst_sel:DWORD dst_unused:UNUSED_PAD src0_sel:WORD_1 src1_sel:DWORD
	v_mul_u32_u24_sdwa v55, v18, v125 dst_sel:DWORD dst_unused:UNUSED_PAD src0_sel:WORD_0 src1_sel:DWORD
	v_mul_u32_u24_sdwa v56, v18, v125 dst_sel:DWORD dst_unused:UNUSED_PAD src0_sel:WORD_1 src1_sel:DWORD
	;; [unrolled: 2-line block ×4, first 2 shown]
	ds_read_b128 v[17:20], v122 offset:1552
	v_pk_fma_f16 v40, v22, v53, v40
	v_pk_fma_f16 v41, v22, v54, v41
	;; [unrolled: 1-line block ×8, first 2 shown]
	s_waitcnt lgkmcnt(0)
	v_mul_u32_u24_sdwa v61, v17, v125 dst_sel:DWORD dst_unused:UNUSED_PAD src0_sel:WORD_0 src1_sel:DWORD
	v_mul_u32_u24_sdwa v17, v17, v125 dst_sel:DWORD dst_unused:UNUSED_PAD src0_sel:WORD_1 src1_sel:DWORD
	v_mul_u32_u24_sdwa v62, v18, v125 dst_sel:DWORD dst_unused:UNUSED_PAD src0_sel:WORD_0 src1_sel:DWORD
	v_mul_u32_u24_sdwa v18, v18, v125 dst_sel:DWORD dst_unused:UNUSED_PAD src0_sel:WORD_1 src1_sel:DWORD
	;; [unrolled: 2-line block ×4, first 2 shown]
	v_pk_fma_f16 v46, v22, v61, v46
	v_pk_fma_f16 v47, v22, v17, v47
	;; [unrolled: 1-line block ×8, first 2 shown]
	ds_read2_b32 v[21:22], v94 offset0:64 offset1:96
	ds_read_b128 v[17:20], v122 offset:544
	s_waitcnt lgkmcnt(0)
	v_mul_u32_u24_sdwa v54, v17, v125 dst_sel:DWORD dst_unused:UNUSED_PAD src0_sel:WORD_0 src1_sel:DWORD
	v_mul_u32_u24_sdwa v55, v17, v125 dst_sel:DWORD dst_unused:UNUSED_PAD src0_sel:WORD_1 src1_sel:DWORD
	v_mul_u32_u24_sdwa v56, v18, v125 dst_sel:DWORD dst_unused:UNUSED_PAD src0_sel:WORD_0 src1_sel:DWORD
	v_mul_u32_u24_sdwa v57, v18, v125 dst_sel:DWORD dst_unused:UNUSED_PAD src0_sel:WORD_1 src1_sel:DWORD
	;; [unrolled: 2-line block ×4, first 2 shown]
	ds_read_b128 v[17:20], v122 offset:1568
	v_pk_fma_f16 v40, v21, v54, v40
	v_pk_fma_f16 v41, v21, v55, v41
	;; [unrolled: 1-line block ×8, first 2 shown]
	s_waitcnt lgkmcnt(0)
	v_mul_u32_u24_sdwa v62, v17, v125 dst_sel:DWORD dst_unused:UNUSED_PAD src0_sel:WORD_0 src1_sel:DWORD
	v_mul_u32_u24_sdwa v17, v17, v125 dst_sel:DWORD dst_unused:UNUSED_PAD src0_sel:WORD_1 src1_sel:DWORD
	v_mul_u32_u24_sdwa v63, v18, v125 dst_sel:DWORD dst_unused:UNUSED_PAD src0_sel:WORD_0 src1_sel:DWORD
	v_mul_u32_u24_sdwa v18, v18, v125 dst_sel:DWORD dst_unused:UNUSED_PAD src0_sel:WORD_1 src1_sel:DWORD
	;; [unrolled: 2-line block ×4, first 2 shown]
	v_pk_fma_f16 v46, v21, v62, v46
	v_pk_fma_f16 v47, v21, v17, v47
	;; [unrolled: 1-line block ×8, first 2 shown]
	ds_read_b128 v[17:20], v122 offset:560
	s_waitcnt lgkmcnt(0)
	v_mul_u32_u24_sdwa v53, v17, v125 dst_sel:DWORD dst_unused:UNUSED_PAD src0_sel:WORD_0 src1_sel:DWORD
	v_mul_u32_u24_sdwa v54, v17, v125 dst_sel:DWORD dst_unused:UNUSED_PAD src0_sel:WORD_1 src1_sel:DWORD
	v_mul_u32_u24_sdwa v55, v18, v125 dst_sel:DWORD dst_unused:UNUSED_PAD src0_sel:WORD_0 src1_sel:DWORD
	v_mul_u32_u24_sdwa v56, v18, v125 dst_sel:DWORD dst_unused:UNUSED_PAD src0_sel:WORD_1 src1_sel:DWORD
	;; [unrolled: 2-line block ×4, first 2 shown]
	ds_read_b128 v[17:20], v122 offset:1584
	v_pk_fma_f16 v40, v22, v53, v40
	v_pk_fma_f16 v41, v22, v54, v41
	;; [unrolled: 1-line block ×8, first 2 shown]
	s_waitcnt lgkmcnt(0)
	v_mul_u32_u24_sdwa v61, v17, v125 dst_sel:DWORD dst_unused:UNUSED_PAD src0_sel:WORD_0 src1_sel:DWORD
	v_mul_u32_u24_sdwa v17, v17, v125 dst_sel:DWORD dst_unused:UNUSED_PAD src0_sel:WORD_1 src1_sel:DWORD
	v_mul_u32_u24_sdwa v62, v18, v125 dst_sel:DWORD dst_unused:UNUSED_PAD src0_sel:WORD_0 src1_sel:DWORD
	v_mul_u32_u24_sdwa v18, v18, v125 dst_sel:DWORD dst_unused:UNUSED_PAD src0_sel:WORD_1 src1_sel:DWORD
	;; [unrolled: 2-line block ×4, first 2 shown]
	v_pk_fma_f16 v46, v22, v61, v46
	v_pk_fma_f16 v47, v22, v17, v47
	;; [unrolled: 1-line block ×8, first 2 shown]
	ds_read2_b32 v[21:22], v94 offset0:128 offset1:160
	ds_read_b128 v[17:20], v122 offset:576
	s_waitcnt lgkmcnt(0)
	v_mul_u32_u24_sdwa v54, v17, v125 dst_sel:DWORD dst_unused:UNUSED_PAD src0_sel:WORD_0 src1_sel:DWORD
	v_mul_u32_u24_sdwa v55, v17, v125 dst_sel:DWORD dst_unused:UNUSED_PAD src0_sel:WORD_1 src1_sel:DWORD
	v_mul_u32_u24_sdwa v56, v18, v125 dst_sel:DWORD dst_unused:UNUSED_PAD src0_sel:WORD_0 src1_sel:DWORD
	v_mul_u32_u24_sdwa v57, v18, v125 dst_sel:DWORD dst_unused:UNUSED_PAD src0_sel:WORD_1 src1_sel:DWORD
	;; [unrolled: 2-line block ×4, first 2 shown]
	ds_read_b128 v[17:20], v122 offset:1600
	v_pk_fma_f16 v40, v21, v54, v40
	v_pk_fma_f16 v41, v21, v55, v41
	;; [unrolled: 1-line block ×8, first 2 shown]
	s_waitcnt lgkmcnt(0)
	v_mul_u32_u24_sdwa v62, v17, v125 dst_sel:DWORD dst_unused:UNUSED_PAD src0_sel:WORD_0 src1_sel:DWORD
	v_mul_u32_u24_sdwa v17, v17, v125 dst_sel:DWORD dst_unused:UNUSED_PAD src0_sel:WORD_1 src1_sel:DWORD
	v_mul_u32_u24_sdwa v63, v18, v125 dst_sel:DWORD dst_unused:UNUSED_PAD src0_sel:WORD_0 src1_sel:DWORD
	v_mul_u32_u24_sdwa v18, v18, v125 dst_sel:DWORD dst_unused:UNUSED_PAD src0_sel:WORD_1 src1_sel:DWORD
	;; [unrolled: 2-line block ×4, first 2 shown]
	v_pk_fma_f16 v46, v21, v62, v46
	v_pk_fma_f16 v47, v21, v17, v47
	;; [unrolled: 1-line block ×8, first 2 shown]
	ds_read_b128 v[17:20], v122 offset:592
	s_waitcnt lgkmcnt(0)
	v_mul_u32_u24_sdwa v53, v17, v125 dst_sel:DWORD dst_unused:UNUSED_PAD src0_sel:WORD_0 src1_sel:DWORD
	v_mul_u32_u24_sdwa v54, v17, v125 dst_sel:DWORD dst_unused:UNUSED_PAD src0_sel:WORD_1 src1_sel:DWORD
	v_mul_u32_u24_sdwa v55, v18, v125 dst_sel:DWORD dst_unused:UNUSED_PAD src0_sel:WORD_0 src1_sel:DWORD
	v_mul_u32_u24_sdwa v56, v18, v125 dst_sel:DWORD dst_unused:UNUSED_PAD src0_sel:WORD_1 src1_sel:DWORD
	;; [unrolled: 2-line block ×4, first 2 shown]
	ds_read_b128 v[17:20], v122 offset:1616
	v_pk_fma_f16 v40, v22, v53, v40
	v_pk_fma_f16 v41, v22, v54, v41
	;; [unrolled: 1-line block ×8, first 2 shown]
	s_waitcnt lgkmcnt(0)
	v_mul_u32_u24_sdwa v61, v17, v125 dst_sel:DWORD dst_unused:UNUSED_PAD src0_sel:WORD_0 src1_sel:DWORD
	v_mul_u32_u24_sdwa v17, v17, v125 dst_sel:DWORD dst_unused:UNUSED_PAD src0_sel:WORD_1 src1_sel:DWORD
	v_mul_u32_u24_sdwa v62, v18, v125 dst_sel:DWORD dst_unused:UNUSED_PAD src0_sel:WORD_0 src1_sel:DWORD
	v_mul_u32_u24_sdwa v18, v18, v125 dst_sel:DWORD dst_unused:UNUSED_PAD src0_sel:WORD_1 src1_sel:DWORD
	;; [unrolled: 2-line block ×4, first 2 shown]
	v_pk_fma_f16 v46, v22, v61, v46
	v_pk_fma_f16 v47, v22, v17, v47
	;; [unrolled: 1-line block ×8, first 2 shown]
	ds_read2_b32 v[21:22], v94 offset0:192 offset1:224
	ds_read_b128 v[17:20], v122 offset:608
	s_waitcnt lgkmcnt(0)
	v_mul_u32_u24_sdwa v54, v17, v125 dst_sel:DWORD dst_unused:UNUSED_PAD src0_sel:WORD_0 src1_sel:DWORD
	v_mul_u32_u24_sdwa v55, v17, v125 dst_sel:DWORD dst_unused:UNUSED_PAD src0_sel:WORD_1 src1_sel:DWORD
	v_mul_u32_u24_sdwa v56, v18, v125 dst_sel:DWORD dst_unused:UNUSED_PAD src0_sel:WORD_0 src1_sel:DWORD
	v_mul_u32_u24_sdwa v57, v18, v125 dst_sel:DWORD dst_unused:UNUSED_PAD src0_sel:WORD_1 src1_sel:DWORD
	;; [unrolled: 2-line block ×4, first 2 shown]
	ds_read_b128 v[17:20], v122 offset:1632
	v_pk_fma_f16 v40, v21, v54, v40
	v_pk_fma_f16 v41, v21, v55, v41
	;; [unrolled: 1-line block ×8, first 2 shown]
	s_waitcnt lgkmcnt(0)
	v_mul_u32_u24_sdwa v62, v17, v125 dst_sel:DWORD dst_unused:UNUSED_PAD src0_sel:WORD_0 src1_sel:DWORD
	v_mul_u32_u24_sdwa v17, v17, v125 dst_sel:DWORD dst_unused:UNUSED_PAD src0_sel:WORD_1 src1_sel:DWORD
	v_mul_u32_u24_sdwa v63, v18, v125 dst_sel:DWORD dst_unused:UNUSED_PAD src0_sel:WORD_0 src1_sel:DWORD
	v_mul_u32_u24_sdwa v18, v18, v125 dst_sel:DWORD dst_unused:UNUSED_PAD src0_sel:WORD_1 src1_sel:DWORD
	;; [unrolled: 2-line block ×4, first 2 shown]
	v_pk_fma_f16 v46, v21, v62, v46
	v_pk_fma_f16 v47, v21, v17, v47
	;; [unrolled: 1-line block ×8, first 2 shown]
	ds_read_b128 v[17:20], v122 offset:624
	s_waitcnt lgkmcnt(0)
	v_mul_u32_u24_sdwa v53, v17, v125 dst_sel:DWORD dst_unused:UNUSED_PAD src0_sel:WORD_0 src1_sel:DWORD
	v_mul_u32_u24_sdwa v54, v17, v125 dst_sel:DWORD dst_unused:UNUSED_PAD src0_sel:WORD_1 src1_sel:DWORD
	v_mul_u32_u24_sdwa v55, v18, v125 dst_sel:DWORD dst_unused:UNUSED_PAD src0_sel:WORD_0 src1_sel:DWORD
	v_mul_u32_u24_sdwa v56, v18, v125 dst_sel:DWORD dst_unused:UNUSED_PAD src0_sel:WORD_1 src1_sel:DWORD
	;; [unrolled: 2-line block ×4, first 2 shown]
	ds_read_b128 v[17:20], v122 offset:1648
	v_pk_fma_f16 v40, v22, v53, v40
	v_pk_fma_f16 v41, v22, v54, v41
	;; [unrolled: 1-line block ×8, first 2 shown]
	s_waitcnt lgkmcnt(0)
	v_mul_u32_u24_sdwa v61, v17, v125 dst_sel:DWORD dst_unused:UNUSED_PAD src0_sel:WORD_0 src1_sel:DWORD
	v_mul_u32_u24_sdwa v17, v17, v125 dst_sel:DWORD dst_unused:UNUSED_PAD src0_sel:WORD_1 src1_sel:DWORD
	v_mul_u32_u24_sdwa v62, v18, v125 dst_sel:DWORD dst_unused:UNUSED_PAD src0_sel:WORD_0 src1_sel:DWORD
	v_mul_u32_u24_sdwa v18, v18, v125 dst_sel:DWORD dst_unused:UNUSED_PAD src0_sel:WORD_1 src1_sel:DWORD
	;; [unrolled: 2-line block ×4, first 2 shown]
	v_pk_fma_f16 v46, v22, v61, v46
	v_pk_fma_f16 v47, v22, v17, v47
	;; [unrolled: 1-line block ×8, first 2 shown]
	ds_read2_b32 v[21:22], v90 offset1:32
	ds_read_b128 v[17:20], v122 offset:640
	s_waitcnt lgkmcnt(0)
	v_mul_u32_u24_sdwa v54, v17, v125 dst_sel:DWORD dst_unused:UNUSED_PAD src0_sel:WORD_0 src1_sel:DWORD
	v_mul_u32_u24_sdwa v55, v17, v125 dst_sel:DWORD dst_unused:UNUSED_PAD src0_sel:WORD_1 src1_sel:DWORD
	v_mul_u32_u24_sdwa v56, v18, v125 dst_sel:DWORD dst_unused:UNUSED_PAD src0_sel:WORD_0 src1_sel:DWORD
	v_mul_u32_u24_sdwa v57, v18, v125 dst_sel:DWORD dst_unused:UNUSED_PAD src0_sel:WORD_1 src1_sel:DWORD
	;; [unrolled: 2-line block ×4, first 2 shown]
	ds_read_b128 v[17:20], v122 offset:1664
	v_pk_fma_f16 v40, v21, v54, v40
	v_pk_fma_f16 v41, v21, v55, v41
	;; [unrolled: 1-line block ×8, first 2 shown]
	s_waitcnt lgkmcnt(0)
	v_mul_u32_u24_sdwa v62, v17, v125 dst_sel:DWORD dst_unused:UNUSED_PAD src0_sel:WORD_0 src1_sel:DWORD
	v_mul_u32_u24_sdwa v17, v17, v125 dst_sel:DWORD dst_unused:UNUSED_PAD src0_sel:WORD_1 src1_sel:DWORD
	v_mul_u32_u24_sdwa v63, v18, v125 dst_sel:DWORD dst_unused:UNUSED_PAD src0_sel:WORD_0 src1_sel:DWORD
	v_mul_u32_u24_sdwa v18, v18, v125 dst_sel:DWORD dst_unused:UNUSED_PAD src0_sel:WORD_1 src1_sel:DWORD
	;; [unrolled: 2-line block ×4, first 2 shown]
	v_pk_fma_f16 v46, v21, v62, v46
	v_pk_fma_f16 v47, v21, v17, v47
	;; [unrolled: 1-line block ×8, first 2 shown]
	ds_read_b128 v[17:20], v122 offset:656
	s_waitcnt lgkmcnt(0)
	v_mul_u32_u24_sdwa v53, v17, v125 dst_sel:DWORD dst_unused:UNUSED_PAD src0_sel:WORD_0 src1_sel:DWORD
	v_mul_u32_u24_sdwa v54, v17, v125 dst_sel:DWORD dst_unused:UNUSED_PAD src0_sel:WORD_1 src1_sel:DWORD
	v_mul_u32_u24_sdwa v55, v18, v125 dst_sel:DWORD dst_unused:UNUSED_PAD src0_sel:WORD_0 src1_sel:DWORD
	v_mul_u32_u24_sdwa v56, v18, v125 dst_sel:DWORD dst_unused:UNUSED_PAD src0_sel:WORD_1 src1_sel:DWORD
	;; [unrolled: 2-line block ×4, first 2 shown]
	ds_read_b128 v[17:20], v122 offset:1680
	v_pk_fma_f16 v40, v22, v53, v40
	v_pk_fma_f16 v41, v22, v54, v41
	v_pk_fma_f16 v42, v22, v55, v42
	v_pk_fma_f16 v43, v22, v56, v43
	v_pk_fma_f16 v44, v22, v57, v44
	v_pk_fma_f16 v23, v22, v58, v23
	v_pk_fma_f16 v45, v22, v59, v45
	v_pk_fma_f16 v24, v22, v60, v24
	s_waitcnt lgkmcnt(0)
	v_mul_u32_u24_sdwa v61, v17, v125 dst_sel:DWORD dst_unused:UNUSED_PAD src0_sel:WORD_0 src1_sel:DWORD
	v_mul_u32_u24_sdwa v17, v17, v125 dst_sel:DWORD dst_unused:UNUSED_PAD src0_sel:WORD_1 src1_sel:DWORD
	v_mul_u32_u24_sdwa v62, v18, v125 dst_sel:DWORD dst_unused:UNUSED_PAD src0_sel:WORD_0 src1_sel:DWORD
	v_mul_u32_u24_sdwa v18, v18, v125 dst_sel:DWORD dst_unused:UNUSED_PAD src0_sel:WORD_1 src1_sel:DWORD
	;; [unrolled: 2-line block ×4, first 2 shown]
	v_pk_fma_f16 v46, v22, v61, v46
	v_pk_fma_f16 v47, v22, v17, v47
	;; [unrolled: 1-line block ×8, first 2 shown]
	ds_read2_b32 v[21:22], v90 offset0:64 offset1:96
	ds_read_b128 v[17:20], v122 offset:672
	s_waitcnt lgkmcnt(0)
	v_mul_u32_u24_sdwa v54, v17, v125 dst_sel:DWORD dst_unused:UNUSED_PAD src0_sel:WORD_0 src1_sel:DWORD
	v_mul_u32_u24_sdwa v55, v17, v125 dst_sel:DWORD dst_unused:UNUSED_PAD src0_sel:WORD_1 src1_sel:DWORD
	v_mul_u32_u24_sdwa v56, v18, v125 dst_sel:DWORD dst_unused:UNUSED_PAD src0_sel:WORD_0 src1_sel:DWORD
	v_mul_u32_u24_sdwa v57, v18, v125 dst_sel:DWORD dst_unused:UNUSED_PAD src0_sel:WORD_1 src1_sel:DWORD
	;; [unrolled: 2-line block ×4, first 2 shown]
	ds_read_b128 v[17:20], v122 offset:1696
	v_pk_fma_f16 v40, v21, v54, v40
	v_pk_fma_f16 v41, v21, v55, v41
	;; [unrolled: 1-line block ×8, first 2 shown]
	s_waitcnt lgkmcnt(0)
	v_mul_u32_u24_sdwa v62, v17, v125 dst_sel:DWORD dst_unused:UNUSED_PAD src0_sel:WORD_0 src1_sel:DWORD
	v_mul_u32_u24_sdwa v17, v17, v125 dst_sel:DWORD dst_unused:UNUSED_PAD src0_sel:WORD_1 src1_sel:DWORD
	v_mul_u32_u24_sdwa v63, v18, v125 dst_sel:DWORD dst_unused:UNUSED_PAD src0_sel:WORD_0 src1_sel:DWORD
	v_mul_u32_u24_sdwa v18, v18, v125 dst_sel:DWORD dst_unused:UNUSED_PAD src0_sel:WORD_1 src1_sel:DWORD
	;; [unrolled: 2-line block ×4, first 2 shown]
	v_pk_fma_f16 v46, v21, v62, v46
	v_pk_fma_f16 v47, v21, v17, v47
	v_pk_fma_f16 v48, v21, v63, v48
	v_pk_fma_f16 v49, v21, v18, v49
	v_pk_fma_f16 v50, v21, v64, v50
	v_pk_fma_f16 v51, v21, v19, v51
	v_pk_fma_f16 v52, v21, v65, v52
	v_pk_fma_f16 v21, v21, v20, v53
	ds_read_b128 v[17:20], v122 offset:688
	s_waitcnt lgkmcnt(0)
	v_mul_u32_u24_sdwa v53, v17, v125 dst_sel:DWORD dst_unused:UNUSED_PAD src0_sel:WORD_0 src1_sel:DWORD
	v_mul_u32_u24_sdwa v54, v17, v125 dst_sel:DWORD dst_unused:UNUSED_PAD src0_sel:WORD_1 src1_sel:DWORD
	v_mul_u32_u24_sdwa v55, v18, v125 dst_sel:DWORD dst_unused:UNUSED_PAD src0_sel:WORD_0 src1_sel:DWORD
	v_mul_u32_u24_sdwa v56, v18, v125 dst_sel:DWORD dst_unused:UNUSED_PAD src0_sel:WORD_1 src1_sel:DWORD
	;; [unrolled: 2-line block ×4, first 2 shown]
	ds_read_b128 v[17:20], v122 offset:1712
	v_pk_fma_f16 v40, v22, v53, v40
	v_pk_fma_f16 v41, v22, v54, v41
	;; [unrolled: 1-line block ×8, first 2 shown]
	s_waitcnt lgkmcnt(0)
	v_mul_u32_u24_sdwa v61, v17, v125 dst_sel:DWORD dst_unused:UNUSED_PAD src0_sel:WORD_0 src1_sel:DWORD
	v_mul_u32_u24_sdwa v17, v17, v125 dst_sel:DWORD dst_unused:UNUSED_PAD src0_sel:WORD_1 src1_sel:DWORD
	v_mul_u32_u24_sdwa v62, v18, v125 dst_sel:DWORD dst_unused:UNUSED_PAD src0_sel:WORD_0 src1_sel:DWORD
	v_mul_u32_u24_sdwa v18, v18, v125 dst_sel:DWORD dst_unused:UNUSED_PAD src0_sel:WORD_1 src1_sel:DWORD
	;; [unrolled: 2-line block ×4, first 2 shown]
	v_pk_fma_f16 v46, v22, v61, v46
	v_pk_fma_f16 v47, v22, v17, v47
	;; [unrolled: 1-line block ×8, first 2 shown]
	ds_read2_b32 v[21:22], v90 offset0:128 offset1:160
	ds_read_b128 v[17:20], v122 offset:704
	s_waitcnt lgkmcnt(0)
	v_mul_u32_u24_sdwa v54, v17, v125 dst_sel:DWORD dst_unused:UNUSED_PAD src0_sel:WORD_0 src1_sel:DWORD
	v_mul_u32_u24_sdwa v55, v17, v125 dst_sel:DWORD dst_unused:UNUSED_PAD src0_sel:WORD_1 src1_sel:DWORD
	v_mul_u32_u24_sdwa v56, v18, v125 dst_sel:DWORD dst_unused:UNUSED_PAD src0_sel:WORD_0 src1_sel:DWORD
	v_mul_u32_u24_sdwa v57, v18, v125 dst_sel:DWORD dst_unused:UNUSED_PAD src0_sel:WORD_1 src1_sel:DWORD
	;; [unrolled: 2-line block ×4, first 2 shown]
	ds_read_b128 v[17:20], v122 offset:1728
	v_pk_fma_f16 v40, v21, v54, v40
	v_pk_fma_f16 v41, v21, v55, v41
	;; [unrolled: 1-line block ×8, first 2 shown]
	s_waitcnt lgkmcnt(0)
	v_mul_u32_u24_sdwa v62, v17, v125 dst_sel:DWORD dst_unused:UNUSED_PAD src0_sel:WORD_0 src1_sel:DWORD
	v_mul_u32_u24_sdwa v17, v17, v125 dst_sel:DWORD dst_unused:UNUSED_PAD src0_sel:WORD_1 src1_sel:DWORD
	v_mul_u32_u24_sdwa v63, v18, v125 dst_sel:DWORD dst_unused:UNUSED_PAD src0_sel:WORD_0 src1_sel:DWORD
	v_mul_u32_u24_sdwa v18, v18, v125 dst_sel:DWORD dst_unused:UNUSED_PAD src0_sel:WORD_1 src1_sel:DWORD
	;; [unrolled: 2-line block ×4, first 2 shown]
	v_pk_fma_f16 v46, v21, v62, v46
	v_pk_fma_f16 v47, v21, v17, v47
	;; [unrolled: 1-line block ×8, first 2 shown]
	ds_read_b128 v[17:20], v122 offset:720
	s_waitcnt lgkmcnt(0)
	v_mul_u32_u24_sdwa v53, v17, v125 dst_sel:DWORD dst_unused:UNUSED_PAD src0_sel:WORD_0 src1_sel:DWORD
	v_mul_u32_u24_sdwa v54, v17, v125 dst_sel:DWORD dst_unused:UNUSED_PAD src0_sel:WORD_1 src1_sel:DWORD
	v_mul_u32_u24_sdwa v55, v18, v125 dst_sel:DWORD dst_unused:UNUSED_PAD src0_sel:WORD_0 src1_sel:DWORD
	v_mul_u32_u24_sdwa v56, v18, v125 dst_sel:DWORD dst_unused:UNUSED_PAD src0_sel:WORD_1 src1_sel:DWORD
	;; [unrolled: 2-line block ×4, first 2 shown]
	ds_read_b128 v[17:20], v122 offset:1744
	v_pk_fma_f16 v40, v22, v53, v40
	v_pk_fma_f16 v41, v22, v54, v41
	;; [unrolled: 1-line block ×8, first 2 shown]
	s_waitcnt lgkmcnt(0)
	v_mul_u32_u24_sdwa v61, v17, v125 dst_sel:DWORD dst_unused:UNUSED_PAD src0_sel:WORD_0 src1_sel:DWORD
	v_mul_u32_u24_sdwa v17, v17, v125 dst_sel:DWORD dst_unused:UNUSED_PAD src0_sel:WORD_1 src1_sel:DWORD
	v_mul_u32_u24_sdwa v62, v18, v125 dst_sel:DWORD dst_unused:UNUSED_PAD src0_sel:WORD_0 src1_sel:DWORD
	v_mul_u32_u24_sdwa v18, v18, v125 dst_sel:DWORD dst_unused:UNUSED_PAD src0_sel:WORD_1 src1_sel:DWORD
	;; [unrolled: 2-line block ×4, first 2 shown]
	v_pk_fma_f16 v47, v22, v17, v47
	v_pk_fma_f16 v53, v22, v62, v48
	;; [unrolled: 1-line block ×5, first 2 shown]
	ds_read2_b32 v[48:49], v90 offset0:192 offset1:224
	ds_read_b128 v[17:20], v122 offset:736
	v_pk_fma_f16 v46, v22, v61, v46
	v_pk_fma_f16 v50, v22, v63, v50
	;; [unrolled: 1-line block ×3, first 2 shown]
	s_waitcnt lgkmcnt(0)
	v_mul_u32_u24_sdwa v22, v17, v125 dst_sel:DWORD dst_unused:UNUSED_PAD src0_sel:WORD_0 src1_sel:DWORD
	v_mul_u32_u24_sdwa v55, v17, v125 dst_sel:DWORD dst_unused:UNUSED_PAD src0_sel:WORD_1 src1_sel:DWORD
	v_mul_u32_u24_sdwa v56, v18, v125 dst_sel:DWORD dst_unused:UNUSED_PAD src0_sel:WORD_0 src1_sel:DWORD
	v_mul_u32_u24_sdwa v57, v18, v125 dst_sel:DWORD dst_unused:UNUSED_PAD src0_sel:WORD_1 src1_sel:DWORD
	;; [unrolled: 2-line block ×4, first 2 shown]
	ds_read_b128 v[17:20], v122 offset:1760
	v_pk_fma_f16 v22, v48, v22, v40
	v_pk_fma_f16 v40, v48, v55, v41
	;; [unrolled: 1-line block ×8, first 2 shown]
	s_waitcnt lgkmcnt(0)
	v_mul_u32_u24_sdwa v62, v17, v125 dst_sel:DWORD dst_unused:UNUSED_PAD src0_sel:WORD_0 src1_sel:DWORD
	v_mul_u32_u24_sdwa v17, v17, v125 dst_sel:DWORD dst_unused:UNUSED_PAD src0_sel:WORD_1 src1_sel:DWORD
	v_mul_u32_u24_sdwa v63, v18, v125 dst_sel:DWORD dst_unused:UNUSED_PAD src0_sel:WORD_0 src1_sel:DWORD
	v_mul_u32_u24_sdwa v18, v18, v125 dst_sel:DWORD dst_unused:UNUSED_PAD src0_sel:WORD_1 src1_sel:DWORD
	;; [unrolled: 2-line block ×4, first 2 shown]
	v_pk_fma_f16 v47, v48, v17, v47
	v_pk_fma_f16 v54, v48, v18, v54
	v_pk_fma_f16 v51, v48, v19, v51
	v_pk_fma_f16 v46, v48, v62, v46
	v_pk_fma_f16 v21, v48, v20, v21
	ds_read_b128 v[17:20], v122 offset:752
	v_pk_fma_f16 v53, v48, v63, v53
	v_pk_fma_f16 v50, v48, v64, v50
	;; [unrolled: 1-line block ×3, first 2 shown]
	s_waitcnt lgkmcnt(0)
	v_mul_u32_u24_sdwa v23, v17, v125 dst_sel:DWORD dst_unused:UNUSED_PAD src0_sel:WORD_0 src1_sel:DWORD
	v_mul_u32_u24_sdwa v24, v17, v125 dst_sel:DWORD dst_unused:UNUSED_PAD src0_sel:WORD_1 src1_sel:DWORD
	v_mul_u32_u24_sdwa v48, v18, v125 dst_sel:DWORD dst_unused:UNUSED_PAD src0_sel:WORD_0 src1_sel:DWORD
	v_mul_u32_u24_sdwa v56, v18, v125 dst_sel:DWORD dst_unused:UNUSED_PAD src0_sel:WORD_1 src1_sel:DWORD
	;; [unrolled: 2-line block ×4, first 2 shown]
	ds_read_b128 v[17:20], v122 offset:1776
	s_waitcnt lgkmcnt(0)
	v_mul_u32_u24_sdwa v61, v17, v125 dst_sel:DWORD dst_unused:UNUSED_PAD src0_sel:WORD_0 src1_sel:DWORD
	v_mul_u32_u24_sdwa v62, v17, v125 dst_sel:DWORD dst_unused:UNUSED_PAD src0_sel:WORD_1 src1_sel:DWORD
	v_mul_u32_u24_sdwa v63, v18, v125 dst_sel:DWORD dst_unused:UNUSED_PAD src0_sel:WORD_0 src1_sel:DWORD
	v_mul_u32_u24_sdwa v64, v18, v125 dst_sel:DWORD dst_unused:UNUSED_PAD src0_sel:WORD_1 src1_sel:DWORD
	;; [unrolled: 2-line block ×4, first 2 shown]
	v_pk_fma_f16 v17, v49, v23, v22
	v_pk_fma_f16 v18, v49, v24, v40
	;; [unrolled: 1-line block ×16, first 2 shown]
	ds_read2_b32 v[20:21], v92 offset1:32
	ds_read_b128 v[50:53], v122 offset:768
	s_waitcnt lgkmcnt(0)
	v_mul_u32_u24_sdwa v54, v50, v125 dst_sel:DWORD dst_unused:UNUSED_PAD src0_sel:WORD_0 src1_sel:DWORD
	v_mul_u32_u24_sdwa v55, v50, v125 dst_sel:DWORD dst_unused:UNUSED_PAD src0_sel:WORD_1 src1_sel:DWORD
	v_mul_u32_u24_sdwa v56, v51, v125 dst_sel:DWORD dst_unused:UNUSED_PAD src0_sel:WORD_0 src1_sel:DWORD
	v_mul_u32_u24_sdwa v57, v51, v125 dst_sel:DWORD dst_unused:UNUSED_PAD src0_sel:WORD_1 src1_sel:DWORD
	;; [unrolled: 2-line block ×4, first 2 shown]
	ds_read_b128 v[50:53], v122 offset:1792
	v_pk_fma_f16 v22, v20, v57, v22
	v_pk_fma_f16 v23, v20, v58, v23
	;; [unrolled: 1-line block ×5, first 2 shown]
	s_waitcnt lgkmcnt(0)
	v_mul_u32_u24_sdwa v62, v50, v125 dst_sel:DWORD dst_unused:UNUSED_PAD src0_sel:WORD_0 src1_sel:DWORD
	v_mul_u32_u24_sdwa v63, v50, v125 dst_sel:DWORD dst_unused:UNUSED_PAD src0_sel:WORD_1 src1_sel:DWORD
	v_mul_u32_u24_sdwa v64, v51, v125 dst_sel:DWORD dst_unused:UNUSED_PAD src0_sel:WORD_0 src1_sel:DWORD
	v_mul_u32_u24_sdwa v65, v51, v125 dst_sel:DWORD dst_unused:UNUSED_PAD src0_sel:WORD_1 src1_sel:DWORD
	;; [unrolled: 2-line block ×4, first 2 shown]
	v_pk_fma_f16 v50, v20, v54, v17
	v_pk_fma_f16 v51, v20, v55, v18
	;; [unrolled: 1-line block ×11, first 2 shown]
	ds_read_b128 v[17:20], v122 offset:784
	s_waitcnt lgkmcnt(0)
	v_mul_u32_u24_sdwa v53, v17, v125 dst_sel:DWORD dst_unused:UNUSED_PAD src0_sel:WORD_0 src1_sel:DWORD
	v_mul_u32_u24_sdwa v54, v17, v125 dst_sel:DWORD dst_unused:UNUSED_PAD src0_sel:WORD_1 src1_sel:DWORD
	v_mul_u32_u24_sdwa v55, v18, v125 dst_sel:DWORD dst_unused:UNUSED_PAD src0_sel:WORD_0 src1_sel:DWORD
	v_mul_u32_u24_sdwa v56, v18, v125 dst_sel:DWORD dst_unused:UNUSED_PAD src0_sel:WORD_1 src1_sel:DWORD
	;; [unrolled: 2-line block ×4, first 2 shown]
	ds_read_b128 v[17:20], v122 offset:1808
	v_pk_fma_f16 v50, v21, v53, v50
	v_pk_fma_f16 v51, v21, v54, v51
	;; [unrolled: 1-line block ×8, first 2 shown]
	s_waitcnt lgkmcnt(0)
	v_mul_u32_u24_sdwa v61, v17, v125 dst_sel:DWORD dst_unused:UNUSED_PAD src0_sel:WORD_0 src1_sel:DWORD
	v_mul_u32_u24_sdwa v17, v17, v125 dst_sel:DWORD dst_unused:UNUSED_PAD src0_sel:WORD_1 src1_sel:DWORD
	v_mul_u32_u24_sdwa v62, v18, v125 dst_sel:DWORD dst_unused:UNUSED_PAD src0_sel:WORD_0 src1_sel:DWORD
	v_mul_u32_u24_sdwa v18, v18, v125 dst_sel:DWORD dst_unused:UNUSED_PAD src0_sel:WORD_1 src1_sel:DWORD
	;; [unrolled: 2-line block ×4, first 2 shown]
	v_pk_fma_f16 v42, v21, v61, v42
	v_pk_fma_f16 v43, v21, v17, v43
	;; [unrolled: 1-line block ×8, first 2 shown]
	ds_read2_b32 v[21:22], v92 offset0:64 offset1:96
	ds_read_b128 v[17:20], v122 offset:800
	s_waitcnt lgkmcnt(0)
	v_mul_u32_u24_sdwa v54, v17, v125 dst_sel:DWORD dst_unused:UNUSED_PAD src0_sel:WORD_0 src1_sel:DWORD
	v_mul_u32_u24_sdwa v55, v17, v125 dst_sel:DWORD dst_unused:UNUSED_PAD src0_sel:WORD_1 src1_sel:DWORD
	v_mul_u32_u24_sdwa v56, v18, v125 dst_sel:DWORD dst_unused:UNUSED_PAD src0_sel:WORD_0 src1_sel:DWORD
	v_mul_u32_u24_sdwa v57, v18, v125 dst_sel:DWORD dst_unused:UNUSED_PAD src0_sel:WORD_1 src1_sel:DWORD
	;; [unrolled: 2-line block ×4, first 2 shown]
	ds_read_b128 v[17:20], v122 offset:1824
	v_pk_fma_f16 v50, v21, v54, v50
	v_pk_fma_f16 v51, v21, v55, v51
	;; [unrolled: 1-line block ×8, first 2 shown]
	s_waitcnt lgkmcnt(0)
	v_mul_u32_u24_sdwa v62, v17, v125 dst_sel:DWORD dst_unused:UNUSED_PAD src0_sel:WORD_0 src1_sel:DWORD
	v_mul_u32_u24_sdwa v17, v17, v125 dst_sel:DWORD dst_unused:UNUSED_PAD src0_sel:WORD_1 src1_sel:DWORD
	v_mul_u32_u24_sdwa v63, v18, v125 dst_sel:DWORD dst_unused:UNUSED_PAD src0_sel:WORD_0 src1_sel:DWORD
	v_mul_u32_u24_sdwa v18, v18, v125 dst_sel:DWORD dst_unused:UNUSED_PAD src0_sel:WORD_1 src1_sel:DWORD
	;; [unrolled: 2-line block ×4, first 2 shown]
	v_pk_fma_f16 v42, v21, v62, v42
	v_pk_fma_f16 v43, v21, v17, v43
	;; [unrolled: 1-line block ×8, first 2 shown]
	ds_read_b128 v[17:20], v122 offset:816
	s_waitcnt lgkmcnt(0)
	v_mul_u32_u24_sdwa v49, v17, v125 dst_sel:DWORD dst_unused:UNUSED_PAD src0_sel:WORD_0 src1_sel:DWORD
	v_mul_u32_u24_sdwa v54, v17, v125 dst_sel:DWORD dst_unused:UNUSED_PAD src0_sel:WORD_1 src1_sel:DWORD
	v_mul_u32_u24_sdwa v55, v18, v125 dst_sel:DWORD dst_unused:UNUSED_PAD src0_sel:WORD_0 src1_sel:DWORD
	v_mul_u32_u24_sdwa v56, v18, v125 dst_sel:DWORD dst_unused:UNUSED_PAD src0_sel:WORD_1 src1_sel:DWORD
	v_mul_u32_u24_sdwa v57, v19, v125 dst_sel:DWORD dst_unused:UNUSED_PAD src0_sel:WORD_0 src1_sel:DWORD
	v_mul_u32_u24_sdwa v58, v19, v125 dst_sel:DWORD dst_unused:UNUSED_PAD src0_sel:WORD_1 src1_sel:DWORD
	v_mul_u32_u24_sdwa v59, v20, v125 dst_sel:DWORD dst_unused:UNUSED_PAD src0_sel:WORD_0 src1_sel:DWORD
	v_mul_u32_u24_sdwa v60, v20, v125 dst_sel:DWORD dst_unused:UNUSED_PAD src0_sel:WORD_1 src1_sel:DWORD
	ds_read_b128 v[17:20], v122 offset:1840
	v_pk_fma_f16 v49, v22, v49, v50
	v_pk_fma_f16 v50, v22, v54, v51
	v_pk_fma_f16 v51, v22, v55, v52
	v_pk_fma_f16 v52, v22, v56, v53
	v_pk_fma_f16 v23, v22, v57, v23
	v_pk_fma_f16 v24, v22, v58, v24
	v_pk_fma_f16 v40, v22, v59, v40
	v_pk_fma_f16 v41, v22, v60, v41
	s_waitcnt lgkmcnt(0)
	v_mul_u32_u24_sdwa v61, v17, v125 dst_sel:DWORD dst_unused:UNUSED_PAD src0_sel:WORD_0 src1_sel:DWORD
	v_mul_u32_u24_sdwa v17, v17, v125 dst_sel:DWORD dst_unused:UNUSED_PAD src0_sel:WORD_1 src1_sel:DWORD
	v_mul_u32_u24_sdwa v62, v18, v125 dst_sel:DWORD dst_unused:UNUSED_PAD src0_sel:WORD_0 src1_sel:DWORD
	v_mul_u32_u24_sdwa v18, v18, v125 dst_sel:DWORD dst_unused:UNUSED_PAD src0_sel:WORD_1 src1_sel:DWORD
	;; [unrolled: 2-line block ×4, first 2 shown]
	v_pk_fma_f16 v42, v22, v61, v42
	v_pk_fma_f16 v43, v22, v17, v43
	;; [unrolled: 1-line block ×8, first 2 shown]
	ds_read2_b32 v[21:22], v92 offset0:128 offset1:160
	ds_read_b128 v[17:20], v122 offset:832
	s_waitcnt lgkmcnt(0)
	v_mul_u32_u24_sdwa v54, v17, v125 dst_sel:DWORD dst_unused:UNUSED_PAD src0_sel:WORD_0 src1_sel:DWORD
	v_mul_u32_u24_sdwa v55, v17, v125 dst_sel:DWORD dst_unused:UNUSED_PAD src0_sel:WORD_1 src1_sel:DWORD
	v_mul_u32_u24_sdwa v56, v18, v125 dst_sel:DWORD dst_unused:UNUSED_PAD src0_sel:WORD_0 src1_sel:DWORD
	v_mul_u32_u24_sdwa v57, v18, v125 dst_sel:DWORD dst_unused:UNUSED_PAD src0_sel:WORD_1 src1_sel:DWORD
	v_mul_u32_u24_sdwa v58, v19, v125 dst_sel:DWORD dst_unused:UNUSED_PAD src0_sel:WORD_0 src1_sel:DWORD
	v_mul_u32_u24_sdwa v59, v19, v125 dst_sel:DWORD dst_unused:UNUSED_PAD src0_sel:WORD_1 src1_sel:DWORD
	v_mul_u32_u24_sdwa v60, v20, v125 dst_sel:DWORD dst_unused:UNUSED_PAD src0_sel:WORD_0 src1_sel:DWORD
	v_mul_u32_u24_sdwa v61, v20, v125 dst_sel:DWORD dst_unused:UNUSED_PAD src0_sel:WORD_1 src1_sel:DWORD
	ds_read_b128 v[17:20], v122 offset:1856
	v_pk_fma_f16 v49, v21, v54, v49
	v_pk_fma_f16 v50, v21, v55, v50
	;; [unrolled: 1-line block ×8, first 2 shown]
	s_waitcnt lgkmcnt(0)
	v_mul_u32_u24_sdwa v62, v17, v125 dst_sel:DWORD dst_unused:UNUSED_PAD src0_sel:WORD_0 src1_sel:DWORD
	v_mul_u32_u24_sdwa v17, v17, v125 dst_sel:DWORD dst_unused:UNUSED_PAD src0_sel:WORD_1 src1_sel:DWORD
	v_mul_u32_u24_sdwa v63, v18, v125 dst_sel:DWORD dst_unused:UNUSED_PAD src0_sel:WORD_0 src1_sel:DWORD
	v_mul_u32_u24_sdwa v18, v18, v125 dst_sel:DWORD dst_unused:UNUSED_PAD src0_sel:WORD_1 src1_sel:DWORD
	;; [unrolled: 2-line block ×4, first 2 shown]
	v_pk_fma_f16 v42, v21, v62, v42
	v_pk_fma_f16 v43, v21, v17, v43
	;; [unrolled: 1-line block ×8, first 2 shown]
	ds_read_b128 v[17:20], v122 offset:848
	s_waitcnt lgkmcnt(0)
	v_mul_u32_u24_sdwa v53, v17, v125 dst_sel:DWORD dst_unused:UNUSED_PAD src0_sel:WORD_0 src1_sel:DWORD
	v_mul_u32_u24_sdwa v54, v17, v125 dst_sel:DWORD dst_unused:UNUSED_PAD src0_sel:WORD_1 src1_sel:DWORD
	v_mul_u32_u24_sdwa v55, v18, v125 dst_sel:DWORD dst_unused:UNUSED_PAD src0_sel:WORD_0 src1_sel:DWORD
	v_mul_u32_u24_sdwa v56, v18, v125 dst_sel:DWORD dst_unused:UNUSED_PAD src0_sel:WORD_1 src1_sel:DWORD
	;; [unrolled: 2-line block ×4, first 2 shown]
	ds_read_b128 v[17:20], v122 offset:1872
	v_pk_fma_f16 v49, v22, v53, v49
	v_pk_fma_f16 v50, v22, v54, v50
	;; [unrolled: 1-line block ×8, first 2 shown]
	s_waitcnt lgkmcnt(0)
	v_mul_u32_u24_sdwa v61, v17, v125 dst_sel:DWORD dst_unused:UNUSED_PAD src0_sel:WORD_0 src1_sel:DWORD
	v_mul_u32_u24_sdwa v17, v17, v125 dst_sel:DWORD dst_unused:UNUSED_PAD src0_sel:WORD_1 src1_sel:DWORD
	v_mul_u32_u24_sdwa v62, v18, v125 dst_sel:DWORD dst_unused:UNUSED_PAD src0_sel:WORD_0 src1_sel:DWORD
	v_mul_u32_u24_sdwa v18, v18, v125 dst_sel:DWORD dst_unused:UNUSED_PAD src0_sel:WORD_1 src1_sel:DWORD
	;; [unrolled: 2-line block ×4, first 2 shown]
	v_pk_fma_f16 v42, v22, v61, v42
	v_pk_fma_f16 v43, v22, v17, v43
	;; [unrolled: 1-line block ×8, first 2 shown]
	ds_read2_b32 v[21:22], v92 offset0:192 offset1:224
	ds_read_b128 v[17:20], v122 offset:864
	s_waitcnt lgkmcnt(0)
	v_mul_u32_u24_sdwa v54, v17, v125 dst_sel:DWORD dst_unused:UNUSED_PAD src0_sel:WORD_0 src1_sel:DWORD
	v_mul_u32_u24_sdwa v55, v17, v125 dst_sel:DWORD dst_unused:UNUSED_PAD src0_sel:WORD_1 src1_sel:DWORD
	v_mul_u32_u24_sdwa v56, v18, v125 dst_sel:DWORD dst_unused:UNUSED_PAD src0_sel:WORD_0 src1_sel:DWORD
	v_mul_u32_u24_sdwa v57, v18, v125 dst_sel:DWORD dst_unused:UNUSED_PAD src0_sel:WORD_1 src1_sel:DWORD
	;; [unrolled: 2-line block ×4, first 2 shown]
	ds_read_b128 v[17:20], v122 offset:1888
	v_pk_fma_f16 v49, v21, v54, v49
	v_pk_fma_f16 v50, v21, v55, v50
	;; [unrolled: 1-line block ×8, first 2 shown]
	s_waitcnt lgkmcnt(0)
	v_mul_u32_u24_sdwa v62, v17, v125 dst_sel:DWORD dst_unused:UNUSED_PAD src0_sel:WORD_0 src1_sel:DWORD
	v_mul_u32_u24_sdwa v17, v17, v125 dst_sel:DWORD dst_unused:UNUSED_PAD src0_sel:WORD_1 src1_sel:DWORD
	v_mul_u32_u24_sdwa v63, v18, v125 dst_sel:DWORD dst_unused:UNUSED_PAD src0_sel:WORD_0 src1_sel:DWORD
	v_mul_u32_u24_sdwa v18, v18, v125 dst_sel:DWORD dst_unused:UNUSED_PAD src0_sel:WORD_1 src1_sel:DWORD
	;; [unrolled: 2-line block ×4, first 2 shown]
	v_pk_fma_f16 v42, v21, v62, v42
	v_pk_fma_f16 v43, v21, v17, v43
	;; [unrolled: 1-line block ×8, first 2 shown]
	ds_read_b128 v[17:20], v122 offset:880
	s_waitcnt lgkmcnt(0)
	v_mul_u32_u24_sdwa v53, v17, v125 dst_sel:DWORD dst_unused:UNUSED_PAD src0_sel:WORD_0 src1_sel:DWORD
	v_mul_u32_u24_sdwa v54, v17, v125 dst_sel:DWORD dst_unused:UNUSED_PAD src0_sel:WORD_1 src1_sel:DWORD
	v_mul_u32_u24_sdwa v55, v18, v125 dst_sel:DWORD dst_unused:UNUSED_PAD src0_sel:WORD_0 src1_sel:DWORD
	v_mul_u32_u24_sdwa v56, v18, v125 dst_sel:DWORD dst_unused:UNUSED_PAD src0_sel:WORD_1 src1_sel:DWORD
	;; [unrolled: 2-line block ×4, first 2 shown]
	ds_read_b128 v[17:20], v122 offset:1904
	v_pk_fma_f16 v49, v22, v53, v49
	v_pk_fma_f16 v50, v22, v54, v50
	;; [unrolled: 1-line block ×8, first 2 shown]
	s_waitcnt lgkmcnt(0)
	v_mul_u32_u24_sdwa v61, v17, v125 dst_sel:DWORD dst_unused:UNUSED_PAD src0_sel:WORD_0 src1_sel:DWORD
	v_mul_u32_u24_sdwa v17, v17, v125 dst_sel:DWORD dst_unused:UNUSED_PAD src0_sel:WORD_1 src1_sel:DWORD
	v_mul_u32_u24_sdwa v62, v18, v125 dst_sel:DWORD dst_unused:UNUSED_PAD src0_sel:WORD_0 src1_sel:DWORD
	v_mul_u32_u24_sdwa v18, v18, v125 dst_sel:DWORD dst_unused:UNUSED_PAD src0_sel:WORD_1 src1_sel:DWORD
	;; [unrolled: 2-line block ×4, first 2 shown]
	v_pk_fma_f16 v42, v22, v61, v42
	v_pk_fma_f16 v43, v22, v17, v43
	;; [unrolled: 1-line block ×8, first 2 shown]
	ds_read2_b32 v[21:22], v132 offset1:32
	ds_read_b128 v[17:20], v122 offset:896
	s_waitcnt lgkmcnt(0)
	v_mul_u32_u24_sdwa v54, v17, v125 dst_sel:DWORD dst_unused:UNUSED_PAD src0_sel:WORD_0 src1_sel:DWORD
	v_mul_u32_u24_sdwa v55, v17, v125 dst_sel:DWORD dst_unused:UNUSED_PAD src0_sel:WORD_1 src1_sel:DWORD
	v_mul_u32_u24_sdwa v56, v18, v125 dst_sel:DWORD dst_unused:UNUSED_PAD src0_sel:WORD_0 src1_sel:DWORD
	v_mul_u32_u24_sdwa v57, v18, v125 dst_sel:DWORD dst_unused:UNUSED_PAD src0_sel:WORD_1 src1_sel:DWORD
	;; [unrolled: 2-line block ×4, first 2 shown]
	ds_read_b128 v[17:20], v122 offset:1920
	v_pk_fma_f16 v49, v21, v54, v49
	v_pk_fma_f16 v50, v21, v55, v50
	;; [unrolled: 1-line block ×8, first 2 shown]
	s_waitcnt lgkmcnt(0)
	v_mul_u32_u24_sdwa v62, v17, v125 dst_sel:DWORD dst_unused:UNUSED_PAD src0_sel:WORD_0 src1_sel:DWORD
	v_mul_u32_u24_sdwa v17, v17, v125 dst_sel:DWORD dst_unused:UNUSED_PAD src0_sel:WORD_1 src1_sel:DWORD
	v_mul_u32_u24_sdwa v63, v18, v125 dst_sel:DWORD dst_unused:UNUSED_PAD src0_sel:WORD_0 src1_sel:DWORD
	v_mul_u32_u24_sdwa v18, v18, v125 dst_sel:DWORD dst_unused:UNUSED_PAD src0_sel:WORD_1 src1_sel:DWORD
	v_mul_u32_u24_sdwa v64, v19, v125 dst_sel:DWORD dst_unused:UNUSED_PAD src0_sel:WORD_0 src1_sel:DWORD
	v_mul_u32_u24_sdwa v19, v19, v125 dst_sel:DWORD dst_unused:UNUSED_PAD src0_sel:WORD_1 src1_sel:DWORD
	v_mul_u32_u24_sdwa v65, v20, v125 dst_sel:DWORD dst_unused:UNUSED_PAD src0_sel:WORD_0 src1_sel:DWORD
	v_mul_u32_u24_sdwa v20, v20, v125 dst_sel:DWORD dst_unused:UNUSED_PAD src0_sel:WORD_1 src1_sel:DWORD
	v_pk_fma_f16 v42, v21, v62, v42
	v_pk_fma_f16 v43, v21, v17, v43
	;; [unrolled: 1-line block ×8, first 2 shown]
	ds_read_b128 v[17:20], v122 offset:912
	s_waitcnt lgkmcnt(0)
	v_mul_u32_u24_sdwa v53, v17, v125 dst_sel:DWORD dst_unused:UNUSED_PAD src0_sel:WORD_0 src1_sel:DWORD
	v_mul_u32_u24_sdwa v54, v17, v125 dst_sel:DWORD dst_unused:UNUSED_PAD src0_sel:WORD_1 src1_sel:DWORD
	v_mul_u32_u24_sdwa v55, v18, v125 dst_sel:DWORD dst_unused:UNUSED_PAD src0_sel:WORD_0 src1_sel:DWORD
	v_mul_u32_u24_sdwa v56, v18, v125 dst_sel:DWORD dst_unused:UNUSED_PAD src0_sel:WORD_1 src1_sel:DWORD
	;; [unrolled: 2-line block ×4, first 2 shown]
	ds_read_b128 v[17:20], v122 offset:1936
	v_pk_fma_f16 v49, v22, v53, v49
	v_pk_fma_f16 v50, v22, v54, v50
	;; [unrolled: 1-line block ×8, first 2 shown]
	s_waitcnt lgkmcnt(0)
	v_mul_u32_u24_sdwa v61, v17, v125 dst_sel:DWORD dst_unused:UNUSED_PAD src0_sel:WORD_0 src1_sel:DWORD
	v_mul_u32_u24_sdwa v17, v17, v125 dst_sel:DWORD dst_unused:UNUSED_PAD src0_sel:WORD_1 src1_sel:DWORD
	v_mul_u32_u24_sdwa v62, v18, v125 dst_sel:DWORD dst_unused:UNUSED_PAD src0_sel:WORD_0 src1_sel:DWORD
	v_mul_u32_u24_sdwa v18, v18, v125 dst_sel:DWORD dst_unused:UNUSED_PAD src0_sel:WORD_1 src1_sel:DWORD
	;; [unrolled: 2-line block ×4, first 2 shown]
	v_pk_fma_f16 v42, v22, v61, v42
	v_pk_fma_f16 v43, v22, v17, v43
	;; [unrolled: 1-line block ×8, first 2 shown]
	ds_read2_b32 v[21:22], v132 offset0:64 offset1:96
	ds_read_b128 v[17:20], v122 offset:928
	s_waitcnt lgkmcnt(0)
	v_mul_u32_u24_sdwa v54, v17, v125 dst_sel:DWORD dst_unused:UNUSED_PAD src0_sel:WORD_0 src1_sel:DWORD
	v_mul_u32_u24_sdwa v55, v17, v125 dst_sel:DWORD dst_unused:UNUSED_PAD src0_sel:WORD_1 src1_sel:DWORD
	v_mul_u32_u24_sdwa v56, v18, v125 dst_sel:DWORD dst_unused:UNUSED_PAD src0_sel:WORD_0 src1_sel:DWORD
	v_mul_u32_u24_sdwa v57, v18, v125 dst_sel:DWORD dst_unused:UNUSED_PAD src0_sel:WORD_1 src1_sel:DWORD
	;; [unrolled: 2-line block ×4, first 2 shown]
	ds_read_b128 v[17:20], v122 offset:1952
	v_pk_fma_f16 v49, v21, v54, v49
	v_pk_fma_f16 v50, v21, v55, v50
	;; [unrolled: 1-line block ×8, first 2 shown]
	s_waitcnt lgkmcnt(0)
	v_mul_u32_u24_sdwa v62, v17, v125 dst_sel:DWORD dst_unused:UNUSED_PAD src0_sel:WORD_0 src1_sel:DWORD
	v_mul_u32_u24_sdwa v17, v17, v125 dst_sel:DWORD dst_unused:UNUSED_PAD src0_sel:WORD_1 src1_sel:DWORD
	v_mul_u32_u24_sdwa v63, v18, v125 dst_sel:DWORD dst_unused:UNUSED_PAD src0_sel:WORD_0 src1_sel:DWORD
	v_mul_u32_u24_sdwa v18, v18, v125 dst_sel:DWORD dst_unused:UNUSED_PAD src0_sel:WORD_1 src1_sel:DWORD
	;; [unrolled: 2-line block ×4, first 2 shown]
	v_pk_fma_f16 v42, v21, v62, v42
	v_pk_fma_f16 v43, v21, v17, v43
	;; [unrolled: 1-line block ×8, first 2 shown]
	ds_read_b128 v[17:20], v122 offset:944
	s_waitcnt lgkmcnt(0)
	v_mul_u32_u24_sdwa v53, v17, v125 dst_sel:DWORD dst_unused:UNUSED_PAD src0_sel:WORD_0 src1_sel:DWORD
	v_mul_u32_u24_sdwa v54, v17, v125 dst_sel:DWORD dst_unused:UNUSED_PAD src0_sel:WORD_1 src1_sel:DWORD
	v_mul_u32_u24_sdwa v55, v18, v125 dst_sel:DWORD dst_unused:UNUSED_PAD src0_sel:WORD_0 src1_sel:DWORD
	v_mul_u32_u24_sdwa v56, v18, v125 dst_sel:DWORD dst_unused:UNUSED_PAD src0_sel:WORD_1 src1_sel:DWORD
	;; [unrolled: 2-line block ×4, first 2 shown]
	ds_read_b128 v[17:20], v122 offset:1968
	v_pk_fma_f16 v49, v22, v53, v49
	v_pk_fma_f16 v50, v22, v54, v50
	;; [unrolled: 1-line block ×8, first 2 shown]
	s_waitcnt lgkmcnt(0)
	v_mul_u32_u24_sdwa v61, v17, v125 dst_sel:DWORD dst_unused:UNUSED_PAD src0_sel:WORD_0 src1_sel:DWORD
	v_mul_u32_u24_sdwa v17, v17, v125 dst_sel:DWORD dst_unused:UNUSED_PAD src0_sel:WORD_1 src1_sel:DWORD
	v_mul_u32_u24_sdwa v62, v18, v125 dst_sel:DWORD dst_unused:UNUSED_PAD src0_sel:WORD_0 src1_sel:DWORD
	v_mul_u32_u24_sdwa v18, v18, v125 dst_sel:DWORD dst_unused:UNUSED_PAD src0_sel:WORD_1 src1_sel:DWORD
	;; [unrolled: 2-line block ×4, first 2 shown]
	v_pk_fma_f16 v42, v22, v61, v42
	v_pk_fma_f16 v43, v22, v17, v43
	;; [unrolled: 1-line block ×8, first 2 shown]
	ds_read2_b32 v[21:22], v132 offset0:128 offset1:160
	ds_read_b128 v[17:20], v122 offset:960
	s_waitcnt lgkmcnt(0)
	v_mul_u32_u24_sdwa v54, v17, v125 dst_sel:DWORD dst_unused:UNUSED_PAD src0_sel:WORD_0 src1_sel:DWORD
	v_mul_u32_u24_sdwa v55, v17, v125 dst_sel:DWORD dst_unused:UNUSED_PAD src0_sel:WORD_1 src1_sel:DWORD
	v_mul_u32_u24_sdwa v56, v18, v125 dst_sel:DWORD dst_unused:UNUSED_PAD src0_sel:WORD_0 src1_sel:DWORD
	v_mul_u32_u24_sdwa v57, v18, v125 dst_sel:DWORD dst_unused:UNUSED_PAD src0_sel:WORD_1 src1_sel:DWORD
	;; [unrolled: 2-line block ×4, first 2 shown]
	ds_read_b128 v[17:20], v122 offset:1984
	v_pk_fma_f16 v49, v21, v54, v49
	v_pk_fma_f16 v50, v21, v55, v50
	;; [unrolled: 1-line block ×8, first 2 shown]
	s_waitcnt lgkmcnt(0)
	v_mul_u32_u24_sdwa v62, v17, v125 dst_sel:DWORD dst_unused:UNUSED_PAD src0_sel:WORD_0 src1_sel:DWORD
	v_mul_u32_u24_sdwa v17, v17, v125 dst_sel:DWORD dst_unused:UNUSED_PAD src0_sel:WORD_1 src1_sel:DWORD
	v_mul_u32_u24_sdwa v63, v18, v125 dst_sel:DWORD dst_unused:UNUSED_PAD src0_sel:WORD_0 src1_sel:DWORD
	v_mul_u32_u24_sdwa v18, v18, v125 dst_sel:DWORD dst_unused:UNUSED_PAD src0_sel:WORD_1 src1_sel:DWORD
	;; [unrolled: 2-line block ×4, first 2 shown]
	v_pk_fma_f16 v42, v21, v62, v42
	v_pk_fma_f16 v43, v21, v17, v43
	v_pk_fma_f16 v44, v21, v63, v44
	v_pk_fma_f16 v45, v21, v18, v45
	v_pk_fma_f16 v46, v21, v64, v46
	v_pk_fma_f16 v47, v21, v19, v47
	v_pk_fma_f16 v48, v21, v65, v48
	v_pk_fma_f16 v21, v21, v20, v53
	ds_read_b128 v[17:20], v122 offset:976
	s_waitcnt lgkmcnt(0)
	v_mul_u32_u24_sdwa v53, v17, v125 dst_sel:DWORD dst_unused:UNUSED_PAD src0_sel:WORD_0 src1_sel:DWORD
	v_mul_u32_u24_sdwa v54, v17, v125 dst_sel:DWORD dst_unused:UNUSED_PAD src0_sel:WORD_1 src1_sel:DWORD
	v_mul_u32_u24_sdwa v55, v18, v125 dst_sel:DWORD dst_unused:UNUSED_PAD src0_sel:WORD_0 src1_sel:DWORD
	v_mul_u32_u24_sdwa v56, v18, v125 dst_sel:DWORD dst_unused:UNUSED_PAD src0_sel:WORD_1 src1_sel:DWORD
	;; [unrolled: 2-line block ×4, first 2 shown]
	ds_read_b128 v[17:20], v122 offset:2000
	v_pk_fma_f16 v49, v22, v53, v49
	v_pk_fma_f16 v51, v22, v55, v51
	;; [unrolled: 1-line block ×8, first 2 shown]
	s_waitcnt lgkmcnt(0)
	v_mul_u32_u24_sdwa v61, v17, v125 dst_sel:DWORD dst_unused:UNUSED_PAD src0_sel:WORD_0 src1_sel:DWORD
	v_mul_u32_u24_sdwa v17, v17, v125 dst_sel:DWORD dst_unused:UNUSED_PAD src0_sel:WORD_1 src1_sel:DWORD
	v_mul_u32_u24_sdwa v64, v20, v125 dst_sel:DWORD dst_unused:UNUSED_PAD src0_sel:WORD_0 src1_sel:DWORD
	v_mul_u32_u24_sdwa v20, v20, v125 dst_sel:DWORD dst_unused:UNUSED_PAD src0_sel:WORD_1 src1_sel:DWORD
	v_mul_u32_u24_sdwa v62, v18, v125 dst_sel:DWORD dst_unused:UNUSED_PAD src0_sel:WORD_0 src1_sel:DWORD
	v_pk_fma_f16 v57, v22, v61, v42
	v_pk_fma_f16 v17, v22, v17, v43
	v_mul_u32_u24_sdwa v18, v18, v125 dst_sel:DWORD dst_unused:UNUSED_PAD src0_sel:WORD_1 src1_sel:DWORD
	v_pk_fma_f16 v61, v22, v20, v21
	ds_read2_b32 v[20:21], v132 offset0:192 offset1:224
	ds_read_b128 v[40:43], v122 offset:992
	v_mul_u32_u24_sdwa v63, v19, v125 dst_sel:DWORD dst_unused:UNUSED_PAD src0_sel:WORD_0 src1_sel:DWORD
	v_mul_u32_u24_sdwa v19, v19, v125 dst_sel:DWORD dst_unused:UNUSED_PAD src0_sel:WORD_1 src1_sel:DWORD
	v_pk_fma_f16 v58, v22, v62, v44
	v_pk_fma_f16 v18, v22, v18, v45
	;; [unrolled: 1-line block ×5, first 2 shown]
	s_waitcnt lgkmcnt(0)
	v_mul_u32_u24_sdwa v22, v40, v125 dst_sel:DWORD dst_unused:UNUSED_PAD src0_sel:WORD_0 src1_sel:DWORD
	v_mul_u32_u24_sdwa v23, v40, v125 dst_sel:DWORD dst_unused:UNUSED_PAD src0_sel:WORD_1 src1_sel:DWORD
	v_mul_u32_u24_sdwa v24, v41, v125 dst_sel:DWORD dst_unused:UNUSED_PAD src0_sel:WORD_0 src1_sel:DWORD
	v_mul_u32_u24_sdwa v44, v41, v125 dst_sel:DWORD dst_unused:UNUSED_PAD src0_sel:WORD_1 src1_sel:DWORD
	;; [unrolled: 2-line block ×4, first 2 shown]
	ds_read_b128 v[40:43], v122 offset:2016
	v_pk_fma_f16 v22, v20, v22, v49
	v_pk_fma_f16 v23, v20, v23, v50
	;; [unrolled: 1-line block ×3, first 2 shown]
	s_waitcnt lgkmcnt(0)
	v_mul_u32_u24_sdwa v62, v40, v125 dst_sel:DWORD dst_unused:UNUSED_PAD src0_sel:WORD_0 src1_sel:DWORD
	v_mul_u32_u24_sdwa v63, v40, v125 dst_sel:DWORD dst_unused:UNUSED_PAD src0_sel:WORD_1 src1_sel:DWORD
	v_mul_u32_u24_sdwa v64, v41, v125 dst_sel:DWORD dst_unused:UNUSED_PAD src0_sel:WORD_0 src1_sel:DWORD
	v_mul_u32_u24_sdwa v65, v41, v125 dst_sel:DWORD dst_unused:UNUSED_PAD src0_sel:WORD_1 src1_sel:DWORD
	v_mul_u32_u24_sdwa v66, v42, v125 dst_sel:DWORD dst_unused:UNUSED_PAD src0_sel:WORD_0 src1_sel:DWORD
	v_mul_u32_u24_sdwa v67, v42, v125 dst_sel:DWORD dst_unused:UNUSED_PAD src0_sel:WORD_1 src1_sel:DWORD
	v_mul_u32_u24_sdwa v68, v43, v125 dst_sel:DWORD dst_unused:UNUSED_PAD src0_sel:WORD_0 src1_sel:DWORD
	v_mul_u32_u24_sdwa v69, v43, v125 dst_sel:DWORD dst_unused:UNUSED_PAD src0_sel:WORD_1 src1_sel:DWORD
	v_pk_fma_f16 v40, v20, v44, v52
	v_pk_fma_f16 v41, v20, v45, v53
	;; [unrolled: 1-line block ×13, first 2 shown]
	ds_read_b128 v[17:20], v122 offset:1008
	s_waitcnt lgkmcnt(0)
	v_mul_u32_u24_sdwa v53, v17, v125 dst_sel:DWORD dst_unused:UNUSED_PAD src0_sel:WORD_0 src1_sel:DWORD
	v_mul_u32_u24_sdwa v54, v17, v125 dst_sel:DWORD dst_unused:UNUSED_PAD src0_sel:WORD_1 src1_sel:DWORD
	v_mul_u32_u24_sdwa v55, v18, v125 dst_sel:DWORD dst_unused:UNUSED_PAD src0_sel:WORD_0 src1_sel:DWORD
	v_mul_u32_u24_sdwa v56, v18, v125 dst_sel:DWORD dst_unused:UNUSED_PAD src0_sel:WORD_1 src1_sel:DWORD
	;; [unrolled: 2-line block ×4, first 2 shown]
	ds_read_b128 v[17:20], v122 offset:2032
	s_waitcnt lgkmcnt(0)
	s_barrier
	buffer_gl0_inv
	s_load_dword s11, s[0:1], 0x4
	v_pk_fma_f16 v163, v21, v53, v22
	v_pk_fma_f16 v158, v21, v54, v23
	;; [unrolled: 1-line block ×8, first 2 shown]
	v_mul_u32_u24_sdwa v61, v17, v125 dst_sel:DWORD dst_unused:UNUSED_PAD src0_sel:WORD_0 src1_sel:DWORD
	v_mul_u32_u24_sdwa v17, v17, v125 dst_sel:DWORD dst_unused:UNUSED_PAD src0_sel:WORD_1 src1_sel:DWORD
	v_mul_u32_u24_sdwa v62, v18, v125 dst_sel:DWORD dst_unused:UNUSED_PAD src0_sel:WORD_0 src1_sel:DWORD
	v_mul_u32_u24_sdwa v18, v18, v125 dst_sel:DWORD dst_unused:UNUSED_PAD src0_sel:WORD_1 src1_sel:DWORD
	;; [unrolled: 2-line block ×4, first 2 shown]
	s_waitcnt lgkmcnt(0)
	s_lshl_b32 s11, s11, 6
	v_pk_fma_f16 v140, v21, v61, v45
	v_pk_fma_f16 v139, v21, v17, v46
	;; [unrolled: 1-line block ×8, first 2 shown]
	s_add_i32 s14, s11, s14
	s_cmp_ge_i32 s14, s34
	s_cbranch_scc0 .LBB0_9
; %bb.10:
	s_clause 0x11
	buffer_load_dword v153, off, s[52:55], 0 offset:32
	buffer_load_dword v154, off, s[52:55], 0 offset:36
	;; [unrolled: 1-line block ×18, first 2 shown]
	v_mov_b32_e32 v17, v107
	v_mov_b32_e32 v23, 32
.LBB0_11:
	v_lshlrev_b32_e32 v66, 1, v78
	v_cmp_lt_i32_e32 vcc_lo, v113, v23
	s_cmp_lg_u64 s[16:17], 0
	s_cselect_b32 s0, -1, 0
	s_cmp_eq_u32 s28, 0
	v_cndmask_b32_e32 v0, v17, v113, vcc_lo
	v_cmp_lt_i32_e32 vcc_lo, v114, v23
	s_cselect_b32 s1, -1, 0
	s_and_b32 s0, s1, s0
	v_lshlrev_b32_e32 v0, 2, v0
	v_cndmask_b32_e32 v18, v17, v114, vcc_lo
	v_cmp_lt_i32_e32 vcc_lo, v111, v23
	ds_bpermute_b32 v21, v0, v25
	ds_bpermute_b32 v22, v0, v26
	v_cndmask_b32_e32 v19, v17, v111, vcc_lo
	v_cmp_lt_i32_e32 vcc_lo, v112, v23
	ds_bpermute_b32 v24, v0, v28
	ds_bpermute_b32 v40, v0, v29
	v_lshlrev_b32_e32 v18, 2, v18
	ds_bpermute_b32 v41, v0, v30
	v_cndmask_b32_e32 v20, v17, v112, vcc_lo
	v_cmp_lt_i32_e32 vcc_lo, v110, v23
	ds_bpermute_b32 v23, v0, v27
	ds_bpermute_b32 v42, v0, v31
	;; [unrolled: 1-line block ×9, first 2 shown]
	v_lshlrev_b32_e32 v19, 2, v19
	s_waitcnt lgkmcnt(13)
	v_add_f32_e32 v21, v25, v21
	s_waitcnt lgkmcnt(12)
	v_add_f32_e32 v22, v26, v22
	ds_bpermute_b32 v25, v0, v39
	ds_bpermute_b32 v0, v0, v108
	s_waitcnt lgkmcnt(13)
	v_add_f32_e32 v24, v28, v24
	ds_bpermute_b32 v26, v18, v21
	s_waitcnt lgkmcnt(13)
	v_add_f32_e32 v28, v29, v40
	s_waitcnt lgkmcnt(12)
	v_add_f32_e32 v30, v30, v41
	v_lshlrev_b32_e32 v20, 2, v20
	ds_bpermute_b32 v40, v18, v24
	s_waitcnt lgkmcnt(12)
	v_add_f32_e32 v23, v27, v23
	ds_bpermute_b32 v27, v18, v22
	s_waitcnt lgkmcnt(12)
	v_add_f32_e32 v31, v31, v42
	;; [unrolled: 3-line block ×4, first 2 shown]
	ds_bpermute_b32 v42, v18, v30
	ds_bpermute_b32 v43, v18, v31
	s_waitcnt lgkmcnt(13)
	v_add_f32_e32 v33, v33, v44
	s_waitcnt lgkmcnt(12)
	v_add_f32_e32 v34, v34, v45
	;; [unrolled: 2-line block ×7, first 2 shown]
	ds_bpermute_b32 v26, v18, v35
	v_add_f32_e32 v0, v108, v0
	ds_bpermute_b32 v44, v18, v32
	ds_bpermute_b32 v45, v18, v33
	ds_bpermute_b32 v46, v18, v34
	s_waitcnt lgkmcnt(8)
	v_add_f32_e32 v22, v22, v27
	ds_bpermute_b32 v27, v18, v36
	ds_bpermute_b32 v48, v18, v37
	v_add_f32_e32 v24, v24, v40
	s_waitcnt lgkmcnt(8)
	v_add_f32_e32 v23, v23, v29
	ds_bpermute_b32 v29, v19, v21
	ds_bpermute_b32 v40, v18, v38
	;; [unrolled: 1-line block ×4, first 2 shown]
	v_add_f32_e32 v28, v28, v41
	ds_bpermute_b32 v47, v19, v22
	ds_bpermute_b32 v39, v19, v23
	;; [unrolled: 1-line block ×3, first 2 shown]
	s_waitcnt lgkmcnt(14)
	v_add_f32_e32 v30, v30, v42
	s_waitcnt lgkmcnt(13)
	v_add_f32_e32 v31, v31, v43
	;; [unrolled: 2-line block ×3, first 2 shown]
	v_cndmask_b32_e32 v17, v17, v110, vcc_lo
	s_waitcnt lgkmcnt(11)
	v_add_f32_e32 v32, v32, v44
	ds_bpermute_b32 v35, v19, v30
	ds_bpermute_b32 v42, v19, v31
	s_waitcnt lgkmcnt(12)
	v_add_f32_e32 v33, v33, v45
	s_waitcnt lgkmcnt(11)
	v_add_f32_e32 v34, v34, v46
	;; [unrolled: 2-line block ×4, first 2 shown]
	ds_bpermute_b32 v45, v19, v26
	s_waitcnt lgkmcnt(9)
	v_add_f32_e32 v21, v21, v29
	ds_bpermute_b32 v29, v19, v28
	s_waitcnt lgkmcnt(9)
	v_add_f32_e32 v38, v38, v40
	s_waitcnt lgkmcnt(8)
	v_add_f32_e32 v25, v25, v49
	;; [unrolled: 2-line block ×6, first 2 shown]
	ds_bpermute_b32 v18, v19, v32
	ds_bpermute_b32 v40, v19, v33
	ds_bpermute_b32 v41, v19, v34
	ds_bpermute_b32 v46, v19, v27
	ds_bpermute_b32 v47, v19, v37
	ds_bpermute_b32 v48, v19, v38
	ds_bpermute_b32 v49, v19, v25
	ds_bpermute_b32 v19, v19, v0
	ds_bpermute_b32 v39, v20, v22
	ds_bpermute_b32 v43, v20, v23
	ds_bpermute_b32 v44, v20, v24
	s_waitcnt lgkmcnt(12)
	v_add_f32_e32 v26, v26, v45
	ds_bpermute_b32 v36, v20, v21
	s_waitcnt lgkmcnt(12)
	v_add_f32_e32 v28, v28, v29
	v_add_f32_e32 v29, v30, v35
	v_add_f32_e32 v30, v31, v42
	v_lshlrev_b32_e32 v17, 2, v17
	s_and_b32 vcc_lo, exec_lo, s0
	ds_bpermute_b32 v31, v20, v28
	s_waitcnt lgkmcnt(12)
	v_add_f32_e32 v18, v32, v18
	s_waitcnt lgkmcnt(11)
	v_add_f32_e32 v33, v33, v40
	;; [unrolled: 2-line block ×10, first 2 shown]
	ds_bpermute_b32 v39, v20, v29
	ds_bpermute_b32 v42, v20, v30
	s_waitcnt lgkmcnt(4)
	v_add_f32_e32 v24, v24, v44
	ds_bpermute_b32 v40, v20, v18
	ds_bpermute_b32 v41, v20, v33
	;; [unrolled: 1-line block ×6, first 2 shown]
	s_waitcnt lgkmcnt(8)
	v_add_f32_e32 v28, v28, v31
	ds_bpermute_b32 v19, v20, v38
	ds_bpermute_b32 v31, v20, v25
	;; [unrolled: 1-line block ×3, first 2 shown]
	v_add_f32_e32 v21, v21, v36
	ds_bpermute_b32 v36, v17, v22
	ds_bpermute_b32 v32, v17, v23
	;; [unrolled: 1-line block ×3, first 2 shown]
	s_waitcnt lgkmcnt(13)
	v_add_f32_e32 v29, v29, v39
	s_waitcnt lgkmcnt(12)
	v_add_f32_e32 v30, v30, v42
	ds_bpermute_b32 v39, v17, v24
	s_waitcnt lgkmcnt(12)
	v_add_f32_e32 v18, v18, v40
	s_waitcnt lgkmcnt(11)
	v_add_f32_e32 v33, v33, v41
	;; [unrolled: 2-line block ×6, first 2 shown]
	ds_bpermute_b32 v40, v17, v28
	s_waitcnt lgkmcnt(7)
	v_add_f32_e32 v19, v38, v19
	s_waitcnt lgkmcnt(6)
	v_add_f32_e32 v25, v25, v31
	;; [unrolled: 2-line block ×3, first 2 shown]
	ds_bpermute_b32 v42, v17, v29
	ds_bpermute_b32 v47, v17, v30
	;; [unrolled: 1-line block ×11, first 2 shown]
	s_waitcnt lgkmcnt(13)
	v_add_f32_e32 v65, v21, v35
	v_add_f32_e32 v63, v22, v36
	;; [unrolled: 1-line block ×3, first 2 shown]
	s_waitcnt lgkmcnt(12)
	v_add_f32_e32 v59, v24, v39
	s_waitcnt lgkmcnt(11)
	v_add_f32_e32 v57, v28, v40
	s_waitcnt lgkmcnt(10)
	v_add_f32_e32 v55, v29, v42
	s_waitcnt lgkmcnt(9)
	v_add_f32_e32 v53, v30, v47
	s_waitcnt lgkmcnt(8)
	v_add_f32_e32 v51, v18, v41
	s_waitcnt lgkmcnt(7)
	v_add_f32_e32 v49, v33, v43
	s_waitcnt lgkmcnt(6)
	v_add_f32_e32 v29, v34, v44
	s_waitcnt lgkmcnt(5)
	v_add_f32_e32 v47, v26, v45
	s_waitcnt lgkmcnt(4)
	v_add_f32_e32 v30, v27, v46
	s_waitcnt lgkmcnt(3)
	v_add_f32_e32 v45, v37, v38
	s_waitcnt lgkmcnt(2)
	v_add_f32_e32 v43, v19, v20
	s_waitcnt lgkmcnt(1)
	v_add_f32_e32 v41, v25, v31
	s_waitcnt lgkmcnt(0)
	v_add_f32_e32 v39, v0, v17
	s_cbranch_vccz .LBB0_13
; %bb.12:
	s_ashr_i32 s31, s30, 31
	v_mov_b32_e32 v0, 0
	s_lshl_b64 s[0:1], s[30:31], 2
	v_max_f32_e32 v17, v1, v1
	s_add_u32 s0, s16, s0
	s_addc_u32 s1, s17, s1
	v_max_f32_e32 v18, v2, v2
	s_clause 0x1
	global_load_dwordx4 v[35:38], v0, s[0:1]
	global_load_dwordx4 v[31:34], v0, s[0:1] offset:16
	v_max_f32_e32 v0, v4, v4
	v_max_f32_e32 v19, v3, v3
	v_max_f32_e32 v25, v9, v9
	v_max_f32_e32 v26, v10, v10
	v_max_f32_e32 v21, v5, v5
	v_max_f32_e32 v27, v11, v11
	v_max_f32_e32 v22, v6, v6
	v_max_f32_e32 v28, v12, v12
	v_max_f32_e32 v23, v7, v7
	v_max_f32_e32 v24, v8, v8
	v_mov_b32_e32 v171, v78
	v_mov_b32_e32 v40, 0x10001
	v_max_f32_e32 v48, v13, v13
	s_waitcnt vmcnt(1)
	v_max_f32_e32 v50, v35, v35
	v_max_f32_e32 v56, v38, v38
	;; [unrolled: 1-line block ×4, first 2 shown]
	s_waitcnt vmcnt(0)
	v_max_f32_e32 v58, v31, v31
	v_max_f32_e32 v17, v17, v50
	;; [unrolled: 1-line block ×6, first 2 shown]
	v_sub_f32_e32 v0, v1, v17
	v_sub_f32_e32 v1, v35, v17
	;; [unrolled: 1-line block ×5, first 2 shown]
	v_mul_f32_e32 v67, 0x3fb8aa3b, v0
	v_mul_f32_e32 v68, 0x3fb8aa3b, v1
	;; [unrolled: 1-line block ×4, first 2 shown]
	v_max_f32_e32 v26, v26, v52
	v_fma_f32 v91, 0x3fb8aa3b, v0, -v67
	v_rndne_f32_e32 v92, v67
	v_fma_f32 v93, 0x3fb8aa3b, v1, -v68
	v_rndne_f32_e32 v94, v68
	v_fma_f32 v95, 0x3fb8aa3b, v2, -v69
	v_fmac_f32_e32 v91, 0x32a5705f, v0
	v_sub_f32_e32 v67, v67, v92
	v_rndne_f32_e32 v96, v69
	v_fmac_f32_e32 v93, 0x32a5705f, v1
	v_sub_f32_e32 v68, v68, v94
	v_sub_f32_e32 v52, v37, v19
	v_add_f32_e32 v67, v67, v91
	v_mul_f32_e32 v71, 0x3fb8aa3b, v3
	v_fma_f32 v97, 0x3fb8aa3b, v50, -v70
	v_rndne_f32_e32 v98, v70
	v_fmac_f32_e32 v95, 0x32a5705f, v2
	v_sub_f32_e32 v69, v69, v96
	v_add_f32_e32 v68, v68, v93
	v_exp_f32_e32 v67, v67
	v_sub_f32_e32 v4, v4, v20
	v_mul_f32_e32 v72, 0x3fb8aa3b, v52
	v_fma_f32 v99, 0x3fb8aa3b, v3, -v71
	v_rndne_f32_e32 v100, v71
	v_cvt_i32_f32_e32 v92, v92
	v_fmac_f32_e32 v97, 0x32a5705f, v50
	v_sub_f32_e32 v70, v70, v98
	v_add_f32_e32 v69, v69, v95
	v_exp_f32_e32 v68, v68
	v_max_f32_e32 v21, v21, v58
	v_max_f32_e32 v27, v27, v54
	v_sub_f32_e32 v54, v38, v20
	v_mul_f32_e32 v73, 0x3fb8aa3b, v4
	v_fma_f32 v101, 0x3fb8aa3b, v52, -v72
	v_rndne_f32_e32 v102, v72
	v_cvt_i32_f32_e32 v94, v94
	v_fmac_f32_e32 v99, 0x32a5705f, v3
	v_sub_f32_e32 v71, v71, v100
	v_add_f32_e32 v70, v70, v97
	v_exp_f32_e32 v69, v69
	v_ldexp_f32 v67, v67, v92
	v_cmp_ngt_f32_e32 vcc_lo, 0xc2ce8ed0, v0
	v_max_f32_e32 v46, v32, v32
	v_sub_f32_e32 v5, v5, v21
	v_mul_f32_e32 v74, 0x3fb8aa3b, v54
	v_fma_f32 v103, 0x3fb8aa3b, v4, -v73
	v_rndne_f32_e32 v104, v73
	v_cvt_i32_f32_e32 v96, v96
	v_fmac_f32_e32 v101, 0x32a5705f, v52
	v_sub_f32_e32 v72, v72, v102
	v_add_f32_e32 v71, v71, v99
	v_exp_f32_e32 v70, v70
	v_ldexp_f32 v68, v68, v94
	v_cndmask_b32_e32 v67, 0, v67, vcc_lo
	v_cmp_ngt_f32_e32 vcc_lo, 0xc2ce8ed0, v1
	v_max_f32_e32 v22, v22, v46
	v_max_f32_e32 v28, v28, v56
	v_sub_f32_e32 v56, v31, v21
	v_mul_f32_e32 v75, 0x3fb8aa3b, v5
	v_fma_f32 v105, 0x3fb8aa3b, v54, -v74
	v_rndne_f32_e32 v106, v74
	v_cvt_i32_f32_e32 v98, v98
	v_fmac_f32_e32 v103, 0x32a5705f, v4
	v_sub_f32_e32 v73, v73, v104
	v_add_f32_e32 v72, v72, v101
	v_exp_f32_e32 v71, v71
	v_ldexp_f32 v69, v69, v96
	v_cndmask_b32_e32 v68, 0, v68, vcc_lo
	v_cmp_ngt_f32_e32 vcc_lo, 0xc2ce8ed0, v2
	v_max_f32_e32 v44, v33, v33
	v_sub_f32_e32 v6, v6, v22
	v_mul_f32_e32 v76, 0x3fb8aa3b, v56
	v_fma_f32 v107, 0x3fb8aa3b, v5, -v75
	v_rndne_f32_e32 v108, v75
	v_cvt_i32_f32_e32 v100, v100
	v_fmac_f32_e32 v105, 0x32a5705f, v54
	v_sub_f32_e32 v74, v74, v106
	v_add_f32_e32 v73, v73, v103
	v_exp_f32_e32 v72, v72
	v_ldexp_f32 v70, v70, v98
	v_cndmask_b32_e32 v69, 0, v69, vcc_lo
	v_cmp_ngt_f32_e32 vcc_lo, 0xc2ce8ed0, v50
	;; [unrolled: 13-line block ×5, first 2 shown]
	v_sub_f32_e32 v8, v8, v24
	v_mul_f32_e32 v80, 0x3fb8aa3b, v62
	v_fma_f32 v115, 0x3fb8aa3b, v7, -v79
	v_rndne_f32_e32 v116, v79
	v_cvt_i32_f32_e32 v108, v108
	v_fmac_f32_e32 v113, 0x32a5705f, v60
	v_sub_f32_e32 v78, v78, v114
	v_add_f32_e32 v77, v77, v111
	v_exp_f32_e32 v76, v76
	v_ldexp_f32 v74, v74, v106
	v_cndmask_b32_e32 v73, 0, v73, vcc_lo
	v_cmp_ngt_f32_e32 vcc_lo, 0xc2ce8ed0, v54
	v_sub_f32_e32 v64, v34, v24
	v_mul_f32_e32 v81, 0x3fb8aa3b, v8
	v_fma_f32 v117, 0x3fb8aa3b, v62, -v80
	v_rndne_f32_e32 v118, v80
	v_cvt_i32_f32_e32 v110, v110
	v_fmac_f32_e32 v115, 0x32a5705f, v7
	v_sub_f32_e32 v79, v79, v116
	v_add_f32_e32 v78, v78, v113
	v_exp_f32_e32 v77, v77
	v_ldexp_f32 v75, v75, v108
	v_cndmask_b32_e32 v74, 0, v74, vcc_lo
	v_cmp_ngt_f32_e32 vcc_lo, 0xc2ce8ed0, v5
	;; [unrolled: 12-line block ×7, first 2 shown]
	v_mul_f32_e32 v87, 0x3fb8aa3b, v11
	v_fma_f32 v129, 0x3fb8aa3b, v36, -v86
	v_rndne_f32_e32 v130, v86
	v_cvt_i32_f32_e32 v122, v122
	v_fmac_f32_e32 v127, 0x32a5705f, v10
	v_sub_f32_e32 v85, v85, v128
	v_add_f32_e32 v84, v84, v125
	v_exp_f32_e32 v83, v83
	v_ldexp_f32 v81, v81, v120
	v_cndmask_b32_e32 v80, 0, v80, vcc_lo
	v_cmp_ngt_f32_e32 vcc_lo, 0xc2ce8ed0, v8
	v_fma_f32 v131, 0x3fb8aa3b, v11, -v87
	v_rndne_f32_e32 v132, v87
	v_cvt_i32_f32_e32 v124, v124
	v_fmac_f32_e32 v129, 0x32a5705f, v36
	v_sub_f32_e32 v86, v86, v130
	v_add_f32_e32 v85, v85, v127
	v_exp_f32_e32 v84, v84
	v_ldexp_f32 v82, v82, v122
	v_cndmask_b32_e32 v81, 0, v81, vcc_lo
	v_cmp_ngt_f32_e32 vcc_lo, 0xc2ce8ed0, v64
	v_cvt_i32_f32_e32 v126, v126
	v_fmac_f32_e32 v131, 0x32a5705f, v11
	v_sub_f32_e32 v87, v87, v132
	v_add_f32_e32 v86, v86, v129
	v_exp_f32_e32 v85, v85
	v_ldexp_f32 v83, v83, v124
	v_cndmask_b32_e32 v82, 0, v82, vcc_lo
	v_cmp_ngt_f32_e32 vcc_lo, 0xc2ce8ed0, v9
	v_cvt_i32_f32_e32 v128, v128
	v_add_f32_e32 v87, v87, v131
	v_exp_f32_e32 v86, v86
	v_ldexp_f32 v84, v84, v126
	v_cndmask_b32_e32 v83, 0, v83, vcc_lo
	v_cmp_ngt_f32_e32 vcc_lo, 0xc2ce8ed0, v35
	v_cvt_i32_f32_e32 v130, v130
	v_exp_f32_e32 v87, v87
	v_ldexp_f32 v85, v85, v128
	v_cvt_i32_f32_e32 v132, v132
	v_cndmask_b32_e32 v84, 0, v84, vcc_lo
	v_cmp_ngt_f32_e32 vcc_lo, 0xc2ce8ed0, v10
	v_ldexp_f32 v86, v86, v130
	v_sub_f32_e32 v37, v37, v27
	v_sub_f32_e32 v12, v12, v28
	;; [unrolled: 1-line block ×3, first 2 shown]
	v_cndmask_b32_e32 v85, 0, v85, vcc_lo
	v_cmp_ngt_f32_e32 vcc_lo, 0xc2ce8ed0, v36
	v_ldexp_f32 v87, v87, v132
	v_mul_f32_e32 v88, 0x3fb8aa3b, v37
	v_mul_f32_e32 v89, 0x3fb8aa3b, v12
	;; [unrolled: 1-line block ×3, first 2 shown]
	v_cndmask_b32_e32 v86, 0, v86, vcc_lo
	v_cmp_ngt_f32_e32 vcc_lo, 0xc2ce8ed0, v11
	v_fma_f32 v145, 0x3fb8aa3b, v37, -v88
	v_rndne_f32_e32 v146, v88
	v_fma_f32 v147, 0x3fb8aa3b, v12, -v89
	v_rndne_f32_e32 v148, v89
	v_cndmask_b32_e32 v87, 0, v87, vcc_lo
	v_cmp_nlt_f32_e32 vcc_lo, 0x42b17218, v0
	v_fmac_f32_e32 v145, 0x32a5705f, v37
	v_sub_f32_e32 v88, v88, v146
	v_fmac_f32_e32 v147, 0x32a5705f, v12
	v_sub_f32_e32 v89, v89, v148
	v_cndmask_b32_e32 v0, 0x7f800000, v67, vcc_lo
	v_cmp_nlt_f32_e32 vcc_lo, 0x42b17218, v1
	v_add_f32_e32 v88, v88, v145
	v_fma_f32 v149, 0x3fb8aa3b, v38, -v90
	v_rndne_f32_e32 v150, v90
	v_cvt_i32_f32_e32 v146, v146
	v_cndmask_b32_e32 v67, 0x7f800000, v68, vcc_lo
	v_cmp_nlt_f32_e32 vcc_lo, 0x42b17218, v2
	v_exp_f32_e32 v88, v88
	v_add_f32_e32 v89, v89, v147
	v_fmac_f32_e32 v149, 0x32a5705f, v38
	v_fmac_f32_e32 v67, v65, v0
	v_cndmask_b32_e32 v1, 0x7f800000, v69, vcc_lo
	v_cmp_nlt_f32_e32 vcc_lo, 0x42b17218, v50
	v_cvt_f16_f32_e32 v0, v0
	v_sub_f32_e32 v90, v90, v150
	v_mov_b32_e32 v65, v67
	v_cndmask_b32_e32 v50, 0x7f800000, v70, vcc_lo
	v_cmp_nlt_f32_e32 vcc_lo, 0x42b17218, v3
	v_ldexp_f32 v88, v88, v146
	v_mul_u32_u24_sdwa v0, v0, v40 dst_sel:DWORD dst_unused:UNUSED_PAD src0_sel:WORD_0 src1_sel:DWORD
	v_fmac_f32_e32 v50, v63, v1
	v_cndmask_b32_e32 v2, 0x7f800000, v71, vcc_lo
	v_cmp_nlt_f32_e32 vcc_lo, 0x42b17218, v52
	v_cvt_f16_f32_e32 v1, v1
	v_pk_mul_f16 v163, v163, v0
	v_mov_b32_e32 v63, v50
	v_cndmask_b32_e32 v52, 0x7f800000, v72, vcc_lo
	v_cmp_nlt_f32_e32 vcc_lo, 0x42b17218, v4
	v_mul_u32_u24_sdwa v1, v1, v40 dst_sel:DWORD dst_unused:UNUSED_PAD src0_sel:WORD_0 src1_sel:DWORD
	v_fmac_f32_e32 v52, v61, v2
	v_cndmask_b32_e32 v3, 0x7f800000, v73, vcc_lo
	v_cmp_nlt_f32_e32 vcc_lo, 0x42b17218, v54
	v_cvt_f16_f32_e32 v2, v2
	v_pk_mul_f16 v158, v158, v1
	v_mov_b32_e32 v61, v52
	v_cndmask_b32_e32 v54, 0x7f800000, v74, vcc_lo
	v_cmp_nlt_f32_e32 vcc_lo, 0x42b17218, v5
	v_mul_u32_u24_sdwa v2, v2, v40 dst_sel:DWORD dst_unused:UNUSED_PAD src0_sel:WORD_0 src1_sel:DWORD
	v_fmac_f32_e32 v54, v59, v3
	v_cndmask_b32_e32 v4, 0x7f800000, v75, vcc_lo
	v_cmp_nlt_f32_e32 vcc_lo, 0x42b17218, v56
	v_cvt_f16_f32_e32 v3, v3
	v_pk_mul_f16 v152, v152, v2
	v_exp_f32_e32 v2, v89
	v_mov_b32_e32 v59, v54
	v_cndmask_b32_e32 v56, 0x7f800000, v76, vcc_lo
	v_cmp_nlt_f32_e32 vcc_lo, 0x42b17218, v6
	v_mul_u32_u24_sdwa v3, v3, v40 dst_sel:DWORD dst_unused:UNUSED_PAD src0_sel:WORD_0 src1_sel:DWORD
	v_fmac_f32_e32 v56, v57, v4
	v_cndmask_b32_e32 v5, 0x7f800000, v77, vcc_lo
	v_cmp_nlt_f32_e32 vcc_lo, 0x42b17218, v60
	v_cvt_f16_f32_e32 v4, v4
	v_pk_mul_f16 v151, v151, v3
	v_add_f32_e32 v3, v90, v149
	v_mov_b32_e32 v57, v56
	v_cndmask_b32_e32 v60, 0x7f800000, v78, vcc_lo
	v_cmp_nlt_f32_e32 vcc_lo, 0x42b17218, v7
	v_mul_u32_u24_sdwa v4, v4, v40 dst_sel:DWORD dst_unused:UNUSED_PAD src0_sel:WORD_0 src1_sel:DWORD
	v_exp_f32_e32 v3, v3
	v_mov_b32_e32 v78, v171
	v_fmac_f32_e32 v60, v55, v5
	v_cndmask_b32_e32 v6, 0x7f800000, v79, vcc_lo
	v_cmp_nlt_f32_e32 vcc_lo, 0x42b17218, v62
	v_cvt_f16_f32_e32 v5, v5
	v_pk_mul_f16 v144, v144, v4
	v_cvt_i32_f32_e32 v4, v148
	v_mov_b32_e32 v55, v60
	v_cndmask_b32_e32 v62, 0x7f800000, v80, vcc_lo
	v_cmp_nlt_f32_e32 vcc_lo, 0x42b17218, v8
	v_mul_u32_u24_sdwa v5, v5, v40 dst_sel:DWORD dst_unused:UNUSED_PAD src0_sel:WORD_0 src1_sel:DWORD
	v_ldexp_f32 v2, v2, v4
	v_cvt_i32_f32_e32 v4, v150
	v_fmac_f32_e32 v62, v53, v6
	v_cndmask_b32_e32 v7, 0x7f800000, v81, vcc_lo
	v_cmp_nlt_f32_e32 vcc_lo, 0x42b17218, v64
	v_cvt_f16_f32_e32 v6, v6
	v_pk_mul_f16 v143, v143, v5
	v_mov_b32_e32 v53, v62
	v_cndmask_b32_e32 v64, 0x7f800000, v82, vcc_lo
	v_cmp_nlt_f32_e32 vcc_lo, 0x42b17218, v9
	v_mul_u32_u24_sdwa v6, v6, v40 dst_sel:DWORD dst_unused:UNUSED_PAD src0_sel:WORD_0 src1_sel:DWORD
	v_fmac_f32_e32 v64, v51, v7
	v_cndmask_b32_e32 v8, 0x7f800000, v83, vcc_lo
	v_cmp_nlt_f32_e32 vcc_lo, 0x42b17218, v35
	v_cvt_f16_f32_e32 v7, v7
	v_pk_mul_f16 v142, v142, v6
	v_mov_b32_e32 v51, v64
	v_cndmask_b32_e32 v35, 0x7f800000, v84, vcc_lo
	v_cmp_nlt_f32_e32 vcc_lo, 0x42b17218, v10
	v_mul_u32_u24_sdwa v7, v7, v40 dst_sel:DWORD dst_unused:UNUSED_PAD src0_sel:WORD_0 src1_sel:DWORD
	;; [unrolled: 9-line block ×3, first 2 shown]
	v_fmac_f32_e32 v36, v29, v9
	v_cndmask_b32_e32 v10, 0x7f800000, v87, vcc_lo
	v_cmp_ngt_f32_e32 vcc_lo, 0xc2ce8ed0, v37
	v_max_f32_e32 v29, v48, v58
	v_cvt_f16_f32_e32 v9, v9
	v_pk_mul_f16 v140, v140, v8
	v_cvt_f16_f32_e32 v1, v10
	v_cndmask_b32_e32 v0, 0, v88, vcc_lo
	v_cmp_nlt_f32_e32 vcc_lo, 0x42b17218, v37
	v_sub_f32_e32 v5, v13, v29
	v_sub_f32_e32 v7, v31, v29
	v_mul_u32_u24_sdwa v1, v1, v40 dst_sel:DWORD dst_unused:UNUSED_PAD src0_sel:WORD_0 src1_sel:DWORD
	v_mul_u32_u24_sdwa v9, v9, v40 dst_sel:DWORD dst_unused:UNUSED_PAD src0_sel:WORD_0 src1_sel:DWORD
	v_cndmask_b32_e32 v0, 0x7f800000, v0, vcc_lo
	v_cmp_ngt_f32_e32 vcc_lo, 0xc2ce8ed0, v12
	v_mul_f32_e32 v6, 0x3fb8aa3b, v5
	v_pk_mul_f16 v138, v138, v1
	v_pk_mul_f16 v139, v139, v9
	v_fmac_f32_e32 v0, v47, v10
	v_cndmask_b32_e32 v1, 0, v2, vcc_lo
	v_cmp_nlt_f32_e32 vcc_lo, 0x42b17218, v12
	v_ldexp_f32 v2, v3, v4
	v_fma_f32 v3, 0x3fb8aa3b, v5, -v6
	v_rndne_f32_e32 v4, v6
	v_mov_b32_e32 v47, v0
	v_cndmask_b32_e32 v1, 0x7f800000, v1, vcc_lo
	v_cmp_ngt_f32_e32 vcc_lo, 0xc2ce8ed0, v38
	v_fmac_f32_e32 v3, 0x32a5705f, v5
	v_sub_f32_e32 v6, v6, v4
	v_cvt_i32_f32_e32 v4, v4
	v_cvt_f16_f32_e32 v8, v1
	v_cndmask_b32_e32 v2, 0, v2, vcc_lo
	v_cmp_nlt_f32_e32 vcc_lo, 0x42b17218, v38
	v_add_f32_e32 v3, v6, v3
	v_mul_f32_e32 v6, 0x3fb8aa3b, v7
	v_cndmask_b32_e32 v37, 0x7f800000, v2, vcc_lo
	v_max_f32_e32 v2, v14, v14
	v_cmp_ngt_f32_e32 vcc_lo, 0xc2ce8ed0, v5
	v_fmac_f32_e32 v37, v30, v1
	v_max_f32_e32 v30, v2, v46
	v_mul_u32_u24_sdwa v1, v8, v40 dst_sel:DWORD dst_unused:UNUSED_PAD src0_sel:WORD_0 src1_sel:DWORD
	v_exp_f32_e32 v2, v3
	v_fma_f32 v3, 0x3fb8aa3b, v7, -v6
	v_rndne_f32_e32 v8, v6
	v_sub_f32_e32 v9, v14, v30
	v_sub_f32_e32 v10, v32, v30
	v_pk_mul_f16 v137, v137, v1
	v_fmac_f32_e32 v3, 0x32a5705f, v7
	v_sub_f32_e32 v6, v6, v8
	v_mul_f32_e32 v11, 0x3fb8aa3b, v9
	v_mul_f32_e32 v1, 0x3fb8aa3b, v10
	v_ldexp_f32 v2, v2, v4
	v_cvt_i32_f32_e32 v8, v8
	v_add_f32_e32 v3, v6, v3
	v_fma_f32 v4, 0x3fb8aa3b, v9, -v11
	v_rndne_f32_e32 v6, v11
	v_fma_f32 v12, 0x3fb8aa3b, v10, -v1
	v_rndne_f32_e32 v13, v1
	v_exp_f32_e32 v3, v3
	v_fmac_f32_e32 v4, 0x32a5705f, v9
	v_sub_f32_e32 v11, v11, v6
	v_fmac_f32_e32 v12, 0x32a5705f, v10
	v_sub_f32_e32 v1, v1, v13
	v_cndmask_b32_e32 v2, 0, v2, vcc_lo
	v_cmp_nlt_f32_e32 vcc_lo, 0x42b17218, v5
	v_add_f32_e32 v4, v11, v4
	v_cvt_i32_f32_e32 v6, v6
	v_add_f32_e32 v1, v1, v12
	v_ldexp_f32 v3, v3, v8
	v_cndmask_b32_e32 v2, 0x7f800000, v2, vcc_lo
	v_exp_f32_e32 v4, v4
	v_cmp_ngt_f32_e32 vcc_lo, 0xc2ce8ed0, v7
	v_exp_f32_e32 v1, v1
	v_cvt_i32_f32_e32 v8, v13
	v_cvt_f16_f32_e32 v5, v2
	v_max_f32_e32 v11, v15, v15
	v_cndmask_b32_e32 v3, 0, v3, vcc_lo
	v_cmp_nlt_f32_e32 vcc_lo, 0x42b17218, v7
	v_max_f32_e32 v31, v11, v44
	v_cndmask_b32_e32 v38, 0x7f800000, v3, vcc_lo
	v_ldexp_f32 v3, v4, v6
	v_cmp_ngt_f32_e32 vcc_lo, 0xc2ce8ed0, v9
	v_ldexp_f32 v1, v1, v8
	v_mul_u32_u24_sdwa v4, v5, v40 dst_sel:DWORD dst_unused:UNUSED_PAD src0_sel:WORD_0 src1_sel:DWORD
	v_max_f32_e32 v5, v16, v16
	v_sub_f32_e32 v6, v15, v31
	v_cndmask_b32_e32 v3, 0, v3, vcc_lo
	v_cmp_ngt_f32_e32 vcc_lo, 0xc2ce8ed0, v10
	v_fmac_f32_e32 v38, v45, v2
	v_max_f32_e32 v32, v5, v42
	v_pk_mul_f16 v136, v136, v4
	v_sub_f32_e32 v8, v33, v31
	v_cndmask_b32_e32 v1, 0, v1, vcc_lo
	v_cmp_nlt_f32_e32 vcc_lo, 0x42b17218, v9
	v_sub_f32_e32 v2, v16, v32
	v_sub_f32_e32 v12, v34, v32
	v_mul_f32_e32 v11, 0x3fb8aa3b, v8
	v_mov_b32_e32 v45, v38
	v_cndmask_b32_e32 v3, 0x7f800000, v3, vcc_lo
	v_cmp_nlt_f32_e32 vcc_lo, 0x42b17218, v10
	v_mul_f32_e32 v7, 0x3fb8aa3b, v2
	v_mul_f32_e32 v13, 0x3fb8aa3b, v12
	v_rndne_f32_e32 v14, v11
	v_cndmask_b32_e32 v42, 0x7f800000, v1, vcc_lo
	v_mul_f32_e32 v1, 0x3fb8aa3b, v6
	v_fma_f32 v9, 0x3fb8aa3b, v2, -v7
	v_rndne_f32_e32 v10, v7
	v_rndne_f32_e32 v15, v13
	v_cmp_ngt_f32_e32 vcc_lo, 0xc2ce8ed0, v6
	v_fma_f32 v4, 0x3fb8aa3b, v6, -v1
	v_rndne_f32_e32 v5, v1
	v_fmac_f32_e32 v9, 0x32a5705f, v2
	v_fmac_f32_e32 v42, v43, v3
	v_cvt_f16_f32_e32 v3, v3
	v_fmac_f32_e32 v4, 0x32a5705f, v6
	v_sub_f32_e32 v1, v1, v5
	v_cvt_i32_f32_e32 v5, v5
	v_mov_b32_e32 v43, v42
	v_mul_u32_u24_sdwa v3, v3, v40 dst_sel:DWORD dst_unused:UNUSED_PAD src0_sel:WORD_0 src1_sel:DWORD
	v_add_f32_e32 v1, v1, v4
	v_sub_f32_e32 v4, v7, v10
	v_fma_f32 v7, 0x3fb8aa3b, v8, -v11
	v_sub_f32_e32 v11, v11, v14
	v_cvt_i32_f32_e32 v10, v10
	v_exp_f32_e32 v1, v1
	v_add_f32_e32 v4, v4, v9
	v_fmac_f32_e32 v7, 0x32a5705f, v8
	v_fma_f32 v9, 0x3fb8aa3b, v12, -v13
	v_sub_f32_e32 v13, v13, v15
	v_pk_mul_f16 v135, v135, v3
	v_exp_f32_e32 v4, v4
	v_add_f32_e32 v7, v11, v7
	v_fmac_f32_e32 v9, 0x32a5705f, v12
	v_ldexp_f32 v1, v1, v5
	v_exp_f32_e32 v7, v7
	v_add_f32_e32 v5, v13, v9
	v_cvt_i32_f32_e32 v9, v14
	v_cndmask_b32_e32 v1, 0, v1, vcc_lo
	v_ldexp_f32 v4, v4, v10
	v_cmp_ngt_f32_e32 vcc_lo, 0xc2ce8ed0, v2
	v_exp_f32_e32 v5, v5
	v_cvt_i32_f32_e32 v10, v15
	v_cndmask_b32_e32 v4, 0, v4, vcc_lo
	v_cmp_nlt_f32_e32 vcc_lo, 0x42b17218, v6
	v_ldexp_f32 v6, v7, v9
	v_cndmask_b32_e32 v1, 0x7f800000, v1, vcc_lo
	v_cmp_nlt_f32_e32 vcc_lo, 0x42b17218, v2
	v_cndmask_b32_e32 v2, 0x7f800000, v4, vcc_lo
	v_cmp_ngt_f32_e32 vcc_lo, 0xc2ce8ed0, v8
	v_ldexp_f32 v4, v5, v10
	v_cvt_f16_f32_e32 v7, v2
	v_cndmask_b32_e32 v5, 0, v6, vcc_lo
	v_cmp_ngt_f32_e32 vcc_lo, 0xc2ce8ed0, v12
	v_cvt_f16_f32_e32 v6, v1
	v_cndmask_b32_e32 v4, 0, v4, vcc_lo
	v_cmp_nlt_f32_e32 vcc_lo, 0x42b17218, v8
	v_cndmask_b32_e32 v33, 0x7f800000, v5, vcc_lo
	v_cmp_nlt_f32_e32 vcc_lo, 0x42b17218, v12
	v_mul_u32_u24_sdwa v5, v6, v40 dst_sel:DWORD dst_unused:UNUSED_PAD src0_sel:WORD_0 src1_sel:DWORD
	v_fmac_f32_e32 v33, v41, v1
	v_cndmask_b32_e32 v34, 0x7f800000, v4, vcc_lo
	v_mul_u32_u24_sdwa v4, v7, v40 dst_sel:DWORD dst_unused:UNUSED_PAD src0_sel:WORD_0 src1_sel:DWORD
	v_pk_mul_f16 v134, v134, v5
	v_mov_b32_e32 v41, v33
	v_fmac_f32_e32 v34, v39, v2
	v_pk_mul_f16 v133, v133, v4
	v_mov_b32_e32 v1, v17
	v_mov_b32_e32 v2, v18
	;; [unrolled: 1-line block ×19, first 2 shown]
.LBB0_13:
	s_mov_b32 s0, exec_lo
	s_waitcnt vmcnt(0)
	v_cmpx_gt_i32_e64 s2, v173
	s_cbranch_execz .LBB0_86
; %bb.14:
	s_load_dword s1, s[4:5], 0xd4
	v_mov_b32_e32 v20, 1.0
	s_waitcnt lgkmcnt(0)
	s_cmp_lg_u32 s1, 1
	s_cselect_b32 s6, -1, 0
	s_cmp_eq_u32 s1, 1
	s_cselect_b32 s4, -1, 0
	s_and_b32 vcc_lo, exec_lo, s6
	s_cbranch_vccnz .LBB0_16
; %bb.15:
	v_div_scale_f32 v0, null, v65, v65, 1.0
	v_rcp_f32_e32 v17, v0
	v_fma_f32 v18, -v0, v17, 1.0
	v_fmac_f32_e32 v17, v18, v17
	v_div_scale_f32 v18, vcc_lo, 1.0, v65, 1.0
	v_mul_f32_e32 v19, v18, v17
	v_fma_f32 v20, -v0, v19, v18
	v_fmac_f32_e32 v19, v20, v17
	v_fma_f32 v0, -v0, v19, v18
	v_div_fmas_f32 v0, v0, v17, v19
	v_div_fixup_f32 v20, v0, v65, 1.0
.LBB0_16:
	s_mul_i32 s5, s29, s2
	v_mov_b32_e32 v22, 0
	s_add_i32 s5, s5, s33
	v_cmp_eq_u32_e32 vcc_lo, 0, v78
	v_add_nc_u32_e32 v0, s5, v172
	s_and_b32 s7, vcc_lo, s6
	v_mul_lo_u32 v19, v0, s3
	v_add_nc_u32_e32 v0, s30, v19
	v_mad_u64_u32 v[17:18], null, s1, v0, s[28:29]
	v_cvt_f32_f16_e32 v0, v163
	v_cvt_f32_f16_sdwa v18, v163 dst_sel:DWORD dst_unused:UNUSED_PAD src0_sel:WORD_1
	v_mul_f32_e32 v23, v20, v0
	v_lshl_add_u32 v21, v17, 6, v66
	v_mul_f32_e32 v24, v20, v18
	v_lshlrev_b64 v[21:22], 2, v[21:22]
	v_add_co_u32 v20, s0, s20, v21
	v_add_co_ci_u32_e64 v21, null, s21, v22, s0
	global_store_dwordx2 v[20:21], v[23:24], off
	s_and_saveexec_b32 s0, s7
	s_cbranch_execz .LBB0_18
; %bb.17:
	v_ashrrev_i32_e32 v18, 31, v17
	v_mov_b32_e32 v64, v1
	v_lshlrev_b64 v[17:18], 3, v[17:18]
	v_add_co_u32 v17, vcc_lo, s22, v17
	v_add_co_ci_u32_e64 v18, null, s23, v18, vcc_lo
	global_store_dwordx2 v[17:18], v[64:65], off
.LBB0_18:
	s_or_b32 exec_lo, exec_lo, s0
	v_cndmask_b32_e64 v17, 0, 1, s4
	v_mov_b32_e32 v18, 1.0
	s_andn2_b32 vcc_lo, exec_lo, s4
	s_cbranch_vccnz .LBB0_20
; %bb.19:
	v_div_scale_f32 v0, null, v63, v63, 1.0
	v_rcp_f32_e32 v1, v0
	v_fma_f32 v18, -v0, v1, 1.0
	v_fmac_f32_e32 v1, v18, v1
	v_div_scale_f32 v18, vcc_lo, 1.0, v63, 1.0
	v_mul_f32_e32 v20, v18, v1
	v_fma_f32 v21, -v0, v20, v18
	v_fmac_f32_e32 v20, v21, v1
	v_fma_f32 v0, -v0, v20, v18
	v_div_fmas_f32 v0, v0, v1, v20
	v_div_fixup_f32 v18, v0, v63, 1.0
.LBB0_20:
	s_add_i32 s14, s30, 1
	v_mov_b32_e32 v21, 0
	v_add_nc_u32_e32 v0, s14, v19
	v_cvt_f32_f16_sdwa v23, v158 dst_sel:DWORD dst_unused:UNUSED_PAD src0_sel:WORD_1
	v_mad_u64_u32 v[0:1], null, s1, v0, s[28:29]
	v_cvt_f32_f16_e32 v1, v158
	v_mul_f32_e32 v23, v18, v23
	v_mul_f32_e32 v22, v18, v1
	v_lshl_add_u32 v20, v0, 6, v66
	v_lshlrev_b64 v[20:21], 2, v[20:21]
	v_add_co_u32 v20, vcc_lo, s20, v20
	v_add_co_ci_u32_e64 v21, null, s21, v21, vcc_lo
	global_store_dwordx2 v[20:21], v[22:23], off
	s_and_saveexec_b32 s0, s7
	s_cbranch_execz .LBB0_22
; %bb.21:
	v_ashrrev_i32_e32 v1, 31, v0
	v_mov_b32_e32 v62, v2
	v_lshlrev_b64 v[0:1], 3, v[0:1]
	v_add_co_u32 v0, vcc_lo, s22, v0
	v_add_co_ci_u32_e64 v1, null, s23, v1, vcc_lo
	global_store_dwordx2 v[0:1], v[62:63], off
.LBB0_22:
	s_or_b32 exec_lo, exec_lo, s0
	v_cmp_ne_u32_e32 vcc_lo, 1, v17
	v_mov_b32_e32 v2, 1.0
	s_cbranch_vccnz .LBB0_24
; %bb.23:
	v_div_scale_f32 v0, null, v61, v61, 1.0
	v_rcp_f32_e32 v1, v0
	v_fma_f32 v2, -v0, v1, 1.0
	v_fmac_f32_e32 v1, v2, v1
	v_div_scale_f32 v2, vcc_lo, 1.0, v61, 1.0
	v_mul_f32_e32 v18, v2, v1
	v_fma_f32 v20, -v0, v18, v2
	v_fmac_f32_e32 v18, v20, v1
	v_fma_f32 v0, -v0, v18, v2
	v_div_fmas_f32 v0, v0, v1, v18
	v_div_fixup_f32 v2, v0, v61, 1.0
.LBB0_24:
	s_add_i32 s12, s30, 2
	v_mov_b32_e32 v21, 0
	v_add_nc_u32_e32 v0, s12, v19
	v_cvt_f32_f16_sdwa v18, v152 dst_sel:DWORD dst_unused:UNUSED_PAD src0_sel:WORD_1
	v_mad_u64_u32 v[0:1], null, s1, v0, s[28:29]
	v_cvt_f32_f16_e32 v1, v152
	v_mul_f32_e32 v1, v2, v1
	v_lshl_add_u32 v20, v0, 6, v66
	v_mul_f32_e32 v2, v2, v18
	v_lshlrev_b64 v[20:21], 2, v[20:21]
	v_add_co_u32 v20, vcc_lo, s20, v20
	v_add_co_ci_u32_e64 v21, null, s21, v21, vcc_lo
	global_store_dwordx2 v[20:21], v[1:2], off
	s_and_saveexec_b32 s0, s7
	s_cbranch_execz .LBB0_26
; %bb.25:
	v_ashrrev_i32_e32 v1, 31, v0
	v_mov_b32_e32 v60, v3
	v_lshlrev_b64 v[0:1], 3, v[0:1]
	v_add_co_u32 v0, vcc_lo, s22, v0
	v_add_co_ci_u32_e64 v1, null, s23, v1, vcc_lo
	global_store_dwordx2 v[0:1], v[60:61], off
.LBB0_26:
	s_or_b32 exec_lo, exec_lo, s0
	v_cmp_ne_u32_e32 vcc_lo, 1, v17
	v_mov_b32_e32 v2, 1.0
	s_cbranch_vccnz .LBB0_28
; %bb.27:
	v_div_scale_f32 v0, null, v59, v59, 1.0
	v_rcp_f32_e32 v1, v0
	v_fma_f32 v2, -v0, v1, 1.0
	v_fmac_f32_e32 v1, v2, v1
	v_div_scale_f32 v2, vcc_lo, 1.0, v59, 1.0
	v_mul_f32_e32 v3, v2, v1
	v_fma_f32 v18, -v0, v3, v2
	v_fmac_f32_e32 v3, v18, v1
	v_fma_f32 v0, -v0, v3, v2
	v_div_fmas_f32 v0, v0, v1, v3
	v_div_fixup_f32 v2, v0, v59, 1.0
.LBB0_28:
	s_add_i32 s10, s30, 3
	v_mov_b32_e32 v21, 0
	v_add_nc_u32_e32 v0, s10, v19
	v_cvt_f32_f16_sdwa v3, v151 dst_sel:DWORD dst_unused:UNUSED_PAD src0_sel:WORD_1
	v_mad_u64_u32 v[0:1], null, s1, v0, s[28:29]
	v_cvt_f32_f16_e32 v1, v151
	v_mul_f32_e32 v1, v2, v1
	v_lshl_add_u32 v20, v0, 6, v66
	v_mul_f32_e32 v2, v2, v3
	;; [unrolled: 40-line block ×6, first 2 shown]
	v_lshlrev_b64 v[3:4], 2, v[3:4]
	v_add_co_u32 v3, vcc_lo, s20, v3
	v_add_co_ci_u32_e64 v4, null, s21, v4, vcc_lo
	global_store_dwordx2 v[3:4], v[1:2], off
	s_and_saveexec_b32 s9, s7
	s_cbranch_execz .LBB0_46
; %bb.45:
	v_ashrrev_i32_e32 v1, 31, v0
	v_mov_b32_e32 v50, v8
	v_lshlrev_b64 v[0:1], 3, v[0:1]
	v_add_co_u32 v0, vcc_lo, s22, v0
	v_add_co_ci_u32_e64 v1, null, s23, v1, vcc_lo
	global_store_dwordx2 v[0:1], v[50:51], off
.LBB0_46:
	s_or_b32 exec_lo, exec_lo, s9
	v_cmp_gt_i32_e32 vcc_lo, s2, v170
	s_and_b32 exec_lo, exec_lo, vcc_lo
	s_cbranch_execz .LBB0_86
; %bb.47:
	v_cmp_ne_u32_e32 vcc_lo, 1, v17
	v_mov_b32_e32 v2, 1.0
	s_cbranch_vccnz .LBB0_49
; %bb.48:
	v_div_scale_f32 v0, null, v49, v49, 1.0
	v_rcp_f32_e32 v1, v0
	v_fma_f32 v2, -v0, v1, 1.0
	v_fmac_f32_e32 v1, v2, v1
	v_div_scale_f32 v2, vcc_lo, 1.0, v49, 1.0
	v_mul_f32_e32 v3, v2, v1
	v_fma_f32 v4, -v0, v3, v2
	v_fmac_f32_e32 v3, v4, v1
	v_fma_f32 v0, -v0, v3, v2
	v_div_fmas_f32 v0, v0, v1, v3
	v_div_fixup_f32 v2, v0, v49, 1.0
.LBB0_49:
	v_add_nc_u32_e32 v0, s5, v166
	v_mov_b32_e32 v4, 0
	v_cvt_f32_f16_sdwa v5, v140 dst_sel:DWORD dst_unused:UNUSED_PAD src0_sel:WORD_1
	v_mad_u64_u32 v[0:1], null, v0, s3, s[30:31]
	v_mad_u64_u32 v[0:1], null, s1, v0, s[28:29]
	v_cvt_f32_f16_e32 v1, v140
	v_mul_f32_e32 v1, v2, v1
	v_lshl_add_u32 v3, v0, 6, v66
	v_mul_f32_e32 v2, v2, v5
	v_lshlrev_b64 v[3:4], 2, v[3:4]
	v_add_co_u32 v3, vcc_lo, s20, v3
	v_add_co_ci_u32_e64 v4, null, s21, v4, vcc_lo
	global_store_dwordx2 v[3:4], v[1:2], off
	s_and_saveexec_b32 s9, s7
	s_cbranch_execz .LBB0_51
; %bb.50:
	v_ashrrev_i32_e32 v1, 31, v0
	v_mov_b32_e32 v48, v9
	v_lshlrev_b64 v[0:1], 3, v[0:1]
	v_add_co_u32 v0, vcc_lo, s22, v0
	v_add_co_ci_u32_e64 v1, null, s23, v1, vcc_lo
	global_store_dwordx2 v[0:1], v[48:49], off
.LBB0_51:
	s_or_b32 exec_lo, exec_lo, s9
	v_cmp_gt_i32_e32 vcc_lo, s2, v169
	s_and_b32 exec_lo, exec_lo, vcc_lo
	s_cbranch_execz .LBB0_86
; %bb.52:
	v_cmp_ne_u32_e32 vcc_lo, 1, v17
	v_mov_b32_e32 v2, 1.0
	s_cbranch_vccnz .LBB0_54
; %bb.53:
	v_div_scale_f32 v0, null, v29, v29, 1.0
	v_rcp_f32_e32 v1, v0
	v_fma_f32 v2, -v0, v1, 1.0
	v_fmac_f32_e32 v1, v2, v1
	v_div_scale_f32 v2, vcc_lo, 1.0, v29, 1.0
	v_mul_f32_e32 v3, v2, v1
	v_fma_f32 v4, -v0, v3, v2
	v_fmac_f32_e32 v3, v4, v1
	v_fma_f32 v0, -v0, v3, v2
	v_div_fmas_f32 v0, v0, v1, v3
	v_div_fixup_f32 v2, v0, v29, 1.0
.LBB0_54:
	v_add_nc_u32_e32 v0, s5, v167
	v_mov_b32_e32 v4, 0
	v_cvt_f32_f16_sdwa v5, v139 dst_sel:DWORD dst_unused:UNUSED_PAD src0_sel:WORD_1
	v_mad_u64_u32 v[0:1], null, v0, s3, s[14:15]
	v_mad_u64_u32 v[0:1], null, s1, v0, s[28:29]
	v_cvt_f32_f16_e32 v1, v139
	v_mul_f32_e32 v1, v2, v1
	v_lshl_add_u32 v3, v0, 6, v66
	v_mul_f32_e32 v2, v2, v5
	;; [unrolled: 44-line block ×8, first 2 shown]
	v_lshlrev_b64 v[3:4], 2, v[3:4]
	v_add_co_u32 v3, vcc_lo, s20, v3
	v_add_co_ci_u32_e64 v4, null, s21, v4, vcc_lo
	global_store_dwordx2 v[3:4], v[1:2], off
	s_and_b32 exec_lo, exec_lo, s7
	s_cbranch_execz .LBB0_86
; %bb.85:
	v_ashrrev_i32_e32 v1, 31, v0
	v_mov_b32_e32 v38, v16
	v_lshlrev_b64 v[0:1], 3, v[0:1]
	v_add_co_u32 v0, vcc_lo, s22, v0
	v_add_co_ci_u32_e64 v1, null, s23, v1, vcc_lo
	global_store_dwordx2 v[0:1], v[38:39], off
.LBB0_86:
	s_endpgm
	.section	.rodata,"a",@progbits
	.p2align	6, 0x0
	.amdhsa_kernel _ZL15flash_attn_tileILi64ELi64ELi8ELi8ELb0EEvPKcS1_S1_S1_S1_PKiPfP15HIP_vector_typeIfLj2EEffffjfiS5_IjLj3EEiiiiiiiiiiiliiliiiiil
		.amdhsa_group_segment_fixed_size 25600
		.amdhsa_private_segment_fixed_size 108
		.amdhsa_kernarg_size 464
		.amdhsa_user_sgpr_count 6
		.amdhsa_user_sgpr_private_segment_buffer 1
		.amdhsa_user_sgpr_dispatch_ptr 0
		.amdhsa_user_sgpr_queue_ptr 0
		.amdhsa_user_sgpr_kernarg_segment_ptr 1
		.amdhsa_user_sgpr_dispatch_id 0
		.amdhsa_user_sgpr_flat_scratch_init 0
		.amdhsa_user_sgpr_private_segment_size 0
		.amdhsa_wavefront_size32 1
		.amdhsa_uses_dynamic_stack 0
		.amdhsa_system_sgpr_private_segment_wavefront_offset 1
		.amdhsa_system_sgpr_workgroup_id_x 1
		.amdhsa_system_sgpr_workgroup_id_y 1
		.amdhsa_system_sgpr_workgroup_id_z 1
		.amdhsa_system_sgpr_workgroup_info 0
		.amdhsa_system_vgpr_workitem_id 1
		.amdhsa_next_free_vgpr 192
		.amdhsa_next_free_sgpr 56
		.amdhsa_reserve_vcc 1
		.amdhsa_reserve_flat_scratch 0
		.amdhsa_float_round_mode_32 0
		.amdhsa_float_round_mode_16_64 0
		.amdhsa_float_denorm_mode_32 3
		.amdhsa_float_denorm_mode_16_64 3
		.amdhsa_dx10_clamp 1
		.amdhsa_ieee_mode 1
		.amdhsa_fp16_overflow 0
		.amdhsa_workgroup_processor_mode 1
		.amdhsa_memory_ordered 1
		.amdhsa_forward_progress 1
		.amdhsa_shared_vgpr_count 0
		.amdhsa_exception_fp_ieee_invalid_op 0
		.amdhsa_exception_fp_denorm_src 0
		.amdhsa_exception_fp_ieee_div_zero 0
		.amdhsa_exception_fp_ieee_overflow 0
		.amdhsa_exception_fp_ieee_underflow 0
		.amdhsa_exception_fp_ieee_inexact 0
		.amdhsa_exception_int_div_zero 0
	.end_amdhsa_kernel
	.section	.text._ZL15flash_attn_tileILi64ELi64ELi8ELi8ELb0EEvPKcS1_S1_S1_S1_PKiPfP15HIP_vector_typeIfLj2EEffffjfiS5_IjLj3EEiiiiiiiiiiiliiliiiiil,"axG",@progbits,_ZL15flash_attn_tileILi64ELi64ELi8ELi8ELb0EEvPKcS1_S1_S1_S1_PKiPfP15HIP_vector_typeIfLj2EEffffjfiS5_IjLj3EEiiiiiiiiiiiliiliiiiil,comdat
.Lfunc_end0:
	.size	_ZL15flash_attn_tileILi64ELi64ELi8ELi8ELb0EEvPKcS1_S1_S1_S1_PKiPfP15HIP_vector_typeIfLj2EEffffjfiS5_IjLj3EEiiiiiiiiiiiliiliiiiil, .Lfunc_end0-_ZL15flash_attn_tileILi64ELi64ELi8ELi8ELb0EEvPKcS1_S1_S1_S1_PKiPfP15HIP_vector_typeIfLj2EEffffjfiS5_IjLj3EEiiiiiiiiiiiliiliiiiil
                                        ; -- End function
	.set _ZL15flash_attn_tileILi64ELi64ELi8ELi8ELb0EEvPKcS1_S1_S1_S1_PKiPfP15HIP_vector_typeIfLj2EEffffjfiS5_IjLj3EEiiiiiiiiiiiliiliiiiil.num_vgpr, 192
	.set _ZL15flash_attn_tileILi64ELi64ELi8ELi8ELb0EEvPKcS1_S1_S1_S1_PKiPfP15HIP_vector_typeIfLj2EEffffjfiS5_IjLj3EEiiiiiiiiiiiliiliiiiil.num_agpr, 0
	.set _ZL15flash_attn_tileILi64ELi64ELi8ELi8ELb0EEvPKcS1_S1_S1_S1_PKiPfP15HIP_vector_typeIfLj2EEffffjfiS5_IjLj3EEiiiiiiiiiiiliiliiiiil.numbered_sgpr, 56
	.set _ZL15flash_attn_tileILi64ELi64ELi8ELi8ELb0EEvPKcS1_S1_S1_S1_PKiPfP15HIP_vector_typeIfLj2EEffffjfiS5_IjLj3EEiiiiiiiiiiiliiliiiiil.num_named_barrier, 0
	.set _ZL15flash_attn_tileILi64ELi64ELi8ELi8ELb0EEvPKcS1_S1_S1_S1_PKiPfP15HIP_vector_typeIfLj2EEffffjfiS5_IjLj3EEiiiiiiiiiiiliiliiiiil.private_seg_size, 108
	.set _ZL15flash_attn_tileILi64ELi64ELi8ELi8ELb0EEvPKcS1_S1_S1_S1_PKiPfP15HIP_vector_typeIfLj2EEffffjfiS5_IjLj3EEiiiiiiiiiiiliiliiiiil.uses_vcc, 1
	.set _ZL15flash_attn_tileILi64ELi64ELi8ELi8ELb0EEvPKcS1_S1_S1_S1_PKiPfP15HIP_vector_typeIfLj2EEffffjfiS5_IjLj3EEiiiiiiiiiiiliiliiiiil.uses_flat_scratch, 0
	.set _ZL15flash_attn_tileILi64ELi64ELi8ELi8ELb0EEvPKcS1_S1_S1_S1_PKiPfP15HIP_vector_typeIfLj2EEffffjfiS5_IjLj3EEiiiiiiiiiiiliiliiiiil.has_dyn_sized_stack, 0
	.set _ZL15flash_attn_tileILi64ELi64ELi8ELi8ELb0EEvPKcS1_S1_S1_S1_PKiPfP15HIP_vector_typeIfLj2EEffffjfiS5_IjLj3EEiiiiiiiiiiiliiliiiiil.has_recursion, 0
	.set _ZL15flash_attn_tileILi64ELi64ELi8ELi8ELb0EEvPKcS1_S1_S1_S1_PKiPfP15HIP_vector_typeIfLj2EEffffjfiS5_IjLj3EEiiiiiiiiiiiliiliiiiil.has_indirect_call, 0
	.section	.AMDGPU.csdata,"",@progbits
; Kernel info:
; codeLenInByte = 61360
; TotalNumSgprs: 58
; NumVgprs: 192
; ScratchSize: 108
; MemoryBound: 0
; FloatMode: 240
; IeeeMode: 1
; LDSByteSize: 25600 bytes/workgroup (compile time only)
; SGPRBlocks: 0
; VGPRBlocks: 23
; NumSGPRsForWavesPerEU: 58
; NumVGPRsForWavesPerEU: 192
; Occupancy: 5
; WaveLimiterHint : 0
; COMPUTE_PGM_RSRC2:SCRATCH_EN: 1
; COMPUTE_PGM_RSRC2:USER_SGPR: 6
; COMPUTE_PGM_RSRC2:TRAP_HANDLER: 0
; COMPUTE_PGM_RSRC2:TGID_X_EN: 1
; COMPUTE_PGM_RSRC2:TGID_Y_EN: 1
; COMPUTE_PGM_RSRC2:TGID_Z_EN: 1
; COMPUTE_PGM_RSRC2:TIDIG_COMP_CNT: 1
	.section	.text._ZL25flash_attn_mask_to_KV_maxILi8EEvPK7__half2Piiii,"axG",@progbits,_ZL25flash_attn_mask_to_KV_maxILi8EEvPK7__half2Piiii,comdat
	.globl	_ZL25flash_attn_mask_to_KV_maxILi8EEvPK7__half2Piiii ; -- Begin function _ZL25flash_attn_mask_to_KV_maxILi8EEvPK7__half2Piiii
	.p2align	8
	.type	_ZL25flash_attn_mask_to_KV_maxILi8EEvPK7__half2Piiii,@function
_ZL25flash_attn_mask_to_KV_maxILi8EEvPK7__half2Piiii: ; @_ZL25flash_attn_mask_to_KV_maxILi8EEvPK7__half2Piiii
; %bb.0:
	s_load_dwordx4 s[8:11], s[4:5], 0x0
	s_mov_b32 s0, exec_lo
	v_cmpx_gt_u32_e32 32, v0
; %bb.1:
	v_lshlrev_b32_e32 v1, 2, v0
	v_mov_b32_e32 v2, 1
	ds_write_b32 v1, v2
; %bb.2:
	s_or_b32 exec_lo, exec_lo, s0
	s_clause 0x1
	s_load_dwordx4 s[12:15], s[4:5], 0x10
	s_load_dword s1, s[4:5], 0x20
	v_and_b32_e32 v1, 31, v0
	v_lshrrev_b32_e32 v5, 3, v0
	v_mov_b32_e32 v2, 0
	v_mov_b32_e32 v6, 0x204
	s_waitcnt lgkmcnt(0)
	v_lshlrev_b32_e32 v7, 2, v1
	s_barrier
	buffer_gl0_inv
	s_mul_i32 s0, s6, s13
	s_mul_i32 s2, s14, s7
	s_lshl_b32 s0, s0, 3
	s_add_i32 s2, s2, s0
	v_cmp_eq_u32_e64 s0, 0, v1
	s_ashr_i32 s3, s2, 31
	s_lshl_b64 s[4:5], s[2:3], 2
	s_add_u32 s3, s8, s4
	s_addc_u32 s4, s9, s5
	s_lshl_b32 s5, s12, 8
	s_branch .LBB1_4
.LBB1_3:                                ;   in Loop: Header=BB1_4 Depth=1
	s_or_b32 exec_lo, exec_lo, s8
	s_waitcnt lgkmcnt(0)
	s_barrier
	buffer_gl0_inv
	ds_read_b32 v1, v7
	s_waitcnt lgkmcnt(0)
	s_barrier
	buffer_gl0_inv
	v_cmp_ne_u32_e32 vcc_lo, 0, v1
	s_cmp_lg_u32 vcc_lo, exec_lo
	s_cselect_b32 s8, -1, 0
	s_and_b32 vcc_lo, exec_lo, s8
	s_cbranch_vccnz .LBB1_36
.LBB1_4:                                ; =>This Inner Loop Header: Depth=1
	s_mov_b32 s2, s5
	s_addk_i32 s5, 0xff00
	s_cmp_lt_i32 s5, 0
	s_cbranch_scc1 .LBB1_35
; %bb.5:                                ;   in Loop: Header=BB1_4 Depth=1
	s_lshr_b32 s8, s5, 1
	v_add_nc_u32_e32 v1, s8, v0
	v_lshlrev_b64 v[3:4], 2, v[1:2]
	v_add_co_u32 v3, vcc_lo, s3, v3
	v_add_co_ci_u32_e64 v4, null, s4, v4, vcc_lo
	global_load_dword v3, v[3:4], off
	s_waitcnt vmcnt(0)
	v_cmp_class_f16_e64 s8, v3, 0x204
	v_cmp_class_f16_sdwa s9, v3, v6 src0_sel:WORD_1 src1_sel:DWORD
	s_and_b32 s12, s8, s9
	s_mov_b32 s9, 0
	s_and_saveexec_b32 s8, s12
	s_cbranch_execz .LBB1_33
; %bb.6:                                ;   in Loop: Header=BB1_4 Depth=1
	v_add_nc_u32_e32 v3, s13, v1
	s_mov_b32 s12, 0
	v_ashrrev_i32_e32 v4, 31, v3
	v_lshlrev_b64 v[8:9], 2, v[3:4]
	v_add_co_u32 v8, vcc_lo, s3, v8
	v_add_co_ci_u32_e64 v9, null, s4, v9, vcc_lo
	global_load_dword v1, v[8:9], off
	s_waitcnt vmcnt(0)
	v_cmp_class_f16_e64 s14, v1, 0x204
	s_and_saveexec_b32 s9, s14
	s_cbranch_execz .LBB1_32
; %bb.7:                                ;   in Loop: Header=BB1_4 Depth=1
	v_cmp_class_f16_sdwa s15, v1, v6 src0_sel:WORD_1 src1_sel:DWORD
	s_mov_b32 s14, 0
	s_and_saveexec_b32 s12, s15
	s_cbranch_execz .LBB1_31
; %bb.8:                                ;   in Loop: Header=BB1_4 Depth=1
	v_add_nc_u32_e32 v3, s13, v3
	s_mov_b32 s15, 0
	v_ashrrev_i32_e32 v4, 31, v3
	v_lshlrev_b64 v[8:9], 2, v[3:4]
	v_add_co_u32 v8, vcc_lo, s3, v8
	v_add_co_ci_u32_e64 v9, null, s4, v9, vcc_lo
	global_load_dword v1, v[8:9], off
	s_waitcnt vmcnt(0)
	v_cmp_class_f16_e64 s16, v1, 0x204
	s_and_saveexec_b32 s14, s16
	s_cbranch_execz .LBB1_30
; %bb.9:                                ;   in Loop: Header=BB1_4 Depth=1
	v_cmp_class_f16_sdwa s17, v1, v6 src0_sel:WORD_1 src1_sel:DWORD
	s_mov_b32 s16, 0
	s_and_saveexec_b32 s15, s17
	s_cbranch_execz .LBB1_29
; %bb.10:                               ;   in Loop: Header=BB1_4 Depth=1
	v_add_nc_u32_e32 v3, s13, v3
	s_mov_b32 s17, 0
	v_ashrrev_i32_e32 v4, 31, v3
	v_lshlrev_b64 v[8:9], 2, v[3:4]
	v_add_co_u32 v8, vcc_lo, s3, v8
	v_add_co_ci_u32_e64 v9, null, s4, v9, vcc_lo
	global_load_dword v1, v[8:9], off
	s_waitcnt vmcnt(0)
	v_cmp_class_f16_e64 s18, v1, 0x204
	s_and_saveexec_b32 s16, s18
	s_cbranch_execz .LBB1_28
; %bb.11:                               ;   in Loop: Header=BB1_4 Depth=1
	v_cmp_class_f16_sdwa s19, v1, v6 src0_sel:WORD_1 src1_sel:DWORD
	s_mov_b32 s18, 0
	s_and_saveexec_b32 s17, s19
	s_cbranch_execz .LBB1_27
; %bb.12:                               ;   in Loop: Header=BB1_4 Depth=1
	v_add_nc_u32_e32 v3, s13, v3
	s_mov_b32 s19, 0
	v_ashrrev_i32_e32 v4, 31, v3
	v_lshlrev_b64 v[8:9], 2, v[3:4]
	v_add_co_u32 v8, vcc_lo, s3, v8
	v_add_co_ci_u32_e64 v9, null, s4, v9, vcc_lo
	global_load_dword v1, v[8:9], off
	s_waitcnt vmcnt(0)
	v_cmp_class_f16_e64 s20, v1, 0x204
	s_and_saveexec_b32 s18, s20
	s_cbranch_execz .LBB1_26
; %bb.13:                               ;   in Loop: Header=BB1_4 Depth=1
	;; [unrolled: 17-line block ×4, first 2 shown]
	v_cmp_class_f16_sdwa s25, v1, v6 src0_sel:WORD_1 src1_sel:DWORD
	s_mov_b32 s24, 0
	s_and_saveexec_b32 s23, s25
	s_cbranch_execz .LBB1_21
; %bb.18:                               ;   in Loop: Header=BB1_4 Depth=1
	v_add_nc_u32_e32 v3, s13, v3
	v_ashrrev_i32_e32 v4, 31, v3
	v_lshlrev_b64 v[3:4], 2, v[3:4]
	v_add_co_u32 v3, vcc_lo, s3, v3
	v_add_co_ci_u32_e64 v4, null, s4, v4, vcc_lo
	global_load_dword v1, v[3:4], off
	s_waitcnt vmcnt(0)
	v_cmp_class_f16_e64 s26, v1, 0x204
	s_and_saveexec_b32 s25, s26
; %bb.19:                               ;   in Loop: Header=BB1_4 Depth=1
	v_cmp_class_f16_sdwa s24, v1, v6 src0_sel:WORD_1 src1_sel:DWORD
	s_and_b32 s24, s24, exec_lo
; %bb.20:                               ;   in Loop: Header=BB1_4 Depth=1
	s_or_b32 exec_lo, exec_lo, s25
	s_and_b32 s24, s24, exec_lo
.LBB1_21:                               ;   in Loop: Header=BB1_4 Depth=1
	s_or_b32 exec_lo, exec_lo, s23
	s_and_b32 s23, s24, exec_lo
.LBB1_22:                               ;   in Loop: Header=BB1_4 Depth=1
	s_or_b32 exec_lo, exec_lo, s22
	s_and_b32 s22, s23, exec_lo
.LBB1_23:                               ;   in Loop: Header=BB1_4 Depth=1
	s_or_b32 exec_lo, exec_lo, s21
	s_and_b32 s21, s22, exec_lo
.LBB1_24:                               ;   in Loop: Header=BB1_4 Depth=1
	s_or_b32 exec_lo, exec_lo, s20
	s_and_b32 s20, s21, exec_lo
.LBB1_25:                               ;   in Loop: Header=BB1_4 Depth=1
	s_or_b32 exec_lo, exec_lo, s19
	s_and_b32 s19, s20, exec_lo
.LBB1_26:                               ;   in Loop: Header=BB1_4 Depth=1
	s_or_b32 exec_lo, exec_lo, s18
	s_and_b32 s18, s19, exec_lo
.LBB1_27:                               ;   in Loop: Header=BB1_4 Depth=1
	s_or_b32 exec_lo, exec_lo, s17
	s_and_b32 s17, s18, exec_lo
.LBB1_28:                               ;   in Loop: Header=BB1_4 Depth=1
	s_or_b32 exec_lo, exec_lo, s16
	s_and_b32 s16, s17, exec_lo
.LBB1_29:                               ;   in Loop: Header=BB1_4 Depth=1
	s_or_b32 exec_lo, exec_lo, s15
	s_and_b32 s15, s16, exec_lo
.LBB1_30:                               ;   in Loop: Header=BB1_4 Depth=1
	s_or_b32 exec_lo, exec_lo, s14
	s_and_b32 s14, s15, exec_lo
.LBB1_31:                               ;   in Loop: Header=BB1_4 Depth=1
	s_or_b32 exec_lo, exec_lo, s12
	s_and_b32 s12, s14, exec_lo
.LBB1_32:                               ;   in Loop: Header=BB1_4 Depth=1
	s_or_b32 exec_lo, exec_lo, s9
	s_and_b32 s9, s12, exec_lo
.LBB1_33:                               ;   in Loop: Header=BB1_4 Depth=1
	s_or_b32 exec_lo, exec_lo, s8
	v_cndmask_b32_e64 v1, 0, 1, s9
	s_mov_b32 s12, exec_lo
	v_cmp_ne_u32_e32 vcc_lo, 0, v1
	s_and_saveexec_b32 s8, s0
	s_cbranch_execz .LBB1_3
; %bb.34:                               ;   in Loop: Header=BB1_4 Depth=1
	s_cmp_eq_u32 vcc_lo, s12
	s_cselect_b32 s9, -1, 0
	v_cndmask_b32_e64 v1, 0, 1, s9
	ds_write_b32 v5, v1
	s_branch .LBB1_3
.LBB1_35:                               ;   in Loop: Header=BB1_4 Depth=1
	s_cbranch_execz .LBB1_4
.LBB1_36:
	s_mov_b32 s0, exec_lo
	v_cmpx_eq_u32_e32 0, v0
	s_cbranch_execz .LBB1_38
; %bb.37:
	s_mul_i32 s0, s1, s7
	v_mov_b32_e32 v0, 0
	s_add_i32 s0, s0, s6
	v_mov_b32_e32 v1, s2
	s_ashr_i32 s1, s0, 31
	s_lshl_b64 s[0:1], s[0:1], 2
	s_add_u32 s0, s10, s0
	s_addc_u32 s1, s11, s1
	global_store_dword v0, v1, s[0:1]
.LBB1_38:
	s_endpgm
	.section	.rodata,"a",@progbits
	.p2align	6, 0x0
	.amdhsa_kernel _ZL25flash_attn_mask_to_KV_maxILi8EEvPK7__half2Piiii
		.amdhsa_group_segment_fixed_size 128
		.amdhsa_private_segment_fixed_size 0
		.amdhsa_kernarg_size 288
		.amdhsa_user_sgpr_count 6
		.amdhsa_user_sgpr_private_segment_buffer 1
		.amdhsa_user_sgpr_dispatch_ptr 0
		.amdhsa_user_sgpr_queue_ptr 0
		.amdhsa_user_sgpr_kernarg_segment_ptr 1
		.amdhsa_user_sgpr_dispatch_id 0
		.amdhsa_user_sgpr_flat_scratch_init 0
		.amdhsa_user_sgpr_private_segment_size 0
		.amdhsa_wavefront_size32 1
		.amdhsa_uses_dynamic_stack 0
		.amdhsa_system_sgpr_private_segment_wavefront_offset 0
		.amdhsa_system_sgpr_workgroup_id_x 1
		.amdhsa_system_sgpr_workgroup_id_y 1
		.amdhsa_system_sgpr_workgroup_id_z 0
		.amdhsa_system_sgpr_workgroup_info 0
		.amdhsa_system_vgpr_workitem_id 0
		.amdhsa_next_free_vgpr 10
		.amdhsa_next_free_sgpr 27
		.amdhsa_reserve_vcc 1
		.amdhsa_reserve_flat_scratch 0
		.amdhsa_float_round_mode_32 0
		.amdhsa_float_round_mode_16_64 0
		.amdhsa_float_denorm_mode_32 3
		.amdhsa_float_denorm_mode_16_64 3
		.amdhsa_dx10_clamp 1
		.amdhsa_ieee_mode 1
		.amdhsa_fp16_overflow 0
		.amdhsa_workgroup_processor_mode 1
		.amdhsa_memory_ordered 1
		.amdhsa_forward_progress 1
		.amdhsa_shared_vgpr_count 0
		.amdhsa_exception_fp_ieee_invalid_op 0
		.amdhsa_exception_fp_denorm_src 0
		.amdhsa_exception_fp_ieee_div_zero 0
		.amdhsa_exception_fp_ieee_overflow 0
		.amdhsa_exception_fp_ieee_underflow 0
		.amdhsa_exception_fp_ieee_inexact 0
		.amdhsa_exception_int_div_zero 0
	.end_amdhsa_kernel
	.section	.text._ZL25flash_attn_mask_to_KV_maxILi8EEvPK7__half2Piiii,"axG",@progbits,_ZL25flash_attn_mask_to_KV_maxILi8EEvPK7__half2Piiii,comdat
.Lfunc_end1:
	.size	_ZL25flash_attn_mask_to_KV_maxILi8EEvPK7__half2Piiii, .Lfunc_end1-_ZL25flash_attn_mask_to_KV_maxILi8EEvPK7__half2Piiii
                                        ; -- End function
	.set _ZL25flash_attn_mask_to_KV_maxILi8EEvPK7__half2Piiii.num_vgpr, 10
	.set _ZL25flash_attn_mask_to_KV_maxILi8EEvPK7__half2Piiii.num_agpr, 0
	.set _ZL25flash_attn_mask_to_KV_maxILi8EEvPK7__half2Piiii.numbered_sgpr, 27
	.set _ZL25flash_attn_mask_to_KV_maxILi8EEvPK7__half2Piiii.num_named_barrier, 0
	.set _ZL25flash_attn_mask_to_KV_maxILi8EEvPK7__half2Piiii.private_seg_size, 0
	.set _ZL25flash_attn_mask_to_KV_maxILi8EEvPK7__half2Piiii.uses_vcc, 1
	.set _ZL25flash_attn_mask_to_KV_maxILi8EEvPK7__half2Piiii.uses_flat_scratch, 0
	.set _ZL25flash_attn_mask_to_KV_maxILi8EEvPK7__half2Piiii.has_dyn_sized_stack, 0
	.set _ZL25flash_attn_mask_to_KV_maxILi8EEvPK7__half2Piiii.has_recursion, 0
	.set _ZL25flash_attn_mask_to_KV_maxILi8EEvPK7__half2Piiii.has_indirect_call, 0
	.section	.AMDGPU.csdata,"",@progbits
; Kernel info:
; codeLenInByte = 1124
; TotalNumSgprs: 29
; NumVgprs: 10
; ScratchSize: 0
; MemoryBound: 0
; FloatMode: 240
; IeeeMode: 1
; LDSByteSize: 128 bytes/workgroup (compile time only)
; SGPRBlocks: 0
; VGPRBlocks: 1
; NumSGPRsForWavesPerEU: 29
; NumVGPRsForWavesPerEU: 10
; Occupancy: 16
; WaveLimiterHint : 0
; COMPUTE_PGM_RSRC2:SCRATCH_EN: 0
; COMPUTE_PGM_RSRC2:USER_SGPR: 6
; COMPUTE_PGM_RSRC2:TRAP_HANDLER: 0
; COMPUTE_PGM_RSRC2:TGID_X_EN: 1
; COMPUTE_PGM_RSRC2:TGID_Y_EN: 1
; COMPUTE_PGM_RSRC2:TGID_Z_EN: 0
; COMPUTE_PGM_RSRC2:TIDIG_COMP_CNT: 0
	.section	.text._ZL33flash_attn_stream_k_fixup_uniformILi64ELi8ELi8EEvPfPK15HIP_vector_typeIfLj2EEiiiiiiS1_IjLj3EES5_S5_,"axG",@progbits,_ZL33flash_attn_stream_k_fixup_uniformILi64ELi8ELi8EEvPfPK15HIP_vector_typeIfLj2EEiiiiiiS1_IjLj3EES5_S5_,comdat
	.globl	_ZL33flash_attn_stream_k_fixup_uniformILi64ELi8ELi8EEvPfPK15HIP_vector_typeIfLj2EEiiiiiiS1_IjLj3EES5_S5_ ; -- Begin function _ZL33flash_attn_stream_k_fixup_uniformILi64ELi8ELi8EEvPfPK15HIP_vector_typeIfLj2EEiiiiiiS1_IjLj3EES5_S5_
	.p2align	8
	.type	_ZL33flash_attn_stream_k_fixup_uniformILi64ELi8ELi8EEvPfPK15HIP_vector_typeIfLj2EEiiiiiiS1_IjLj3EES5_S5_,@function
_ZL33flash_attn_stream_k_fixup_uniformILi64ELi8ELi8EEvPfPK15HIP_vector_typeIfLj2EEiiiiiiS1_IjLj3EES5_S5_: ; @_ZL33flash_attn_stream_k_fixup_uniformILi64ELi8ELi8EEvPfPK15HIP_vector_typeIfLj2EEiiiiiiS1_IjLj3EES5_S5_
; %bb.0:
	s_clause 0x2
	s_load_dwordx8 s[12:19], s[4:5], 0x1c
	s_load_dwordx4 s[20:23], s[4:5], 0x3c
	s_load_dwordx2 s[10:11], s[4:5], 0x10
	s_waitcnt lgkmcnt(0)
	s_mul_hi_u32 s0, s15, s6
	s_add_i32 s0, s6, s0
	s_lshr_b32 s0, s0, s16
	s_mul_i32 s1, s0, s17
	s_sub_i32 s2, s6, s1
	s_mul_hi_u32 s1, s2, s18
	s_add_i32 s1, s2, s1
	s_lshr_b32 s1, s1, s19
	s_mul_i32 s3, s1, s20
	s_sub_i32 s2, s2, s3
	s_mul_hi_u32 s3, s2, s21
	s_add_i32 s3, s2, s3
	s_lshr_b32 s3, s3, s22
	s_mul_i32 s9, s3, s23
	s_lshl_b32 s15, s3, 3
	s_sub_i32 s9, s2, s9
	s_lshl_b32 s2, s9, 3
	s_add_i32 s2, s2, s7
	s_cmp_lt_i32 s2, s10
	s_cselect_b32 s2, -1, 0
	s_add_i32 s3, s15, s8
	s_cmp_lt_i32 s3, s13
	s_cselect_b32 s3, -1, 0
	s_and_b32 s2, s2, s3
	s_andn2_b32 vcc_lo, exec_lo, s2
	s_cbranch_vccnz .LBB2_6
; %bb.1:
	s_mul_i32 s0, s0, s10
	s_mul_i32 s10, s1, s13
	s_add_i32 s0, s0, s7
	s_mul_i32 s0, s0, s11
	s_add_i32 s13, s0, s8
	s_load_dwordx4 s[0:3], s[4:5], 0x0
	s_add_i32 s4, s13, s10
	s_mul_i32 s5, s11, s9
	s_add_i32 s4, s4, s15
	s_lshl_b32 s5, s5, 9
	s_lshl_b32 s4, s4, 6
	;; [unrolled: 1-line block ×3, first 2 shown]
	s_add_i32 s5, s5, s4
	s_mul_i32 s4, s14, s6
	v_or_b32_e32 v1, s5, v0
	s_add_i32 s11, s4, s14
	v_ashrrev_i32_e32 v2, 31, v1
	v_lshlrev_b64 v[1:2], 2, v[1:2]
	s_waitcnt lgkmcnt(0)
	v_add_co_u32 v1, vcc_lo, s0, v1
	v_add_co_ci_u32_e64 v2, null, s1, v2, vcc_lo
	s_add_i32 s0, s10, s8
	s_lshl_b32 s1, s11, 6
	s_add_i32 s0, s0, s1
	global_load_dword v5, v[1:2], off
	s_sub_i32 s0, s0, 64
	s_ashr_i32 s1, s0, 31
	s_lshl_b64 s[0:1], s[0:1], 3
	s_add_u32 s0, s2, s0
	s_addc_u32 s1, s3, s1
	s_add_i32 s5, s11, -2
	s_load_dword s13, s[0:1], 0x4
	s_cmp_lt_i32 s5, s4
	s_cbranch_scc1 .LBB2_4
; %bb.2:
	s_lshl_b32 s16, s12, 8
	s_load_dword s15, s[0:1], 0x0
	s_ashr_i32 s17, s16, 31
	s_waitcnt lgkmcnt(0)
	v_mov_b32_e32 v6, s13
	s_lshl_b64 s[0:1], s[16:17], 2
	s_add_u32 s5, s2, s0
	s_addc_u32 s9, s3, s1
	s_add_i32 s6, s6, 1
	s_lshl_b32 s0, s7, 9
	s_lshl_b32 s1, s8, 6
	s_mul_i32 s6, s14, s6
	s_add_i32 s0, s1, s0
	s_lshl_b32 s1, s6, 12
	s_add_i32 s0, s0, s1
	s_lshl_b32 s1, s6, 6
	v_or_b32_e32 v0, s0, v0
	s_lshl_b32 s0, s12, 6
	s_add_i32 s1, s8, s1
	s_add_i32 s6, s11, -1
	s_add_i32 s0, s1, s0
	v_add_nc_u32_e32 v3, 0xffffe000, v0
	v_mov_b32_e32 v0, s15
	s_add_i32 s0, s0, s10
	s_addk_i32 s0, 0xff80
.LBB2_3:                                ; =>This Inner Loop Header: Depth=1
	v_ashrrev_i32_e32 v4, 31, v3
	s_ashr_i32 s1, s0, 31
	s_lshl_b64 s[10:11], s[0:1], 3
	s_add_u32 s10, s2, s10
	v_lshlrev_b64 v[7:8], 2, v[3:4]
	s_addc_u32 s11, s3, s11
	v_add_nc_u32_e32 v3, 0xfffff000, v3
	s_add_i32 s6, s6, -1
	s_sub_i32 s0, s0, 64
	s_cmp_le_i32 s6, s4
	v_add_co_u32 v7, vcc_lo, s5, v7
	v_add_co_ci_u32_e64 v8, null, s9, v8, vcc_lo
	s_load_dwordx2 s[10:11], s[10:11], 0x0
	global_load_dword v4, v[7:8], off
	v_max_f32_e32 v7, v0, v0
	s_waitcnt lgkmcnt(0)
	v_max_f32_e64 v8, s10, s10
	v_max_f32_e32 v7, v7, v8
	v_sub_f32_e32 v8, s10, v7
	v_sub_f32_e32 v0, v0, v7
	v_mul_f32_e32 v9, 0x3fb8aa3b, v8
	v_mul_f32_e32 v12, 0x3fb8aa3b, v0
	v_cmp_ngt_f32_e32 vcc_lo, 0xc2ce8ed0, v8
	v_fma_f32 v10, 0x3fb8aa3b, v8, -v9
	v_rndne_f32_e32 v11, v9
	v_fma_f32 v13, 0x3fb8aa3b, v0, -v12
	v_rndne_f32_e32 v14, v12
	v_fmac_f32_e32 v10, 0x32a5705f, v8
	v_sub_f32_e32 v9, v9, v11
	v_fmac_f32_e32 v13, 0x32a5705f, v0
	v_cvt_i32_f32_e32 v11, v11
	v_add_f32_e32 v9, v9, v10
	v_sub_f32_e32 v10, v12, v14
	v_exp_f32_e32 v9, v9
	v_add_f32_e32 v10, v10, v13
	v_exp_f32_e32 v10, v10
	v_ldexp_f32 v9, v9, v11
	v_cvt_i32_f32_e32 v11, v14
	v_cndmask_b32_e32 v9, 0, v9, vcc_lo
	v_cmp_nlt_f32_e32 vcc_lo, 0x42b17218, v8
	v_ldexp_f32 v10, v10, v11
	v_mov_b32_e32 v11, v6
	v_cndmask_b32_e32 v9, 0x7f800000, v9, vcc_lo
	v_cmp_ngt_f32_e32 vcc_lo, 0xc2ce8ed0, v0
	v_cndmask_b32_e32 v10, 0, v10, vcc_lo
	v_cmp_le_f32_e32 vcc_lo, 0xc1a00000, v8
	v_cndmask_b32_e32 v8, 0, v9, vcc_lo
	v_cmp_nlt_f32_e32 vcc_lo, 0x42b17218, v0
	s_waitcnt vmcnt(1)
	v_mov_b32_e32 v9, v5
	v_cndmask_b32_e32 v5, 0x7f800000, v10, vcc_lo
	v_mul_f32_e32 v10, s11, v8
	v_cmp_le_f32_e32 vcc_lo, 0xc1a00000, v0
	v_mov_b32_e32 v0, v7
	v_mov_b32_e32 v6, v10
	v_cndmask_b32_e32 v12, 0, v5, vcc_lo
	v_fmac_f32_e32 v6, v11, v12
	s_waitcnt vmcnt(0)
	v_mul_f32_e32 v5, v4, v8
	v_fmac_f32_e32 v5, v9, v12
	s_cbranch_scc0 .LBB2_3
	s_branch .LBB2_5
.LBB2_4:
	s_waitcnt lgkmcnt(0)
	v_mov_b32_e32 v6, s13
.LBB2_5:
	s_waitcnt vmcnt(0)
	v_div_scale_f32 v0, null, v6, v6, v5
	v_rcp_f32_e32 v3, v0
	v_fma_f32 v4, -v0, v3, 1.0
	v_fmac_f32_e32 v3, v4, v3
	v_div_scale_f32 v4, vcc_lo, v5, v6, v5
	v_mul_f32_e32 v7, v4, v3
	v_fma_f32 v8, -v0, v7, v4
	v_fmac_f32_e32 v7, v8, v3
	v_fma_f32 v0, -v0, v7, v4
	v_div_fmas_f32 v0, v0, v3, v7
	v_div_fixup_f32 v0, v0, v6, v5
	global_store_dword v[1:2], v0, off
.LBB2_6:
	s_endpgm
	.section	.rodata,"a",@progbits
	.p2align	6, 0x0
	.amdhsa_kernel _ZL33flash_attn_stream_k_fixup_uniformILi64ELi8ELi8EEvPfPK15HIP_vector_typeIfLj2EEiiiiiiS1_IjLj3EES5_S5_
		.amdhsa_group_segment_fixed_size 0
		.amdhsa_private_segment_fixed_size 0
		.amdhsa_kernarg_size 76
		.amdhsa_user_sgpr_count 6
		.amdhsa_user_sgpr_private_segment_buffer 1
		.amdhsa_user_sgpr_dispatch_ptr 0
		.amdhsa_user_sgpr_queue_ptr 0
		.amdhsa_user_sgpr_kernarg_segment_ptr 1
		.amdhsa_user_sgpr_dispatch_id 0
		.amdhsa_user_sgpr_flat_scratch_init 0
		.amdhsa_user_sgpr_private_segment_size 0
		.amdhsa_wavefront_size32 1
		.amdhsa_uses_dynamic_stack 0
		.amdhsa_system_sgpr_private_segment_wavefront_offset 0
		.amdhsa_system_sgpr_workgroup_id_x 1
		.amdhsa_system_sgpr_workgroup_id_y 1
		.amdhsa_system_sgpr_workgroup_id_z 1
		.amdhsa_system_sgpr_workgroup_info 0
		.amdhsa_system_vgpr_workitem_id 0
		.amdhsa_next_free_vgpr 15
		.amdhsa_next_free_sgpr 24
		.amdhsa_reserve_vcc 1
		.amdhsa_reserve_flat_scratch 0
		.amdhsa_float_round_mode_32 0
		.amdhsa_float_round_mode_16_64 0
		.amdhsa_float_denorm_mode_32 3
		.amdhsa_float_denorm_mode_16_64 3
		.amdhsa_dx10_clamp 1
		.amdhsa_ieee_mode 1
		.amdhsa_fp16_overflow 0
		.amdhsa_workgroup_processor_mode 1
		.amdhsa_memory_ordered 1
		.amdhsa_forward_progress 1
		.amdhsa_shared_vgpr_count 0
		.amdhsa_exception_fp_ieee_invalid_op 0
		.amdhsa_exception_fp_denorm_src 0
		.amdhsa_exception_fp_ieee_div_zero 0
		.amdhsa_exception_fp_ieee_overflow 0
		.amdhsa_exception_fp_ieee_underflow 0
		.amdhsa_exception_fp_ieee_inexact 0
		.amdhsa_exception_int_div_zero 0
	.end_amdhsa_kernel
	.section	.text._ZL33flash_attn_stream_k_fixup_uniformILi64ELi8ELi8EEvPfPK15HIP_vector_typeIfLj2EEiiiiiiS1_IjLj3EES5_S5_,"axG",@progbits,_ZL33flash_attn_stream_k_fixup_uniformILi64ELi8ELi8EEvPfPK15HIP_vector_typeIfLj2EEiiiiiiS1_IjLj3EES5_S5_,comdat
.Lfunc_end2:
	.size	_ZL33flash_attn_stream_k_fixup_uniformILi64ELi8ELi8EEvPfPK15HIP_vector_typeIfLj2EEiiiiiiS1_IjLj3EES5_S5_, .Lfunc_end2-_ZL33flash_attn_stream_k_fixup_uniformILi64ELi8ELi8EEvPfPK15HIP_vector_typeIfLj2EEiiiiiiS1_IjLj3EES5_S5_
                                        ; -- End function
	.set _ZL33flash_attn_stream_k_fixup_uniformILi64ELi8ELi8EEvPfPK15HIP_vector_typeIfLj2EEiiiiiiS1_IjLj3EES5_S5_.num_vgpr, 15
	.set _ZL33flash_attn_stream_k_fixup_uniformILi64ELi8ELi8EEvPfPK15HIP_vector_typeIfLj2EEiiiiiiS1_IjLj3EES5_S5_.num_agpr, 0
	.set _ZL33flash_attn_stream_k_fixup_uniformILi64ELi8ELi8EEvPfPK15HIP_vector_typeIfLj2EEiiiiiiS1_IjLj3EES5_S5_.numbered_sgpr, 24
	.set _ZL33flash_attn_stream_k_fixup_uniformILi64ELi8ELi8EEvPfPK15HIP_vector_typeIfLj2EEiiiiiiS1_IjLj3EES5_S5_.num_named_barrier, 0
	.set _ZL33flash_attn_stream_k_fixup_uniformILi64ELi8ELi8EEvPfPK15HIP_vector_typeIfLj2EEiiiiiiS1_IjLj3EES5_S5_.private_seg_size, 0
	.set _ZL33flash_attn_stream_k_fixup_uniformILi64ELi8ELi8EEvPfPK15HIP_vector_typeIfLj2EEiiiiiiS1_IjLj3EES5_S5_.uses_vcc, 1
	.set _ZL33flash_attn_stream_k_fixup_uniformILi64ELi8ELi8EEvPfPK15HIP_vector_typeIfLj2EEiiiiiiS1_IjLj3EES5_S5_.uses_flat_scratch, 0
	.set _ZL33flash_attn_stream_k_fixup_uniformILi64ELi8ELi8EEvPfPK15HIP_vector_typeIfLj2EEiiiiiiS1_IjLj3EES5_S5_.has_dyn_sized_stack, 0
	.set _ZL33flash_attn_stream_k_fixup_uniformILi64ELi8ELi8EEvPfPK15HIP_vector_typeIfLj2EEiiiiiiS1_IjLj3EES5_S5_.has_recursion, 0
	.set _ZL33flash_attn_stream_k_fixup_uniformILi64ELi8ELi8EEvPfPK15HIP_vector_typeIfLj2EEiiiiiiS1_IjLj3EES5_S5_.has_indirect_call, 0
	.section	.AMDGPU.csdata,"",@progbits
; Kernel info:
; codeLenInByte = 848
; TotalNumSgprs: 26
; NumVgprs: 15
; ScratchSize: 0
; MemoryBound: 0
; FloatMode: 240
; IeeeMode: 1
; LDSByteSize: 0 bytes/workgroup (compile time only)
; SGPRBlocks: 0
; VGPRBlocks: 1
; NumSGPRsForWavesPerEU: 26
; NumVGPRsForWavesPerEU: 15
; Occupancy: 16
; WaveLimiterHint : 0
; COMPUTE_PGM_RSRC2:SCRATCH_EN: 0
; COMPUTE_PGM_RSRC2:USER_SGPR: 6
; COMPUTE_PGM_RSRC2:TRAP_HANDLER: 0
; COMPUTE_PGM_RSRC2:TGID_X_EN: 1
; COMPUTE_PGM_RSRC2:TGID_Y_EN: 1
; COMPUTE_PGM_RSRC2:TGID_Z_EN: 1
; COMPUTE_PGM_RSRC2:TIDIG_COMP_CNT: 0
	.section	.text._ZL33flash_attn_stream_k_fixup_generalILi64ELi8ELi8EEvPfPK15HIP_vector_typeIfLj2EEiiiiS1_IjLj3EES5_S5_S5_,"axG",@progbits,_ZL33flash_attn_stream_k_fixup_generalILi64ELi8ELi8EEvPfPK15HIP_vector_typeIfLj2EEiiiiS1_IjLj3EES5_S5_S5_,comdat
	.globl	_ZL33flash_attn_stream_k_fixup_generalILi64ELi8ELi8EEvPfPK15HIP_vector_typeIfLj2EEiiiiS1_IjLj3EES5_S5_S5_ ; -- Begin function _ZL33flash_attn_stream_k_fixup_generalILi64ELi8ELi8EEvPfPK15HIP_vector_typeIfLj2EEiiiiS1_IjLj3EES5_S5_S5_
	.p2align	8
	.type	_ZL33flash_attn_stream_k_fixup_generalILi64ELi8ELi8EEvPfPK15HIP_vector_typeIfLj2EEiiiiS1_IjLj3EES5_S5_S5_,@function
_ZL33flash_attn_stream_k_fixup_generalILi64ELi8ELi8EEvPfPK15HIP_vector_typeIfLj2EEiiiiS1_IjLj3EES5_S5_S5_: ; @_ZL33flash_attn_stream_k_fixup_generalILi64ELi8ELi8EEvPfPK15HIP_vector_typeIfLj2EEiiiiS1_IjLj3EES5_S5_S5_
; %bb.0:
	s_clause 0x1
	s_load_dwordx4 s[0:3], s[4:5], 0x10
	s_load_dword s9, s[4:5], 0x50
	s_mov_b32 s16, 0
	s_waitcnt lgkmcnt(0)
	s_mul_hi_i32 s17, s3, s6
	s_mul_i32 s18, s3, s6
	s_cmp_lg_u64 s[16:17], 0
	s_cbranch_scc0 .LBB3_21
; %bb.1:
	s_add_u32 s10, s9, 0
	s_addc_u32 s11, 0, 0
	s_xor_b64 s[10:11], s[10:11], 0
	v_cvt_f32_u32_e32 v1, s10
	v_cvt_f32_u32_e32 v2, s11
	s_sub_u32 s14, 0, s10
	s_subb_u32 s15, 0, s11
	v_fmamk_f32 v1, v2, 0x4f800000, v1
	v_rcp_f32_e32 v1, v1
	v_mul_f32_e32 v1, 0x5f7ffffc, v1
	v_mul_f32_e32 v2, 0x2f800000, v1
	v_trunc_f32_e32 v2, v2
	v_fmamk_f32 v1, v2, 0xcf800000, v1
	v_cvt_u32_f32_e32 v2, v2
	v_cvt_u32_f32_e32 v1, v1
	v_readfirstlane_b32 s12, v2
	v_readfirstlane_b32 s13, v1
	s_mul_i32 s19, s14, s12
	s_mul_hi_u32 s21, s14, s13
	s_mul_i32 s20, s15, s13
	s_add_i32 s19, s21, s19
	s_mul_i32 s22, s14, s13
	s_add_i32 s19, s19, s20
	s_mul_hi_u32 s21, s13, s22
	s_mul_i32 s24, s13, s19
	s_mul_hi_u32 s23, s12, s22
	s_mul_i32 s20, s12, s22
	s_mul_hi_u32 s22, s13, s19
	s_add_u32 s21, s21, s24
	s_addc_u32 s22, 0, s22
	s_mul_hi_u32 s25, s12, s19
	s_add_u32 s20, s21, s20
	s_mul_i32 s19, s12, s19
	s_addc_u32 s20, s22, s23
	s_addc_u32 s21, s25, 0
	s_add_u32 s19, s20, s19
	s_addc_u32 s20, 0, s21
	s_add_u32 s13, s13, s19
	s_cselect_b32 s19, -1, 0
	s_mul_hi_u32 s21, s14, s13
	s_cmp_lg_u32 s19, 0
	s_mul_i32 s19, s14, s13
	s_addc_u32 s12, s12, s20
	s_mul_i32 s15, s15, s13
	s_mul_i32 s14, s14, s12
	s_mul_hi_u32 s20, s13, s19
	s_add_i32 s14, s21, s14
	s_mul_hi_u32 s21, s12, s19
	s_add_i32 s14, s14, s15
	s_mul_i32 s15, s12, s19
	s_mul_i32 s23, s13, s14
	s_mul_hi_u32 s22, s13, s14
	s_add_u32 s20, s20, s23
	s_addc_u32 s22, 0, s22
	s_mul_hi_u32 s19, s12, s14
	s_add_u32 s15, s20, s15
	s_mul_i32 s14, s12, s14
	s_addc_u32 s15, s22, s21
	s_addc_u32 s19, s19, 0
	s_add_u32 s14, s15, s14
	s_addc_u32 s15, 0, s19
	s_add_u32 s19, s13, s14
	s_cselect_b32 s13, -1, 0
	s_cmp_lg_u32 s13, 0
	s_addc_u32 s20, s12, s15
	s_ashr_i32 s12, s17, 31
	s_add_u32 s14, s18, s12
	s_mov_b32 s13, s12
	s_addc_u32 s15, s17, s12
	s_xor_b64 s[14:15], s[14:15], s[12:13]
	s_mul_i32 s21, s14, s20
	s_mul_hi_u32 s22, s14, s19
	s_mul_hi_u32 s17, s14, s20
	;; [unrolled: 1-line block ×3, first 2 shown]
	s_mul_i32 s19, s15, s19
	s_add_u32 s21, s22, s21
	s_addc_u32 s17, 0, s17
	s_mul_hi_u32 s23, s15, s20
	s_add_u32 s19, s21, s19
	s_mul_i32 s20, s15, s20
	s_addc_u32 s17, s17, s24
	s_addc_u32 s19, s23, 0
	s_add_u32 s17, s17, s20
	s_addc_u32 s19, 0, s19
	s_mul_hi_u32 s20, s10, s17
	s_mul_i32 s21, s10, s19
	s_mul_i32 s22, s11, s17
	s_add_i32 s20, s20, s21
	s_mul_i32 s21, s10, s17
	s_add_i32 s20, s20, s22
	s_sub_i32 s22, s15, s20
	s_sub_u32 s14, s14, s21
	s_cselect_b32 s21, -1, 0
	s_cmp_lg_u32 s21, 0
	s_subb_u32 s22, s22, s11
	s_sub_u32 s23, s14, s10
	s_cselect_b32 s24, -1, 0
	s_cmp_lg_u32 s24, 0
	s_subb_u32 s22, s22, 0
	s_cmp_ge_u32 s22, s11
	s_cselect_b32 s24, -1, 0
	s_cmp_ge_u32 s23, s10
	s_cselect_b32 s23, -1, 0
	s_cmp_eq_u32 s22, s11
	s_cselect_b32 s22, s23, s24
	s_add_u32 s23, s17, 1
	s_addc_u32 s24, s19, 0
	s_add_u32 s25, s17, 2
	s_addc_u32 s26, s19, 0
	s_cmp_lg_u32 s22, 0
	s_cselect_b32 s22, s25, s23
	s_cselect_b32 s23, s26, s24
	s_cmp_lg_u32 s21, 0
	s_subb_u32 s15, s15, s20
	s_cmp_ge_u32 s15, s11
	s_cselect_b32 s20, -1, 0
	s_cmp_ge_u32 s14, s10
	s_cselect_b32 s10, -1, 0
	s_cmp_eq_u32 s15, s11
	s_cselect_b32 s10, s10, s20
	s_cmp_lg_u32 s10, 0
	s_cselect_b32 s11, s23, s19
	s_cselect_b32 s10, s22, s17
	s_xor_b64 s[12:13], s[12:13], 0
	s_xor_b64 s[10:11], s[10:11], s[12:13]
	s_sub_u32 s10, s10, s12
	s_load_dwordx4 s[12:15], s[4:5], 0x44
	s_andn2_b32 vcc_lo, exec_lo, s16
	s_cbranch_vccnz .LBB3_3
.LBB3_2:
	v_cvt_f32_u32_e32 v1, s9
	s_sub_i32 s11, 0, s9
	v_rcp_iflag_f32_e32 v1, v1
	v_mul_f32_e32 v1, 0x4f7ffffe, v1
	v_cvt_u32_f32_e32 v1, v1
	v_readfirstlane_b32 s10, v1
	s_mul_i32 s11, s11, s10
	s_mul_hi_u32 s11, s10, s11
	s_add_i32 s10, s10, s11
	s_mul_hi_u32 s10, s18, s10
	s_mul_i32 s11, s10, s9
	s_waitcnt lgkmcnt(0)
	s_add_i32 s15, s10, 1
	s_sub_i32 s11, s18, s11
	s_sub_i32 s16, s11, s9
	s_cmp_ge_u32 s11, s9
	s_cselect_b32 s10, s15, s10
	s_cselect_b32 s11, s16, s11
	s_add_i32 s15, s10, 1
	s_cmp_ge_u32 s11, s9
	s_cselect_b32 s10, s15, s10
.LBB3_3:
	s_add_i32 s11, s6, 1
	s_mov_b32 s16, 0
	s_mul_hi_i32 s17, s3, s11
	s_mul_i32 s11, s3, s11
	s_cmp_lg_u64 s[16:17], 0
	s_cbranch_scc0 .LBB3_22
; %bb.4:
	s_add_u32 s18, s9, 0
	s_addc_u32 s19, 0, 0
	s_xor_b64 s[18:19], s[18:19], 0
	v_cvt_f32_u32_e32 v1, s18
	v_cvt_f32_u32_e32 v2, s19
	s_sub_u32 s21, 0, s18
	s_subb_u32 s22, 0, s19
	v_fmamk_f32 v1, v2, 0x4f800000, v1
	v_rcp_f32_e32 v1, v1
	v_mul_f32_e32 v1, 0x5f7ffffc, v1
	v_mul_f32_e32 v2, 0x2f800000, v1
	v_trunc_f32_e32 v2, v2
	v_fmamk_f32 v1, v2, 0xcf800000, v1
	v_cvt_u32_f32_e32 v2, v2
	v_cvt_u32_f32_e32 v1, v1
	s_waitcnt lgkmcnt(0)
	v_readfirstlane_b32 s15, v2
	v_readfirstlane_b32 s20, v1
	s_mul_i32 s23, s21, s15
	s_mul_hi_u32 s25, s21, s20
	s_mul_i32 s24, s22, s20
	s_add_i32 s23, s25, s23
	s_mul_i32 s26, s21, s20
	s_add_i32 s23, s23, s24
	s_mul_hi_u32 s25, s20, s26
	s_mul_i32 s28, s20, s23
	s_mul_hi_u32 s27, s15, s26
	s_mul_i32 s24, s15, s26
	s_mul_hi_u32 s26, s20, s23
	s_add_u32 s25, s25, s28
	s_addc_u32 s26, 0, s26
	s_mul_hi_u32 s29, s15, s23
	s_add_u32 s24, s25, s24
	s_mul_i32 s23, s15, s23
	s_addc_u32 s24, s26, s27
	s_addc_u32 s25, s29, 0
	s_add_u32 s23, s24, s23
	s_addc_u32 s24, 0, s25
	s_add_u32 s20, s20, s23
	s_cselect_b32 s23, -1, 0
	s_mul_hi_u32 s25, s21, s20
	s_cmp_lg_u32 s23, 0
	s_mul_i32 s23, s21, s20
	s_addc_u32 s15, s15, s24
	s_mul_i32 s22, s22, s20
	s_mul_i32 s21, s21, s15
	s_mul_hi_u32 s24, s20, s23
	s_add_i32 s21, s25, s21
	s_mul_hi_u32 s25, s15, s23
	s_add_i32 s21, s21, s22
	s_mul_i32 s22, s15, s23
	s_mul_i32 s27, s20, s21
	s_mul_hi_u32 s26, s20, s21
	s_add_u32 s24, s24, s27
	s_addc_u32 s26, 0, s26
	s_mul_hi_u32 s23, s15, s21
	s_add_u32 s22, s24, s22
	s_mul_i32 s21, s15, s21
	s_addc_u32 s22, s26, s25
	s_addc_u32 s23, s23, 0
	s_add_u32 s21, s22, s21
	s_addc_u32 s22, 0, s23
	s_add_u32 s24, s20, s21
	s_cselect_b32 s20, -1, 0
	s_cmp_lg_u32 s20, 0
	s_addc_u32 s15, s15, s22
	s_ashr_i32 s20, s17, 31
	s_add_u32 s22, s11, s20
	s_mov_b32 s21, s20
	s_addc_u32 s23, s17, s20
	s_xor_b64 s[22:23], s[22:23], s[20:21]
	s_mul_i32 s25, s22, s15
	s_mul_hi_u32 s26, s22, s24
	s_mul_hi_u32 s17, s22, s15
	;; [unrolled: 1-line block ×3, first 2 shown]
	s_mul_i32 s24, s23, s24
	s_add_u32 s25, s26, s25
	s_addc_u32 s17, 0, s17
	s_mul_hi_u32 s27, s23, s15
	s_add_u32 s24, s25, s24
	s_mul_i32 s15, s23, s15
	s_addc_u32 s17, s17, s28
	s_addc_u32 s24, s27, 0
	s_add_u32 s15, s17, s15
	s_addc_u32 s17, 0, s24
	s_mul_hi_u32 s24, s18, s15
	s_mul_i32 s25, s18, s17
	s_mul_i32 s26, s19, s15
	s_add_i32 s24, s24, s25
	s_mul_i32 s25, s18, s15
	s_add_i32 s24, s24, s26
	s_sub_i32 s26, s23, s24
	s_sub_u32 s22, s22, s25
	s_cselect_b32 s25, -1, 0
	s_cmp_lg_u32 s25, 0
	s_subb_u32 s26, s26, s19
	s_sub_u32 s27, s22, s18
	s_cselect_b32 s28, -1, 0
	s_cmp_lg_u32 s28, 0
	s_subb_u32 s26, s26, 0
	s_cmp_ge_u32 s26, s19
	s_cselect_b32 s28, -1, 0
	s_cmp_ge_u32 s27, s18
	s_cselect_b32 s27, -1, 0
	s_cmp_eq_u32 s26, s19
	s_cselect_b32 s26, s27, s28
	s_add_u32 s27, s15, 1
	s_addc_u32 s28, s17, 0
	s_add_u32 s29, s15, 2
	s_addc_u32 s30, s17, 0
	s_cmp_lg_u32 s26, 0
	s_cselect_b32 s26, s29, s27
	s_cselect_b32 s27, s30, s28
	s_cmp_lg_u32 s25, 0
	s_subb_u32 s23, s23, s24
	s_cmp_ge_u32 s23, s19
	s_cselect_b32 s24, -1, 0
	s_cmp_ge_u32 s22, s18
	s_cselect_b32 s18, -1, 0
	s_cmp_eq_u32 s23, s19
	s_cselect_b32 s18, s18, s24
	s_cmp_lg_u32 s18, 0
	s_cselect_b32 s19, s27, s17
	s_cselect_b32 s18, s26, s15
	s_xor_b64 s[20:21], s[20:21], 0
	s_xor_b64 s[18:19], s[18:19], s[20:21]
	s_sub_u32 s18, s18, s20
	s_andn2_b32 vcc_lo, exec_lo, s16
	s_cbranch_vccnz .LBB3_6
.LBB3_5:
	v_cvt_f32_u32_e32 v1, s9
	s_sub_i32 s16, 0, s9
	v_rcp_iflag_f32_e32 v1, v1
	v_mul_f32_e32 v1, 0x4f7ffffe, v1
	v_cvt_u32_f32_e32 v1, v1
	s_waitcnt lgkmcnt(0)
	v_readfirstlane_b32 s15, v1
	s_mul_i32 s16, s16, s15
	s_mul_hi_u32 s16, s15, s16
	s_add_i32 s15, s15, s16
	s_mul_hi_u32 s15, s11, s15
	s_mul_i32 s16, s15, s9
	s_sub_i32 s11, s11, s16
	s_add_i32 s16, s15, 1
	s_sub_i32 s17, s11, s9
	s_cmp_ge_u32 s11, s9
	s_cselect_b32 s15, s16, s15
	s_cselect_b32 s11, s17, s11
	s_add_i32 s16, s15, 1
	s_cmp_ge_u32 s11, s9
	s_cselect_b32 s18, s16, s15
.LBB3_6:
	s_cmp_eq_u32 s10, s18
	s_waitcnt lgkmcnt(0)
	s_mul_hi_u32 s11, s10, s12
	s_cselect_b32 s15, -1, 0
	s_add_i32 s11, s11, s10
	s_lshr_b32 s11, s11, s13
	s_mul_i32 s16, s11, s14
	s_cmp_eq_u32 s16, s10
	s_mul_hi_u32 s16, s18, s12
	s_cselect_b32 s17, -1, 0
	s_add_i32 s16, s16, s18
	s_lshr_b32 s16, s16, s13
	s_cmp_eq_u32 s11, s16
	s_mul_i32 s16, s16, s14
	s_cselect_b32 s19, -1, 0
	s_cmp_lg_u32 s16, s18
	s_cselect_b32 s16, -1, 0
	s_or_b32 s15, s15, s17
	s_and_b32 s16, s19, s16
	s_or_b32 s15, s15, s16
	s_and_b32 vcc_lo, exec_lo, s15
	s_cbranch_vccnz .LBB3_24
; %bb.7:
	s_clause 0x1
	s_load_dwordx8 s[20:27], s[4:5], 0x20
	s_load_dword s16, s[4:5], 0x40
	s_waitcnt lgkmcnt(0)
	s_mul_hi_u32 s15, s10, s20
	s_add_i32 s15, s15, s10
	s_lshr_b32 s15, s15, s21
	s_mul_i32 s17, s15, s22
	s_sub_i32 s17, s10, s17
	s_mul_hi_u32 s18, s17, s23
	s_add_i32 s18, s17, s18
	s_lshr_b32 s22, s18, s24
	s_mul_i32 s18, s22, s25
	s_sub_i32 s17, s17, s18
	s_mul_hi_u32 s18, s17, s26
	s_add_i32 s18, s17, s18
	s_lshr_b32 s18, s18, s27
	s_mul_i32 s16, s18, s16
	s_lshl_b32 s24, s18, 3
	s_sub_i32 s16, s17, s16
	s_mul_hi_u32 s17, s16, s12
	s_add_i32 s16, s16, s17
	s_lshr_b32 s23, s16, s13
	s_lshl_b32 s16, s23, 3
	s_add_i32 s16, s16, s7
	s_cmp_lt_i32 s16, s0
	s_cselect_b32 s16, -1, 0
	s_add_i32 s17, s24, s8
	s_cmp_lt_i32 s17, s2
	s_cselect_b32 s17, -1, 0
	s_and_b32 s16, s16, s17
	s_andn2_b32 vcc_lo, exec_lo, s16
	s_cbranch_vccnz .LBB3_24
; %bb.8:
	s_load_dwordx4 s[16:19], s[4:5], 0x0
	s_mov_b32 s4, 0
	s_lshl_b32 s20, s9, 8
	s_mov_b32 s21, s4
	s_lshl_b32 s5, s7, 3
	s_lshl_b64 s[20:21], s[20:21], 2
	s_mul_i32 s0, s15, s0
	s_add_i32 s15, s5, s8
	s_mul_i32 s22, s22, s2
	v_cvt_f32_u32_e32 v4, s9
	v_rcp_iflag_f32_e32 v4, v4
	s_waitcnt lgkmcnt(0)
	s_add_u32 s20, s18, s20
	s_addc_u32 s21, s19, s21
	s_add_i32 s0, s0, s7
	s_mul_i32 s0, s0, s1
	s_mul_i32 s1, s1, s23
	s_add_i32 s0, s0, s8
	s_lshl_b32 s1, s1, 9
	s_add_i32 s0, s0, s22
	v_mul_f32_e32 v4, 0x4f7ffffe, v4
	s_add_i32 s0, s0, s24
	s_lshl_b32 s0, s0, 6
	s_add_i32 s1, s1, s0
	s_lshl_b32 s0, s6, 6
	v_or_b32_e32 v1, s1, v0
	s_add_i32 s0, s15, s0
	v_lshl_or_b32 v0, s15, 6, v0
	s_ashr_i32 s1, s0, 31
	v_cvt_u32_f32_e32 v4, v4
	v_ashrrev_i32_e32 v2, 31, v1
	s_lshl_b64 s[0:1], s[0:1], 3
	s_add_u32 s0, s18, s0
	s_addc_u32 s1, s19, s1
	v_lshlrev_b64 v[1:2], 2, v[1:2]
	s_load_dwordx2 s[0:1], s[0:1], 0x0
	s_add_i32 s8, s6, -1
	s_sub_i32 s2, 0, s9
	v_add_co_u32 v1, vcc_lo, s16, v1
	v_add_co_ci_u32_e64 v2, null, s17, v2, vcc_lo
	global_load_dword v3, v[1:2], off
	s_waitcnt lgkmcnt(0)
	v_mov_b32_e32 v5, s1
	v_mov_b32_e32 v6, s0
.LBB3_9:                                ; =>This Inner Loop Header: Depth=1
	s_mul_hi_i32 s5, s8, s3
	s_mul_i32 s6, s8, s3
	s_cmp_lg_u64 s[4:5], 0
	s_mov_b32 s7, -1
                                        ; implicit-def: $sgpr0_sgpr1
	s_cbranch_scc0 .LBB3_11
; %bb.10:                               ;   in Loop: Header=BB3_9 Depth=1
	s_add_u32 s0, s9, 0
	s_addc_u32 s1, 0, 0
	s_xor_b64 s[0:1], s[0:1], 0
	v_cvt_f32_u32_e32 v7, s0
	v_cvt_f32_u32_e32 v8, s1
	s_sub_u32 s17, 0, s0
	s_subb_u32 s22, 0, s1
	v_fmac_f32_e32 v7, 0x4f800000, v8
	v_rcp_f32_e32 v7, v7
	v_mul_f32_e32 v7, 0x5f7ffffc, v7
	v_mul_f32_e32 v8, 0x2f800000, v7
	v_trunc_f32_e32 v8, v8
	v_fmac_f32_e32 v7, 0xcf800000, v8
	v_cvt_u32_f32_e32 v8, v8
	v_cvt_u32_f32_e32 v7, v7
	v_readfirstlane_b32 s7, v8
	v_readfirstlane_b32 s16, v7
	s_mul_i32 s23, s17, s7
	s_mul_hi_u32 s25, s17, s16
	s_mul_i32 s24, s22, s16
	s_add_i32 s23, s25, s23
	s_mul_i32 s26, s17, s16
	s_add_i32 s23, s23, s24
	s_mul_hi_u32 s25, s16, s26
	s_mul_i32 s28, s16, s23
	s_mul_hi_u32 s27, s7, s26
	s_mul_i32 s24, s7, s26
	s_mul_hi_u32 s26, s16, s23
	s_add_u32 s25, s25, s28
	s_addc_u32 s26, 0, s26
	s_mul_hi_u32 s29, s7, s23
	s_add_u32 s24, s25, s24
	s_mul_i32 s23, s7, s23
	s_addc_u32 s24, s26, s27
	s_addc_u32 s25, s29, 0
	s_add_u32 s23, s24, s23
	s_addc_u32 s24, 0, s25
	s_add_u32 s16, s16, s23
	s_cselect_b32 s23, -1, 0
	s_mul_hi_u32 s25, s17, s16
	s_cmp_lg_u32 s23, 0
	s_mul_i32 s23, s17, s16
	s_addc_u32 s7, s7, s24
	s_mul_i32 s22, s22, s16
	s_mul_i32 s17, s17, s7
	s_mul_hi_u32 s24, s16, s23
	s_add_i32 s17, s25, s17
	s_mul_hi_u32 s25, s7, s23
	s_add_i32 s17, s17, s22
	s_mul_i32 s22, s7, s23
	s_mul_i32 s27, s16, s17
	s_mul_hi_u32 s26, s16, s17
	s_add_u32 s24, s24, s27
	s_addc_u32 s26, 0, s26
	s_mul_hi_u32 s23, s7, s17
	s_add_u32 s22, s24, s22
	s_mul_i32 s17, s7, s17
	s_addc_u32 s22, s26, s25
	s_addc_u32 s23, s23, 0
	s_add_u32 s17, s22, s17
	s_addc_u32 s22, 0, s23
	s_add_u32 s24, s16, s17
	s_cselect_b32 s16, -1, 0
	s_cmp_lg_u32 s16, 0
	s_addc_u32 s7, s7, s22
	s_ashr_i32 s16, s5, 31
	s_add_u32 s22, s6, s16
	s_mov_b32 s17, s16
	s_addc_u32 s23, s5, s16
	s_xor_b64 s[22:23], s[22:23], s[16:17]
	s_mul_i32 s25, s22, s7
	s_mul_hi_u32 s26, s22, s24
	s_mul_hi_u32 s5, s22, s7
	;; [unrolled: 1-line block ×3, first 2 shown]
	s_mul_i32 s24, s23, s24
	s_add_u32 s25, s26, s25
	s_addc_u32 s5, 0, s5
	s_mul_hi_u32 s27, s23, s7
	s_add_u32 s24, s25, s24
	s_mul_i32 s7, s23, s7
	s_addc_u32 s5, s5, s28
	s_addc_u32 s24, s27, 0
	s_add_u32 s5, s5, s7
	s_addc_u32 s7, 0, s24
	s_mul_hi_u32 s24, s0, s5
	s_mul_i32 s25, s0, s7
	s_mul_i32 s26, s1, s5
	s_add_i32 s24, s24, s25
	s_mul_i32 s25, s0, s5
	s_add_i32 s24, s24, s26
	s_sub_i32 s26, s23, s24
	s_sub_u32 s22, s22, s25
	s_cselect_b32 s25, -1, 0
	s_cmp_lg_u32 s25, 0
	s_subb_u32 s26, s26, s1
	s_sub_u32 s27, s22, s0
	s_cselect_b32 s28, -1, 0
	s_cmp_lg_u32 s28, 0
	s_subb_u32 s26, s26, 0
	s_cmp_ge_u32 s26, s1
	s_cselect_b32 s28, -1, 0
	s_cmp_ge_u32 s27, s0
	s_cselect_b32 s27, -1, 0
	s_cmp_eq_u32 s26, s1
	s_cselect_b32 s26, s27, s28
	s_add_u32 s27, s5, 1
	s_addc_u32 s28, s7, 0
	s_add_u32 s29, s5, 2
	s_addc_u32 s30, s7, 0
	s_cmp_lg_u32 s26, 0
	s_cselect_b32 s26, s29, s27
	s_cselect_b32 s27, s30, s28
	s_cmp_lg_u32 s25, 0
	s_subb_u32 s23, s23, s24
	s_cmp_ge_u32 s23, s1
	s_cselect_b32 s24, -1, 0
	s_cmp_ge_u32 s22, s0
	s_cselect_b32 s0, -1, 0
	s_cmp_eq_u32 s23, s1
	s_cselect_b32 s0, s0, s24
	s_cmp_lg_u32 s0, 0
	s_cselect_b32 s1, s27, s7
	s_cselect_b32 s0, s26, s5
	s_xor_b64 s[16:17], s[16:17], 0
	s_mov_b32 s7, 0
	s_xor_b64 s[0:1], s[0:1], s[16:17]
	s_sub_u32 s0, s0, s16
.LBB3_11:                               ;   in Loop: Header=BB3_9 Depth=1
	s_andn2_b32 vcc_lo, exec_lo, s7
	s_cbranch_vccnz .LBB3_13
; %bb.12:                               ;   in Loop: Header=BB3_9 Depth=1
	v_readfirstlane_b32 s0, v4
	s_mul_i32 s1, s2, s0
	s_mul_hi_u32 s1, s0, s1
	s_add_i32 s0, s0, s1
	s_mul_hi_u32 s0, s6, s0
	s_mul_i32 s1, s0, s9
	s_add_i32 s5, s0, 1
	s_sub_i32 s1, s6, s1
	s_sub_i32 s6, s1, s9
	s_cmp_ge_u32 s1, s9
	s_cselect_b32 s0, s5, s0
	s_cselect_b32 s1, s6, s1
	s_add_i32 s5, s0, 1
	s_cmp_ge_u32 s1, s9
	s_cselect_b32 s0, s5, s0
.LBB3_13:                               ;   in Loop: Header=BB3_9 Depth=1
	s_cmp_lg_u32 s10, s0
	s_mov_b32 s6, -1
                                        ; implicit-def: $sgpr5
                                        ; implicit-def: $vgpr8
                                        ; implicit-def: $vgpr7
                                        ; implicit-def: $vgpr9
                                        ; implicit-def: $sgpr1
                                        ; implicit-def: $sgpr16
	s_cbranch_scc0 .LBB3_18
; %bb.14:                               ;   in Loop: Header=BB3_9 Depth=1
	s_add_i32 s1, s8, s9
	s_mov_b32 s7, s4
	s_lshl_b32 s1, s1, 6
	s_mov_b32 s16, s10
	s_add_i32 s6, s1, s15
	s_mul_hi_u32 s1, s0, s12
	s_lshl_b64 s[6:7], s[6:7], 3
	s_add_u32 s6, s18, s6
	s_addc_u32 s7, s19, s7
	s_add_i32 s1, s1, s0
	s_lshr_b32 s1, s1, s13
	s_mul_i32 s5, s1, s14
	s_cmp_eq_u32 s5, s0
	s_cselect_b32 s5, -1, 0
	s_cmp_lt_u32 s1, s11
	s_cselect_b32 s1, -1, 0
	s_or_b32 s1, s1, s5
	s_mov_b32 s5, -1
	s_and_b32 vcc_lo, exec_lo, s1
	s_mov_b32 s1, s8
	s_cbranch_vccnz .LBB3_16
; %bb.15:                               ;   in Loop: Header=BB3_9 Depth=1
	s_add_i32 s1, s8, -1
	s_mov_b32 s5, 0
	s_mov_b32 s16, s0
.LBB3_16:                               ;   in Loop: Header=BB3_9 Depth=1
	v_lshl_add_u32 v7, s8, 12, v0
	s_load_dwordx2 s[6:7], s[6:7], 0x0
	v_ashrrev_i32_e32 v8, 31, v7
	v_lshlrev_b64 v[7:8], 2, v[7:8]
	v_add_co_u32 v7, vcc_lo, s20, v7
	v_add_co_ci_u32_e64 v8, null, s21, v8, vcc_lo
	s_waitcnt lgkmcnt(0)
	v_max_f32_e64 v9, s6, s6
	global_load_dword v8, v[7:8], off
	v_max_f32_e32 v7, v6, v6
	v_max_f32_e32 v7, v7, v9
	v_sub_f32_e32 v9, s6, v7
	v_sub_f32_e32 v10, v6, v7
	v_mul_f32_e32 v11, 0x3fb8aa3b, v9
	v_mul_f32_e32 v12, 0x3fb8aa3b, v10
	v_cmp_ngt_f32_e32 vcc_lo, 0xc2ce8ed0, v9
	v_fma_f32 v13, 0x3fb8aa3b, v9, -v11
	v_rndne_f32_e32 v14, v11
	v_fma_f32 v15, 0x3fb8aa3b, v10, -v12
	v_rndne_f32_e32 v16, v12
	v_fmac_f32_e32 v13, 0x32a5705f, v9
	v_sub_f32_e32 v11, v11, v14
	v_fmac_f32_e32 v15, 0x32a5705f, v10
	v_sub_f32_e32 v12, v12, v16
	v_add_f32_e32 v11, v11, v13
	v_cvt_i32_f32_e32 v13, v14
	v_add_f32_e32 v12, v12, v15
	v_cvt_i32_f32_e32 v14, v16
	v_exp_f32_e32 v11, v11
	v_exp_f32_e32 v12, v12
	v_ldexp_f32 v11, v11, v13
	v_ldexp_f32 v12, v12, v14
	v_cndmask_b32_e32 v11, 0, v11, vcc_lo
	v_cmp_ngt_f32_e32 vcc_lo, 0xc2ce8ed0, v10
	v_cndmask_b32_e32 v12, 0, v12, vcc_lo
	v_cmp_nlt_f32_e32 vcc_lo, 0x42b17218, v9
	v_cndmask_b32_e32 v11, 0x7f800000, v11, vcc_lo
	v_cmp_nlt_f32_e32 vcc_lo, 0x42b17218, v10
	v_cndmask_b32_e32 v12, 0x7f800000, v12, vcc_lo
	v_cmp_le_f32_e32 vcc_lo, 0xc1a00000, v9
	v_cndmask_b32_e32 v9, 0, v11, vcc_lo
	v_cmp_le_f32_e32 vcc_lo, 0xc1a00000, v10
	v_cndmask_b32_e32 v10, 0, v12, vcc_lo
	s_waitcnt vmcnt(0)
	v_mul_f32_e32 v8, v8, v9
	v_mul_f32_e32 v9, s7, v9
	v_fmac_f32_e32 v8, v3, v10
	v_fmac_f32_e32 v9, v5, v10
	s_cbranch_execz .LBB3_19
.LBB3_17:                               ;   in Loop: Header=BB3_9 Depth=1
	s_andn2_b32 vcc_lo, exec_lo, s5
	s_cbranch_vccnz .LBB3_20
	s_branch .LBB3_23
.LBB3_18:                               ;   in Loop: Header=BB3_9 Depth=1
	s_andn2_b32 vcc_lo, exec_lo, s6
	s_cbranch_vccnz .LBB3_17
.LBB3_19:                               ;   in Loop: Header=BB3_9 Depth=1
	v_mov_b32_e32 v9, v5
	v_mov_b32_e32 v7, v6
	s_waitcnt vmcnt(0)
	v_mov_b32_e32 v8, v3
	s_add_i32 s1, s8, -1
	s_mov_b32 s16, s10
	s_cbranch_execz .LBB3_23
.LBB3_20:                               ;   in Loop: Header=BB3_9 Depth=1
	v_mov_b32_e32 v5, v9
	v_mov_b32_e32 v6, v7
	s_waitcnt vmcnt(0)
	v_mov_b32_e32 v3, v8
	s_mov_b32 s10, s16
	s_mov_b32 s8, s1
	s_branch .LBB3_9
.LBB3_21:
                                        ; implicit-def: $sgpr10_sgpr11
	s_load_dwordx4 s[12:15], s[4:5], 0x44
	s_branch .LBB3_2
.LBB3_22:
                                        ; implicit-def: $sgpr18_sgpr19
	s_branch .LBB3_5
.LBB3_23:
	v_div_scale_f32 v0, null, v9, v9, v8
	s_waitcnt vmcnt(0)
	v_rcp_f32_e32 v3, v0
	v_fma_f32 v4, -v0, v3, 1.0
	v_fmac_f32_e32 v3, v4, v3
	v_div_scale_f32 v4, vcc_lo, v8, v9, v8
	v_mul_f32_e32 v5, v4, v3
	v_fma_f32 v6, -v0, v5, v4
	v_fmac_f32_e32 v5, v6, v3
	v_fma_f32 v0, -v0, v5, v4
	v_div_fmas_f32 v0, v0, v3, v5
	v_div_fixup_f32 v0, v0, v9, v8
	global_store_dword v[1:2], v0, off
.LBB3_24:
	s_endpgm
	.section	.rodata,"a",@progbits
	.p2align	6, 0x0
	.amdhsa_kernel _ZL33flash_attn_stream_k_fixup_generalILi64ELi8ELi8EEvPfPK15HIP_vector_typeIfLj2EEiiiiS1_IjLj3EES5_S5_S5_
		.amdhsa_group_segment_fixed_size 0
		.amdhsa_private_segment_fixed_size 0
		.amdhsa_kernarg_size 336
		.amdhsa_user_sgpr_count 6
		.amdhsa_user_sgpr_private_segment_buffer 1
		.amdhsa_user_sgpr_dispatch_ptr 0
		.amdhsa_user_sgpr_queue_ptr 0
		.amdhsa_user_sgpr_kernarg_segment_ptr 1
		.amdhsa_user_sgpr_dispatch_id 0
		.amdhsa_user_sgpr_flat_scratch_init 0
		.amdhsa_user_sgpr_private_segment_size 0
		.amdhsa_wavefront_size32 1
		.amdhsa_uses_dynamic_stack 0
		.amdhsa_system_sgpr_private_segment_wavefront_offset 0
		.amdhsa_system_sgpr_workgroup_id_x 1
		.amdhsa_system_sgpr_workgroup_id_y 1
		.amdhsa_system_sgpr_workgroup_id_z 1
		.amdhsa_system_sgpr_workgroup_info 0
		.amdhsa_system_vgpr_workitem_id 0
		.amdhsa_next_free_vgpr 17
		.amdhsa_next_free_sgpr 31
		.amdhsa_reserve_vcc 1
		.amdhsa_reserve_flat_scratch 0
		.amdhsa_float_round_mode_32 0
		.amdhsa_float_round_mode_16_64 0
		.amdhsa_float_denorm_mode_32 3
		.amdhsa_float_denorm_mode_16_64 3
		.amdhsa_dx10_clamp 1
		.amdhsa_ieee_mode 1
		.amdhsa_fp16_overflow 0
		.amdhsa_workgroup_processor_mode 1
		.amdhsa_memory_ordered 1
		.amdhsa_forward_progress 1
		.amdhsa_shared_vgpr_count 0
		.amdhsa_exception_fp_ieee_invalid_op 0
		.amdhsa_exception_fp_denorm_src 0
		.amdhsa_exception_fp_ieee_div_zero 0
		.amdhsa_exception_fp_ieee_overflow 0
		.amdhsa_exception_fp_ieee_underflow 0
		.amdhsa_exception_fp_ieee_inexact 0
		.amdhsa_exception_int_div_zero 0
	.end_amdhsa_kernel
	.section	.text._ZL33flash_attn_stream_k_fixup_generalILi64ELi8ELi8EEvPfPK15HIP_vector_typeIfLj2EEiiiiS1_IjLj3EES5_S5_S5_,"axG",@progbits,_ZL33flash_attn_stream_k_fixup_generalILi64ELi8ELi8EEvPfPK15HIP_vector_typeIfLj2EEiiiiS1_IjLj3EES5_S5_S5_,comdat
.Lfunc_end3:
	.size	_ZL33flash_attn_stream_k_fixup_generalILi64ELi8ELi8EEvPfPK15HIP_vector_typeIfLj2EEiiiiS1_IjLj3EES5_S5_S5_, .Lfunc_end3-_ZL33flash_attn_stream_k_fixup_generalILi64ELi8ELi8EEvPfPK15HIP_vector_typeIfLj2EEiiiiS1_IjLj3EES5_S5_S5_
                                        ; -- End function
	.set _ZL33flash_attn_stream_k_fixup_generalILi64ELi8ELi8EEvPfPK15HIP_vector_typeIfLj2EEiiiiS1_IjLj3EES5_S5_S5_.num_vgpr, 17
	.set _ZL33flash_attn_stream_k_fixup_generalILi64ELi8ELi8EEvPfPK15HIP_vector_typeIfLj2EEiiiiS1_IjLj3EES5_S5_S5_.num_agpr, 0
	.set _ZL33flash_attn_stream_k_fixup_generalILi64ELi8ELi8EEvPfPK15HIP_vector_typeIfLj2EEiiiiS1_IjLj3EES5_S5_S5_.numbered_sgpr, 31
	.set _ZL33flash_attn_stream_k_fixup_generalILi64ELi8ELi8EEvPfPK15HIP_vector_typeIfLj2EEiiiiS1_IjLj3EES5_S5_S5_.num_named_barrier, 0
	.set _ZL33flash_attn_stream_k_fixup_generalILi64ELi8ELi8EEvPfPK15HIP_vector_typeIfLj2EEiiiiS1_IjLj3EES5_S5_S5_.private_seg_size, 0
	.set _ZL33flash_attn_stream_k_fixup_generalILi64ELi8ELi8EEvPfPK15HIP_vector_typeIfLj2EEiiiiS1_IjLj3EES5_S5_S5_.uses_vcc, 1
	.set _ZL33flash_attn_stream_k_fixup_generalILi64ELi8ELi8EEvPfPK15HIP_vector_typeIfLj2EEiiiiS1_IjLj3EES5_S5_S5_.uses_flat_scratch, 0
	.set _ZL33flash_attn_stream_k_fixup_generalILi64ELi8ELi8EEvPfPK15HIP_vector_typeIfLj2EEiiiiS1_IjLj3EES5_S5_S5_.has_dyn_sized_stack, 0
	.set _ZL33flash_attn_stream_k_fixup_generalILi64ELi8ELi8EEvPfPK15HIP_vector_typeIfLj2EEiiiiS1_IjLj3EES5_S5_S5_.has_recursion, 0
	.set _ZL33flash_attn_stream_k_fixup_generalILi64ELi8ELi8EEvPfPK15HIP_vector_typeIfLj2EEiiiiS1_IjLj3EES5_S5_S5_.has_indirect_call, 0
	.section	.AMDGPU.csdata,"",@progbits
; Kernel info:
; codeLenInByte = 2944
; TotalNumSgprs: 33
; NumVgprs: 17
; ScratchSize: 0
; MemoryBound: 0
; FloatMode: 240
; IeeeMode: 1
; LDSByteSize: 0 bytes/workgroup (compile time only)
; SGPRBlocks: 0
; VGPRBlocks: 2
; NumSGPRsForWavesPerEU: 33
; NumVGPRsForWavesPerEU: 17
; Occupancy: 16
; WaveLimiterHint : 0
; COMPUTE_PGM_RSRC2:SCRATCH_EN: 0
; COMPUTE_PGM_RSRC2:USER_SGPR: 6
; COMPUTE_PGM_RSRC2:TRAP_HANDLER: 0
; COMPUTE_PGM_RSRC2:TGID_X_EN: 1
; COMPUTE_PGM_RSRC2:TGID_Y_EN: 1
; COMPUTE_PGM_RSRC2:TGID_Z_EN: 1
; COMPUTE_PGM_RSRC2:TIDIG_COMP_CNT: 0
	.section	.text._ZL26flash_attn_combine_resultsILi64EEvPKfPK15HIP_vector_typeIfLj2EEPfi,"axG",@progbits,_ZL26flash_attn_combine_resultsILi64EEvPKfPK15HIP_vector_typeIfLj2EEPfi,comdat
	.globl	_ZL26flash_attn_combine_resultsILi64EEvPKfPK15HIP_vector_typeIfLj2EEPfi ; -- Begin function _ZL26flash_attn_combine_resultsILi64EEvPKfPK15HIP_vector_typeIfLj2EEPfi
	.p2align	8
	.type	_ZL26flash_attn_combine_resultsILi64EEvPKfPK15HIP_vector_typeIfLj2EEPfi,@function
_ZL26flash_attn_combine_resultsILi64EEvPKfPK15HIP_vector_typeIfLj2EEPfi: ; @_ZL26flash_attn_combine_resultsILi64EEvPKfPK15HIP_vector_typeIfLj2EEPfi
; %bb.0:
	s_clause 0x3
	s_load_dwordx2 s[2:3], s[4:5], 0x20
	s_load_dword s9, s[4:5], 0x18
	s_load_dwordx4 s[12:15], s[4:5], 0x0
	s_load_dwordx2 s[10:11], s[4:5], 0x10
	v_lshlrev_b32_e32 v5, 2, v0
	s_mov_b32 s4, exec_lo
	s_waitcnt lgkmcnt(0)
	s_mul_i32 s0, s2, s8
	s_lshl_b32 s1, s9, 1
	s_add_i32 s0, s0, s6
	s_mul_i32 s6, s0, s3
	s_add_i32 s6, s6, s7
	s_mul_i32 s2, s6, s9
	v_cmpx_gt_i32_e64 s1, v0
	s_cbranch_execz .LBB4_3
; %bb.1:
	s_ashr_i32 s3, s2, 31
	v_add_nc_u32_e32 v3, 0, v5
	s_lshl_b64 s[16:17], s[2:3], 3
	v_mov_b32_e32 v4, v0
	s_add_u32 s0, s14, s16
	s_addc_u32 s3, s15, s17
	v_add_co_u32 v1, s0, s0, v5
	v_add_co_ci_u32_e64 v2, null, s3, 0, s0
	s_mov_b32 s3, 0
	.p2align	6
.LBB4_2:                                ; =>This Inner Loop Header: Depth=1
	global_load_dword v6, v[1:2], off
	v_add_nc_u32_e32 v4, 64, v4
	v_add_co_u32 v1, vcc_lo, 0x100, v1
	v_add_co_ci_u32_e64 v2, null, 0, v2, vcc_lo
	v_cmp_le_i32_e64 s0, s1, v4
	s_or_b32 s3, s0, s3
	s_waitcnt vmcnt(0)
	ds_write_b32 v3, v6
	v_add_nc_u32_e32 v3, 0x100, v3
	s_andn2_b32 exec_lo, exec_lo, s3
	s_cbranch_execnz .LBB4_2
.LBB4_3:
	s_or_b32 exec_lo, exec_lo, s4
	v_mov_b32_e32 v1, 0
	s_waitcnt lgkmcnt(0)
	s_barrier
	buffer_gl0_inv
	s_cmp_lt_i32 s9, 2
	ds_read_b32 v6, v1
	s_cbranch_scc1 .LBB4_11
; %bb.4:
	s_add_i32 s1, s9, -2
	s_add_i32 s0, s9, -1
	s_cmp_lt_u32 s1, 7
	s_cbranch_scc1 .LBB4_8
; %bb.5:
	s_mov_b32 s3, 0
	s_add_i32 s1, 0, 8
	s_and_b32 s4, s0, -8
	.p2align	6
.LBB4_6:                                ; =>This Inner Loop Header: Depth=1
	v_mov_b32_e32 v9, s1
	s_mov_b32 s5, s3
	s_add_i32 s3, s3, 8
	s_add_i32 s1, s1, 64
	s_cmp_eq_u32 s4, s3
	ds_read2_b32 v[1:2], v9 offset1:2
	ds_read2_b32 v[3:4], v9 offset0:4 offset1:6
	ds_read2_b32 v[7:8], v9 offset0:8 offset1:10
	;; [unrolled: 1-line block ×3, first 2 shown]
	s_waitcnt lgkmcnt(3)
	v_max3_f32 v1, v6, v1, v2
	s_waitcnt lgkmcnt(2)
	v_max3_f32 v1, v1, v3, v4
	;; [unrolled: 2-line block ×4, first 2 shown]
	s_cbranch_scc0 .LBB4_6
; %bb.7:
	s_add_i32 s1, s5, 9
	s_and_b32 s0, s0, 7
	s_cmp_eq_u32 s0, 0
	s_cbranch_scc0 .LBB4_9
	s_branch .LBB4_11
.LBB4_8:
	s_mov_b32 s1, 1
	s_and_b32 s0, s0, 7
	s_cmp_eq_u32 s0, 0
	s_cbranch_scc1 .LBB4_11
.LBB4_9:
	s_lshl_b32 s1, s1, 3
	s_add_i32 s1, s1, 0
.LBB4_10:                               ; =>This Inner Loop Header: Depth=1
	v_mov_b32_e32 v1, s1
	s_waitcnt lgkmcnt(0)
	v_max_f32_e32 v2, v6, v6
	s_add_i32 s0, s0, -1
	s_add_i32 s1, s1, 8
	s_cmp_lg_u32 s0, 0
	ds_read_b32 v1, v1
	s_waitcnt lgkmcnt(0)
	v_max_f32_e32 v1, v1, v1
	v_max_f32_e32 v6, v2, v1
	s_cbranch_scc1 .LBB4_10
.LBB4_11:
	s_cmp_lt_i32 s9, 1
	s_cbranch_scc1 .LBB4_16
; %bb.12:
	s_lshl_b32 s0, s2, 6
	s_ashr_i32 s1, s0, 31
	s_lshl_b64 s[0:1], s[0:1], 2
	s_add_u32 s7, s12, s0
	s_addc_u32 s8, s13, s1
	s_cmp_lt_u32 s9, 8
	s_cbranch_scc1 .LBB4_17
; %bb.13:
	v_or_b32_e32 v1, 0x1c0, v0
	v_mov_b32_e32 v4, 0
	v_mov_b32_e32 v7, 0
	;; [unrolled: 1-line block ×3, first 2 shown]
	s_and_b32 s12, s9, 0x7ffffff8
	s_mov_b32 s13, 0
	s_mov_b32 s14, 0
.LBB4_14:                               ; =>This Inner Loop Header: Depth=1
	v_add_nc_u32_e32 v3, 0xfffffe40, v1
	v_mov_b32_e32 v2, v4
	v_mov_b32_e32 v21, s14
	s_add_i32 s13, s13, 8
	s_add_i32 s14, s14, 64
	v_lshlrev_b64 v[9:10], 2, v[3:4]
	v_add_nc_u32_e32 v3, 0xfffffe80, v1
	v_lshlrev_b64 v[11:12], 2, v[1:2]
	s_cmp_eq_u32 s12, s13
	v_lshlrev_b64 v[13:14], 2, v[3:4]
	v_add_nc_u32_e32 v3, 0xfffffec0, v1
	v_add_co_u32 v9, vcc_lo, s7, v9
	v_add_co_ci_u32_e64 v10, null, s8, v10, vcc_lo
	v_add_co_u32 v13, vcc_lo, s7, v13
	v_lshlrev_b64 v[15:16], 2, v[3:4]
	v_add_nc_u32_e32 v3, 0xffffff00, v1
	v_add_co_ci_u32_e64 v14, null, s8, v14, vcc_lo
	s_clause 0x1
	global_load_dword v25, v[9:10], off
	global_load_dword v26, v[13:14], off
	v_lshlrev_b64 v[9:10], 2, v[3:4]
	v_add_nc_u32_e32 v3, 0xffffff40, v1
	v_add_co_u32 v13, vcc_lo, s7, v15
	v_add_co_ci_u32_e64 v14, null, s8, v16, vcc_lo
	v_add_co_u32 v9, vcc_lo, s7, v9
	v_lshlrev_b64 v[15:16], 2, v[3:4]
	v_add_nc_u32_e32 v3, 0xffffff80, v1
	v_add_co_ci_u32_e64 v10, null, s8, v10, vcc_lo
	s_clause 0x1
	global_load_dword v27, v[13:14], off
	global_load_dword v28, v[9:10], off
	v_lshlrev_b64 v[13:14], 2, v[3:4]
	v_subrev_nc_u32_e32 v3, 64, v1
	v_add_co_u32 v9, vcc_lo, s7, v15
	v_add_co_ci_u32_e64 v10, null, s8, v16, vcc_lo
	v_add_co_u32 v13, vcc_lo, s7, v13
	v_lshlrev_b64 v[2:3], 2, v[3:4]
	v_add_co_ci_u32_e64 v14, null, s8, v14, vcc_lo
	s_clause 0x1
	global_load_dword v29, v[9:10], off
	global_load_dword v30, v[13:14], off
	v_add_co_u32 v2, vcc_lo, s7, v2
	v_add_co_ci_u32_e64 v3, null, s8, v3, vcc_lo
	v_add_co_u32 v9, vcc_lo, s7, v11
	v_add_co_ci_u32_e64 v10, null, s8, v12, vcc_lo
	s_clause 0x1
	global_load_dword v2, v[2:3], off
	global_load_dword v3, v[9:10], off
	ds_read2_b64 v[9:12], v21 offset1:1
	ds_read2_b64 v[13:16], v21 offset0:2 offset1:3
	ds_read2_b64 v[17:20], v21 offset0:4 offset1:5
	ds_read2_b64 v[21:24], v21 offset0:6 offset1:7
	v_add_nc_u32_e32 v1, 0x200, v1
	s_waitcnt lgkmcnt(3)
	v_sub_f32_e32 v9, v9, v6
	v_sub_f32_e32 v11, v11, v6
	s_waitcnt lgkmcnt(2)
	v_sub_f32_e32 v13, v13, v6
	v_sub_f32_e32 v15, v15, v6
	s_waitcnt lgkmcnt(1)
	v_sub_f32_e32 v17, v17, v6
	v_mul_f32_e32 v31, 0x3fb8aa3b, v9
	v_mul_f32_e32 v32, 0x3fb8aa3b, v11
	;; [unrolled: 1-line block ×4, first 2 shown]
	v_sub_f32_e32 v19, v19, v6
	v_fma_f32 v39, 0x3fb8aa3b, v9, -v31
	v_rndne_f32_e32 v40, v31
	v_fma_f32 v41, 0x3fb8aa3b, v11, -v32
	v_rndne_f32_e32 v42, v32
	v_fma_f32 v43, 0x3fb8aa3b, v13, -v33
	v_fmac_f32_e32 v39, 0x32a5705f, v9
	v_sub_f32_e32 v31, v31, v40
	v_rndne_f32_e32 v44, v33
	v_fmac_f32_e32 v41, 0x32a5705f, v11
	v_sub_f32_e32 v32, v32, v42
	v_fmac_f32_e32 v43, 0x32a5705f, v13
	v_add_f32_e32 v31, v31, v39
	v_sub_f32_e32 v33, v33, v44
	v_mul_f32_e32 v35, 0x3fb8aa3b, v17
	v_add_f32_e32 v32, v32, v41
	v_fma_f32 v45, 0x3fb8aa3b, v15, -v34
	v_exp_f32_e32 v31, v31
	v_rndne_f32_e32 v46, v34
	v_add_f32_e32 v33, v33, v43
	v_cvt_i32_f32_e32 v40, v40
	v_exp_f32_e32 v32, v32
	s_waitcnt lgkmcnt(0)
	v_sub_f32_e32 v21, v21, v6
	v_mul_f32_e32 v36, 0x3fb8aa3b, v19
	v_fma_f32 v47, 0x3fb8aa3b, v17, -v35
	v_rndne_f32_e32 v48, v35
	v_cvt_i32_f32_e32 v42, v42
	v_fmac_f32_e32 v45, 0x32a5705f, v15
	v_sub_f32_e32 v34, v34, v46
	v_exp_f32_e32 v33, v33
	v_ldexp_f32 v31, v31, v40
	v_cmp_ngt_f32_e64 s5, 0xc2ce8ed0, v9
	v_sub_f32_e32 v23, v23, v6
	v_mul_f32_e32 v37, 0x3fb8aa3b, v21
	v_fma_f32 v49, 0x3fb8aa3b, v19, -v36
	v_rndne_f32_e32 v50, v36
	v_cvt_i32_f32_e32 v44, v44
	v_fmac_f32_e32 v47, 0x32a5705f, v17
	v_sub_f32_e32 v35, v35, v48
	v_add_f32_e32 v34, v34, v45
	v_ldexp_f32 v32, v32, v42
	v_cndmask_b32_e64 v31, 0, v31, s5
	v_cmp_ngt_f32_e64 s5, 0xc2ce8ed0, v11
	v_mul_f32_e32 v38, 0x3fb8aa3b, v23
	v_fma_f32 v51, 0x3fb8aa3b, v21, -v37
	v_rndne_f32_e32 v39, v37
	v_fmac_f32_e32 v49, 0x32a5705f, v19
	v_sub_f32_e32 v36, v36, v50
	v_add_f32_e32 v35, v35, v47
	v_exp_f32_e32 v34, v34
	v_ldexp_f32 v33, v33, v44
	v_cmp_ngt_f32_e32 vcc_lo, 0xc2ce8ed0, v13
	v_cndmask_b32_e64 v32, 0, v32, s5
	v_cmp_nlt_f32_e64 s5, 0x42b17218, v9
	v_fma_f32 v41, 0x3fb8aa3b, v23, -v38
	v_rndne_f32_e32 v43, v38
	v_cvt_i32_f32_e32 v46, v46
	v_fmac_f32_e32 v51, 0x32a5705f, v21
	v_sub_f32_e32 v37, v37, v39
	v_add_f32_e32 v36, v36, v49
	v_exp_f32_e32 v35, v35
	v_cndmask_b32_e64 v9, 0x7f800000, v31, s5
	v_cndmask_b32_e32 v31, 0, v33, vcc_lo
	v_cmp_nlt_f32_e32 vcc_lo, 0x42b17218, v11
	v_cvt_i32_f32_e32 v48, v48
	v_fmac_f32_e32 v41, 0x32a5705f, v23
	v_sub_f32_e32 v38, v38, v43
	v_add_f32_e32 v37, v37, v51
	v_exp_f32_e32 v36, v36
	v_ldexp_f32 v34, v34, v46
	v_cmp_ngt_f32_e64 s0, 0xc2ce8ed0, v15
	v_cndmask_b32_e32 v11, 0x7f800000, v32, vcc_lo
	v_fmac_f32_e32 v8, v9, v10
	v_cmp_nlt_f32_e32 vcc_lo, 0x42b17218, v13
	v_cvt_i32_f32_e32 v50, v50
	v_add_f32_e32 v38, v38, v41
	v_exp_f32_e32 v37, v37
	v_ldexp_f32 v35, v35, v48
	v_cmp_ngt_f32_e64 s1, 0xc2ce8ed0, v17
	v_cndmask_b32_e32 v10, 0x7f800000, v31, vcc_lo
	v_fmac_f32_e32 v8, v11, v12
	v_cmp_nlt_f32_e32 vcc_lo, 0x42b17218, v15
	v_cvt_i32_f32_e32 v39, v39
	v_exp_f32_e32 v38, v38
	v_ldexp_f32 v36, v36, v50
	v_cmp_ngt_f32_e64 s2, 0xc2ce8ed0, v19
	v_fmac_f32_e32 v8, v10, v14
	v_cvt_i32_f32_e32 v43, v43
	v_ldexp_f32 v37, v37, v39
	v_cmp_ngt_f32_e64 s3, 0xc2ce8ed0, v21
	v_cmp_ngt_f32_e64 s4, 0xc2ce8ed0, v23
	v_ldexp_f32 v38, v38, v43
	s_waitcnt vmcnt(7)
	v_fmac_f32_e32 v7, v25, v9
	v_cndmask_b32_e64 v9, 0, v34, s0
	s_waitcnt vmcnt(6)
	v_fmac_f32_e32 v7, v26, v11
	v_cndmask_b32_e64 v11, 0, v35, s1
	v_cndmask_b32_e32 v9, 0x7f800000, v9, vcc_lo
	v_cmp_nlt_f32_e32 vcc_lo, 0x42b17218, v17
	v_fmac_f32_e32 v8, v9, v16
	v_cndmask_b32_e32 v11, 0x7f800000, v11, vcc_lo
	v_cmp_nlt_f32_e32 vcc_lo, 0x42b17218, v19
	s_waitcnt vmcnt(5)
	v_fmac_f32_e32 v7, v27, v10
	v_cndmask_b32_e64 v10, 0, v36, s2
	v_fmac_f32_e32 v8, v11, v18
	s_waitcnt vmcnt(4)
	v_fmac_f32_e32 v7, v28, v9
	v_cndmask_b32_e64 v9, 0, v37, s3
	v_cndmask_b32_e32 v10, 0x7f800000, v10, vcc_lo
	v_cmp_nlt_f32_e32 vcc_lo, 0x42b17218, v21
	v_fmac_f32_e32 v8, v10, v20
	v_cndmask_b32_e32 v9, 0x7f800000, v9, vcc_lo
	v_cmp_nlt_f32_e32 vcc_lo, 0x42b17218, v23
	s_waitcnt vmcnt(3)
	v_fmac_f32_e32 v7, v29, v11
	v_cndmask_b32_e64 v11, 0, v38, s4
	v_fmac_f32_e32 v8, v9, v22
	s_waitcnt vmcnt(2)
	v_fmac_f32_e32 v7, v30, v10
	v_cndmask_b32_e32 v10, 0x7f800000, v11, vcc_lo
	s_waitcnt vmcnt(1)
	v_fmac_f32_e32 v7, v2, v9
	v_fmac_f32_e32 v8, v10, v24
	s_waitcnt vmcnt(0)
	v_fmac_f32_e32 v7, v3, v10
	s_cbranch_scc0 .LBB4_14
; %bb.15:
	s_and_b32 s0, s9, 7
	s_cmp_eq_u32 s0, 0
	s_cbranch_scc0 .LBB4_18
	s_branch .LBB4_20
.LBB4_16:
	v_mov_b32_e32 v0, 0x7fc00000
	s_branch .LBB4_21
.LBB4_17:
	v_mov_b32_e32 v7, 0
	v_mov_b32_e32 v8, 0
	s_mov_b32 s12, 0
	s_and_b32 s0, s9, 7
	s_cmp_eq_u32 s0, 0
	s_cbranch_scc1 .LBB4_20
.LBB4_18:
	v_lshl_or_b32 v0, s12, 6, v0
	v_mov_b32_e32 v1, 0
	s_lshl_b32 s1, s12, 3
	s_add_i32 s1, s1, 0
	s_inst_prefetch 0x1
	.p2align	6
.LBB4_19:                               ; =>This Inner Loop Header: Depth=1
	v_lshlrev_b64 v[2:3], 2, v[0:1]
	v_add_nc_u32_e32 v0, 64, v0
	s_add_i32 s0, s0, -1
	v_add_co_u32 v2, vcc_lo, s7, v2
	v_add_co_ci_u32_e64 v3, null, s8, v3, vcc_lo
	global_load_dword v4, v[2:3], off
	v_mov_b32_e32 v2, s1
	s_add_i32 s1, s1, 8
	s_cmp_lg_u32 s0, 0
	ds_read_b64 v[2:3], v2
	s_waitcnt lgkmcnt(0)
	v_sub_f32_e32 v2, v2, v6
	v_mul_f32_e32 v9, 0x3fb8aa3b, v2
	v_cmp_ngt_f32_e32 vcc_lo, 0xc2ce8ed0, v2
	v_fma_f32 v10, 0x3fb8aa3b, v2, -v9
	v_rndne_f32_e32 v11, v9
	v_fmac_f32_e32 v10, 0x32a5705f, v2
	v_sub_f32_e32 v9, v9, v11
	v_add_f32_e32 v9, v9, v10
	v_cvt_i32_f32_e32 v10, v11
	v_exp_f32_e32 v9, v9
	v_ldexp_f32 v9, v9, v10
	v_cndmask_b32_e32 v9, 0, v9, vcc_lo
	v_cmp_nlt_f32_e32 vcc_lo, 0x42b17218, v2
	v_cndmask_b32_e32 v2, 0x7f800000, v9, vcc_lo
	v_fmac_f32_e32 v8, v2, v3
	s_waitcnt vmcnt(0)
	v_fmac_f32_e32 v7, v4, v2
	s_cbranch_scc1 .LBB4_19
.LBB4_20:
	s_inst_prefetch 0x2
	v_div_scale_f32 v0, null, v8, v8, v7
	v_rcp_f32_e32 v1, v0
	v_fma_f32 v2, -v0, v1, 1.0
	v_fmac_f32_e32 v1, v2, v1
	v_div_scale_f32 v2, vcc_lo, v7, v8, v7
	v_mul_f32_e32 v3, v2, v1
	v_fma_f32 v4, -v0, v3, v2
	v_fmac_f32_e32 v3, v4, v1
	v_fma_f32 v0, -v0, v3, v2
	v_div_fmas_f32 v0, v0, v1, v3
	v_div_fixup_f32 v0, v0, v8, v7
.LBB4_21:
	s_lshl_b32 s0, s6, 6
	s_ashr_i32 s1, s0, 31
	s_lshl_b64 s[0:1], s[0:1], 2
	s_add_u32 s0, s10, s0
	s_addc_u32 s1, s11, s1
	global_store_dword v5, v0, s[0:1]
	s_endpgm
	.section	.rodata,"a",@progbits
	.p2align	6, 0x0
	.amdhsa_kernel _ZL26flash_attn_combine_resultsILi64EEvPKfPK15HIP_vector_typeIfLj2EEPfi
		.amdhsa_group_segment_fixed_size 0
		.amdhsa_private_segment_fixed_size 0
		.amdhsa_kernarg_size 288
		.amdhsa_user_sgpr_count 6
		.amdhsa_user_sgpr_private_segment_buffer 1
		.amdhsa_user_sgpr_dispatch_ptr 0
		.amdhsa_user_sgpr_queue_ptr 0
		.amdhsa_user_sgpr_kernarg_segment_ptr 1
		.amdhsa_user_sgpr_dispatch_id 0
		.amdhsa_user_sgpr_flat_scratch_init 0
		.amdhsa_user_sgpr_private_segment_size 0
		.amdhsa_wavefront_size32 1
		.amdhsa_uses_dynamic_stack 0
		.amdhsa_system_sgpr_private_segment_wavefront_offset 0
		.amdhsa_system_sgpr_workgroup_id_x 1
		.amdhsa_system_sgpr_workgroup_id_y 1
		.amdhsa_system_sgpr_workgroup_id_z 1
		.amdhsa_system_sgpr_workgroup_info 0
		.amdhsa_system_vgpr_workitem_id 0
		.amdhsa_next_free_vgpr 52
		.amdhsa_next_free_sgpr 18
		.amdhsa_reserve_vcc 1
		.amdhsa_reserve_flat_scratch 0
		.amdhsa_float_round_mode_32 0
		.amdhsa_float_round_mode_16_64 0
		.amdhsa_float_denorm_mode_32 3
		.amdhsa_float_denorm_mode_16_64 3
		.amdhsa_dx10_clamp 1
		.amdhsa_ieee_mode 1
		.amdhsa_fp16_overflow 0
		.amdhsa_workgroup_processor_mode 1
		.amdhsa_memory_ordered 1
		.amdhsa_forward_progress 1
		.amdhsa_shared_vgpr_count 0
		.amdhsa_exception_fp_ieee_invalid_op 0
		.amdhsa_exception_fp_denorm_src 0
		.amdhsa_exception_fp_ieee_div_zero 0
		.amdhsa_exception_fp_ieee_overflow 0
		.amdhsa_exception_fp_ieee_underflow 0
		.amdhsa_exception_fp_ieee_inexact 0
		.amdhsa_exception_int_div_zero 0
	.end_amdhsa_kernel
	.section	.text._ZL26flash_attn_combine_resultsILi64EEvPKfPK15HIP_vector_typeIfLj2EEPfi,"axG",@progbits,_ZL26flash_attn_combine_resultsILi64EEvPKfPK15HIP_vector_typeIfLj2EEPfi,comdat
.Lfunc_end4:
	.size	_ZL26flash_attn_combine_resultsILi64EEvPKfPK15HIP_vector_typeIfLj2EEPfi, .Lfunc_end4-_ZL26flash_attn_combine_resultsILi64EEvPKfPK15HIP_vector_typeIfLj2EEPfi
                                        ; -- End function
	.set _ZL26flash_attn_combine_resultsILi64EEvPKfPK15HIP_vector_typeIfLj2EEPfi.num_vgpr, 52
	.set _ZL26flash_attn_combine_resultsILi64EEvPKfPK15HIP_vector_typeIfLj2EEPfi.num_agpr, 0
	.set _ZL26flash_attn_combine_resultsILi64EEvPKfPK15HIP_vector_typeIfLj2EEPfi.numbered_sgpr, 18
	.set _ZL26flash_attn_combine_resultsILi64EEvPKfPK15HIP_vector_typeIfLj2EEPfi.num_named_barrier, 0
	.set _ZL26flash_attn_combine_resultsILi64EEvPKfPK15HIP_vector_typeIfLj2EEPfi.private_seg_size, 0
	.set _ZL26flash_attn_combine_resultsILi64EEvPKfPK15HIP_vector_typeIfLj2EEPfi.uses_vcc, 1
	.set _ZL26flash_attn_combine_resultsILi64EEvPKfPK15HIP_vector_typeIfLj2EEPfi.uses_flat_scratch, 0
	.set _ZL26flash_attn_combine_resultsILi64EEvPKfPK15HIP_vector_typeIfLj2EEPfi.has_dyn_sized_stack, 0
	.set _ZL26flash_attn_combine_resultsILi64EEvPKfPK15HIP_vector_typeIfLj2EEPfi.has_recursion, 0
	.set _ZL26flash_attn_combine_resultsILi64EEvPKfPK15HIP_vector_typeIfLj2EEPfi.has_indirect_call, 0
	.section	.AMDGPU.csdata,"",@progbits
; Kernel info:
; codeLenInByte = 2260
; TotalNumSgprs: 20
; NumVgprs: 52
; ScratchSize: 0
; MemoryBound: 0
; FloatMode: 240
; IeeeMode: 1
; LDSByteSize: 0 bytes/workgroup (compile time only)
; SGPRBlocks: 0
; VGPRBlocks: 6
; NumSGPRsForWavesPerEU: 20
; NumVGPRsForWavesPerEU: 52
; Occupancy: 16
; WaveLimiterHint : 0
; COMPUTE_PGM_RSRC2:SCRATCH_EN: 0
; COMPUTE_PGM_RSRC2:USER_SGPR: 6
; COMPUTE_PGM_RSRC2:TRAP_HANDLER: 0
; COMPUTE_PGM_RSRC2:TGID_X_EN: 1
; COMPUTE_PGM_RSRC2:TGID_Y_EN: 1
; COMPUTE_PGM_RSRC2:TGID_Z_EN: 1
; COMPUTE_PGM_RSRC2:TIDIG_COMP_CNT: 0
	.section	.text._ZL15flash_attn_tileILi64ELi64ELi4ELi8ELb0EEvPKcS1_S1_S1_S1_PKiPfP15HIP_vector_typeIfLj2EEffffjfiS5_IjLj3EEiiiiiiiiiiiliiliiiiil,"axG",@progbits,_ZL15flash_attn_tileILi64ELi64ELi4ELi8ELb0EEvPKcS1_S1_S1_S1_PKiPfP15HIP_vector_typeIfLj2EEffffjfiS5_IjLj3EEiiiiiiiiiiiliiliiiiil,comdat
	.globl	_ZL15flash_attn_tileILi64ELi64ELi4ELi8ELb0EEvPKcS1_S1_S1_S1_PKiPfP15HIP_vector_typeIfLj2EEffffjfiS5_IjLj3EEiiiiiiiiiiiliiliiiiil ; -- Begin function _ZL15flash_attn_tileILi64ELi64ELi4ELi8ELb0EEvPKcS1_S1_S1_S1_PKiPfP15HIP_vector_typeIfLj2EEffffjfiS5_IjLj3EEiiiiiiiiiiiliiliiiiil
	.p2align	8
	.type	_ZL15flash_attn_tileILi64ELi64ELi4ELi8ELb0EEvPKcS1_S1_S1_S1_PKiPfP15HIP_vector_typeIfLj2EEffffjfiS5_IjLj3EEiiiiiiiiiiiliiliiiiil,@function
_ZL15flash_attn_tileILi64ELi64ELi4ELi8ELb0EEvPKcS1_S1_S1_S1_PKiPfP15HIP_vector_typeIfLj2EEffffjfiS5_IjLj3EEiiiiiiiiiiiliiliiiiil: ; @_ZL15flash_attn_tileILi64ELi64ELi4ELi8ELb0EEvPKcS1_S1_S1_S1_PKiPfP15HIP_vector_typeIfLj2EEffffjfiS5_IjLj3EEiiiiiiiiiiiliiliiiiil
; %bb.0:
	s_clause 0x1
	s_load_dwordx4 s[0:3], s[4:5], 0x5c
	s_load_dwordx2 s[34:35], s[4:5], 0x80
	s_mov_b32 s28, s7
	s_mov_b64 s[36:37], 0
	s_waitcnt lgkmcnt(0)
	s_ashr_i32 s7, s3, 31
	s_lshr_b32 s7, s7, 29
	s_add_i32 s7, s3, s7
	s_ashr_i32 s7, s7, 3
	v_cvt_f32_u32_e32 v2, s7
	s_sub_i32 s10, 0, s7
	v_rcp_iflag_f32_e32 v2, v2
	v_mul_f32_e32 v2, 0x4f7ffffe, v2
	v_cvt_u32_f32_e32 v2, v2
	v_readfirstlane_b32 s9, v2
	s_mul_i32 s10, s10, s9
	s_mul_hi_u32 s10, s9, s10
	s_add_i32 s9, s9, s10
	s_mul_hi_u32 s9, s8, s9
	s_mul_i32 s10, s9, s7
	s_add_i32 s11, s9, 1
	s_sub_i32 s10, s8, s10
	s_sub_i32 s12, s10, s7
	s_cmp_ge_u32 s10, s7
	s_cselect_b32 s9, s11, s9
	s_cselect_b32 s10, s12, s10
	s_add_i32 s11, s9, 1
	s_cmp_ge_u32 s10, s7
	s_cselect_b32 s7, s11, s9
	s_abs_i32 s9, s35
	s_lshl_b32 s8, s8, 3
	v_cvt_f32_u32_e32 v2, s9
	s_sub_i32 s11, 0, s9
	s_mul_i32 s12, s7, s3
	s_abs_i32 s13, s3
	s_sub_i32 s30, s8, s12
	v_rcp_iflag_f32_e32 v2, v2
	v_mul_f32_e32 v2, 0x4f7ffffe, v2
	v_cvt_u32_f32_e32 v2, v2
	v_readfirstlane_b32 s10, v2
	s_mul_i32 s11, s11, s10
	s_mul_hi_u32 s11, s10, s11
	s_add_i32 s10, s10, s11
	s_mul_hi_u32 s8, s13, s10
	s_xor_b32 s10, s3, s35
	s_mul_i32 s11, s8, s9
	s_ashr_i32 s10, s10, 31
	s_sub_i32 s11, s13, s11
	s_add_i32 s12, s8, 1
	s_sub_i32 s13, s11, s9
	s_cmp_ge_u32 s11, s9
	s_cselect_b32 s8, s12, s8
	s_cselect_b32 s11, s13, s11
	s_add_i32 s12, s8, 1
	s_cmp_ge_u32 s11, s9
	s_cselect_b32 s8, s12, s8
	s_xor_b32 s8, s8, s10
	s_sub_i32 s31, s8, s10
	s_clause 0x1
	s_load_dwordx16 s[8:23], s[4:5], 0x0
	s_load_dwordx2 s[38:39], s[4:5], 0xb8
	s_abs_i32 s29, s31
	v_cvt_f32_u32_e32 v2, s29
	v_rcp_iflag_f32_e32 v2, v2
	v_mul_f32_e32 v2, 0x4f7ffffe, v2
	s_waitcnt lgkmcnt(0)
	s_cmp_eq_u64 s[14:15], 0
	v_cvt_u32_f32_e32 v2, v2
	v_readfirstlane_b32 s33, v2
	s_cbranch_scc1 .LBB5_2
; %bb.1:
	s_abs_i32 s26, s38
	s_abs_i32 s27, s7
	v_cvt_f32_u32_e32 v2, s26
	s_sub_i32 s25, 0, s26
	v_rcp_iflag_f32_e32 v2, v2
	v_mul_f32_e32 v2, 0x4f7ffffe, v2
	v_cvt_u32_f32_e32 v2, v2
	v_readfirstlane_b32 s24, v2
	s_mul_i32 s25, s25, s24
	s_mul_hi_u32 s25, s24, s25
	s_add_i32 s24, s24, s25
	s_mul_hi_u32 s35, s27, s24
	s_load_dwordx2 s[24:25], s[4:5], 0xc8
	s_mul_i32 s35, s35, s26
	s_sub_i32 s27, s27, s35
	s_ashr_i32 s35, s7, 31
	s_sub_i32 s36, s27, s26
	s_cmp_ge_u32 s27, s26
	s_cselect_b32 s27, s36, s27
	s_sub_i32 s36, s27, s26
	s_cmp_ge_u32 s27, s26
	s_cselect_b32 s26, s36, s27
	s_xor_b32 s26, s26, s35
	s_sub_i32 s26, s26, s35
	s_ashr_i32 s27, s26, 31
	s_waitcnt lgkmcnt(0)
	s_mul_hi_u32 s35, s24, s26
	s_mul_i32 s27, s24, s27
	s_mul_i32 s25, s25, s26
	s_add_i32 s27, s35, s27
	s_mul_i32 s24, s24, s26
	s_add_i32 s27, s27, s25
	s_add_u32 s36, s14, s24
	s_addc_u32 s37, s15, s27
.LBB5_2:
	v_lshl_add_u32 v25, s6, 2, v1
	s_load_dwordx4 s[24:27], s[4:5], 0x70
	v_mul_hi_u32 v2, s0, v25
	v_add_nc_u32_e32 v2, v25, v2
	v_lshrrev_b32_e32 v2, s1, v2
	s_waitcnt lgkmcnt(0)
	s_mul_i32 s1, s7, s26
	s_mul_i32 s14, s30, s25
	v_mul_lo_u32 v2, v2, s2
	s_ashr_i32 s15, s1, 31
	s_add_u32 s1, s8, s1
	s_addc_u32 s8, s9, s15
	s_ashr_i32 s9, s14, 31
	s_add_u32 s26, s1, s14
	s_mov_b32 s0, s24
	s_addc_u32 s27, s8, s9
	v_sub_nc_u32_e32 v2, v25, v2
	s_ashr_i32 s1, s24, 31
	s_lshr_b64 s[8:9], s[0:1], 2
	s_lshr_b32 s0, s1, 2
	v_mad_u64_u32 v[3:4], null, s8, v2, 0
	s_ashr_i32 s1, s25, 31
	s_and_b32 s8, s25, -4
	s_and_b32 s9, s1, 0x3fffffff
	v_mad_u64_u32 v[4:5], null, s0, v2, v[4:5]
	v_lshlrev_b32_e32 v5, 3, v0
	s_mov_b32 s0, s25
	s_lshr_b64 s[14:15], s[0:1], 2
	s_lshr_b32 s0, s1, 2
	s_lshl_b64 s[24:25], s[14:15], 3
	v_lshlrev_b64 v[3:4], 2, v[3:4]
	v_add_co_u32 v3, vcc_lo, s26, v3
	v_add_co_ci_u32_e64 v4, null, s27, v4, vcc_lo
	s_lshl_b64 s[26:27], s[8:9], 2
	v_add_co_u32 v3, vcc_lo, v3, v5
	v_add_co_ci_u32_e64 v4, null, 0, v4, vcc_lo
	s_cmp_eq_u64 s[18:19], 0
	v_add_co_u32 v5, vcc_lo, v3, s8
	v_add_co_ci_u32_e64 v6, null, s1, v4, vcc_lo
	v_add_co_u32 v7, vcc_lo, v3, s24
	v_add_co_ci_u32_e64 v8, null, s25, v4, vcc_lo
	;; [unrolled: 2-line block ×3, first 2 shown]
	v_mad_u64_u32 v[9:10], null, s14, 12, v[3:4]
	v_mad_u64_u32 v[13:14], null, s14, 20, v[3:4]
	;; [unrolled: 1-line block ×4, first 2 shown]
	s_clause 0x3
	global_load_dwordx2 v[19:20], v[3:4], off
	global_load_dwordx2 v[4:5], v[5:6], off
	;; [unrolled: 1-line block ×4, first 2 shown]
	v_mov_b32_e32 v3, v10
	v_mov_b32_e32 v8, v14
	;; [unrolled: 1-line block ×4, first 2 shown]
	v_mad_u64_u32 v[26:27], null, s0, 28, v[14:15]
	v_mov_b32_e32 v18, v26
	s_waitcnt vmcnt(2)
	v_mad_u64_u32 v[21:22], null, s0, 12, v[3:4]
	v_mad_u64_u32 v[22:23], null, s0, 20, v[8:9]
	s_waitcnt vmcnt(0)
	v_mad_u64_u32 v[23:24], null, s0, 24, v[10:11]
	s_load_dword s0, s[4:5], 0x40
	v_lshlrev_b32_e32 v3, 10, v1
	v_mov_b32_e32 v10, v21
	v_mov_b32_e32 v14, v22
	;; [unrolled: 1-line block ×3, first 2 shown]
	s_clause 0x3
	global_load_dwordx2 v[8:9], v[9:10], off
	global_load_dwordx2 v[13:14], v[13:14], off
	;; [unrolled: 1-line block ×4, first 2 shown]
	v_add_nc_u32_e32 v24, 0x3400, v3
	s_waitcnt lgkmcnt(0)
	v_fma_mixlo_f16 v5, s0, v5, 0
	v_fma_mixlo_f16 v7, s0, v7, 0
	v_fma_mixlo_f16 v4, s0, v4, 0
	v_fma_mixlo_f16 v6, s0, v6, 0
	v_fma_mixlo_f16 v10, s0, v20, 0
	v_lshlrev_b32_e32 v5, 16, v5
	v_lshlrev_b32_e32 v7, 16, v7
	v_fma_mixlo_f16 v12, s0, v12, 0
	v_fma_mixlo_f16 v19, s0, v19, 0
	v_lshlrev_b32_e32 v10, 16, v10
	v_or_b32_sdwa v4, v5, v4 dst_sel:DWORD dst_unused:UNUSED_PAD src0_sel:DWORD src1_sel:WORD_0
	v_or_b32_sdwa v5, v7, v6 dst_sel:DWORD dst_unused:UNUSED_PAD src0_sel:DWORD src1_sel:WORD_0
	v_fma_mixlo_f16 v11, s0, v11, 0
	v_lshlrev_b32_e32 v12, 16, v12
	v_lshl_or_b32 v20, v0, 2, v24
	v_or_b32_sdwa v10, v10, v19 dst_sel:DWORD dst_unused:UNUSED_PAD src0_sel:DWORD src1_sel:WORD_0
	v_or_b32_sdwa v11, v12, v11 dst_sel:DWORD dst_unused:UNUSED_PAD src0_sel:DWORD src1_sel:WORD_0
	s_waitcnt vmcnt(3)
	v_fma_mixlo_f16 v7, s0, v9, 0
	s_waitcnt vmcnt(2)
	v_fma_mixlo_f16 v9, s0, v14, 0
	v_fma_mixlo_f16 v6, s0, v8, 0
	;; [unrolled: 1-line block ×3, first 2 shown]
	s_waitcnt vmcnt(1)
	v_fma_mixlo_f16 v13, s0, v15, 0
	v_fma_mixlo_f16 v14, s0, v16, 0
	s_waitcnt vmcnt(0)
	v_fma_mixlo_f16 v15, s0, v18, 0
	v_lshlrev_b32_e32 v7, 16, v7
	v_lshlrev_b32_e32 v9, 16, v9
	v_fma_mixlo_f16 v16, s0, v17, 0
	v_lshlrev_b32_e32 v14, 16, v14
	v_lshlrev_b32_e32 v15, 16, v15
	v_or_b32_sdwa v6, v7, v6 dst_sel:DWORD dst_unused:UNUSED_PAD src0_sel:DWORD src1_sel:WORD_0
	v_or_b32_sdwa v7, v9, v8 dst_sel:DWORD dst_unused:UNUSED_PAD src0_sel:DWORD src1_sel:WORD_0
	v_or_b32_sdwa v8, v14, v13 dst_sel:DWORD dst_unused:UNUSED_PAD src0_sel:DWORD src1_sel:WORD_0
	v_or_b32_sdwa v9, v15, v16 dst_sel:DWORD dst_unused:UNUSED_PAD src0_sel:DWORD src1_sel:WORD_0
	ds_write2_b32 v20, v10, v4 offset1:32
	ds_write2_b32 v20, v5, v6 offset0:64 offset1:96
	ds_write2_b32 v20, v11, v7 offset0:128 offset1:160
	ds_write2_b32 v20, v8, v9 offset0:192 offset1:224
	s_waitcnt lgkmcnt(0)
	s_barrier
	buffer_gl0_inv
	s_cbranch_scc1 .LBB5_4
; %bb.3:
	s_load_dword s0, s[4:5], 0xd0
	s_mov_b32 s1, 0
	s_waitcnt lgkmcnt(0)
	s_mul_i32 s0, s0, s7
	s_add_i32 s0, s0, s6
	s_lshl_b64 s[0:1], s[0:1], 2
	s_add_u32 s0, s18, s0
	s_addc_u32 s1, s19, s1
	s_load_dword s34, s[0:1], 0x0
.LBB5_4:
	v_mbcnt_lo_u32_b32 v38, -1, 0
	s_lshl_b32 s6, s28, 6
	s_waitcnt lgkmcnt(0)
	s_cmp_lt_i32 s6, s34
	s_cbranch_scc1 .LBB5_7
; %bb.5:
	v_mbcnt_lo_u32_b32 v9, -1, 0
	v_mov_b32_e32 v36, 32
	v_xor_b32_e32 v43, 16, v9
	v_xor_b32_e32 v41, 8, v9
	;; [unrolled: 1-line block ×5, first 2 shown]
	s_cbranch_execz .LBB5_8
; %bb.6:
	v_mov_b32_e32 v72, 0
	v_mov_b32_e32 v42, 0
	;; [unrolled: 1-line block ×24, first 2 shown]
	s_branch .LBB5_11
.LBB5_7:
                                        ; implicit-def: $vgpr9
                                        ; implicit-def: $vgpr36
                                        ; implicit-def: $vgpr43
                                        ; implicit-def: $vgpr41
                                        ; implicit-def: $vgpr40
                                        ; implicit-def: $vgpr39
                                        ; implicit-def: $vgpr37
.LBB5_8:
	s_clause 0x1
	s_load_dwordx4 s[24:27], s[4:5], 0x98
	s_load_dwordx2 s[0:1], s[4:5], 0x8c
	s_sub_i32 s8, 0, s29
	s_ashr_i32 s38, s7, 31
	s_mul_i32 s8, s8, s33
	s_abs_i32 s18, s30
	s_mul_hi_u32 s8, s33, s8
	s_ashr_i32 s19, s30, 31
	s_add_i32 s33, s33, s8
	s_ashr_i32 s31, s31, 31
	s_mul_hi_u32 s33, s18, s33
	s_load_dwordx2 s[14:15], s[4:5], 0xa8
	s_ashr_i32 s35, s39, 1
	s_mul_i32 s39, s33, s29
	v_lshrrev_b32_e32 v4, 3, v0
	v_lshlrev_b32_e32 v44, 2, v0
	v_add_nc_u32_e32 v51, 0x2400, v3
	v_lshlrev_b32_e32 v22, 4, v0
	v_mov_b32_e32 v28, 0
	v_lshl_add_u32 v1, v1, 2, v4
	s_waitcnt lgkmcnt(0)
	s_ashr_i32 s8, s26, 2
	s_ashr_i32 s9, s0, 2
	s_mul_hi_u32 s0, s24, s7
	s_mul_i32 s26, s24, s38
	s_mul_i32 s25, s25, s7
	s_add_i32 s0, s0, s26
	s_mul_i32 s24, s24, s7
	s_add_i32 s0, s0, s25
	s_add_u32 s10, s10, s24
	s_addc_u32 s0, s11, s0
	s_sub_i32 s18, s18, s39
	s_xor_b32 s11, s19, s31
	s_add_i32 s19, s33, 1
	s_sub_i32 s24, s18, s29
	s_cmp_ge_u32 s18, s29
	s_mul_i32 s15, s15, s7
	s_cselect_b32 s19, s19, s33
	s_cselect_b32 s18, s24, s18
	s_add_i32 s24, s19, 1
	s_cmp_ge_u32 s18, s29
	v_mul_lo_u32 v4, s9, v1
	s_cselect_b32 s18, s24, s19
	s_mul_hi_u32 s19, s14, s7
	s_xor_b32 s18, s18, s11
	s_mul_i32 s24, s14, s38
	s_sub_i32 s18, s18, s11
	v_mul_lo_u32 v18, s8, v1
	s_mul_i32 s1, s18, s1
	s_mul_i32 s18, s18, s27
	s_ashr_i32 s11, s1, 31
	s_add_u32 s10, s10, s1
	s_addc_u32 s11, s0, s11
	s_add_i32 s0, s19, s24
	s_mul_i32 s1, s14, s7
	s_add_i32 s0, s0, s15
	s_add_u32 s1, s12, s1
	s_addc_u32 s0, s13, s0
	s_ashr_i32 s13, s18, 31
	s_add_u32 s12, s1, s18
	s_addc_u32 s13, s0, s13
	s_lshl_b32 s0, s9, 4
	v_mad_u64_u32 v[9:10], null, v2, s35, v[0:1]
	v_add_nc_u32_e32 v6, s0, v4
	v_and_b32_e32 v8, 28, v44
	v_ashrrev_i32_e32 v5, 31, v4
	v_ashrrev_i32_e32 v19, 31, v18
	v_add_nc_u32_e32 v56, v51, v22
	v_add_nc_u32_e32 v14, s0, v6
	v_lshlrev_b32_e32 v11, 2, v8
	v_ashrrev_i32_e32 v7, 31, v6
	v_mul_u32_u24_e32 v49, 0x90, v0
	v_lshlrev_b32_e32 v55, 2, v8
	v_add_nc_u32_e32 v16, s0, v14
	s_lshl_b32 s0, s8, 4
	v_ashrrev_i32_e32 v15, 31, v14
	v_add_nc_u32_e32 v20, s0, v18
	v_mad_u32_u24 v45, 0x90, v1, v11
	v_ashrrev_i32_e32 v17, 31, v16
	v_lshl_or_b32 v50, v1, 7, v11
	v_lshlrev_b64 v[10:11], 2, v[4:5]
	v_add_nc_u32_e32 v2, s0, v20
	v_ashrrev_i32_e32 v21, 31, v20
	v_lshlrev_b64 v[12:13], 2, v[6:7]
	v_lshlrev_b64 v[14:15], 2, v[14:15]
	;; [unrolled: 1-line block ×3, first 2 shown]
	v_add_nc_u32_e32 v26, s0, v2
	v_ashrrev_i32_e32 v3, 31, v2
	v_lshlrev_b64 v[18:19], 2, v[18:19]
	v_lshlrev_b64 v[20:21], 2, v[20:21]
	v_add_nc_u32_e32 v46, 0x900, v45
	v_ashrrev_i32_e32 v27, 31, v26
	v_lshlrev_b64 v[22:23], 2, v[2:3]
	v_add_nc_u32_e32 v47, 0x1200, v45
	v_add_nc_u32_e32 v48, 0x1b00, v45
	;; [unrolled: 1-line block ×3, first 2 shown]
	v_lshlrev_b64 v[26:27], 2, v[26:27]
	v_add_nc_u32_e32 v53, 0x1000, v50
	v_add_nc_u32_e32 v54, 0x1800, v50
	v_mov_b32_e32 v1, 0xfeffffff
	v_mov_b32_e32 v36, 32
	v_xor_b32_e32 v43, 16, v38
	v_xor_b32_e32 v41, 8, v38
	;; [unrolled: 1-line block ×5, first 2 shown]
	v_mov_b32_e32 v57, 0x10001
	v_add_nc_u32_e32 v58, 0x400, v44
	v_add_nc_u32_e32 v59, 0x800, v44
	;; [unrolled: 1-line block ×7, first 2 shown]
	v_mov_b32_e32 v30, 0
	v_mov_b32_e32 v31, 0
	;; [unrolled: 1-line block ×22, first 2 shown]
	s_add_u32 s0, s4, 0xd0
	s_addc_u32 s1, s5, 0
.LBB5_9:                                ; =>This Inner Loop Header: Depth=1
	s_mul_hi_i32 s15, s6, s9
	s_mul_i32 s14, s6, s9
	v_mov_b32_e32 v29, v71
	s_lshl_b64 s[14:15], s[14:15], 2
	v_mov_b32_e32 v71, v70
	s_add_u32 s14, s10, s14
	v_mov_b32_e32 v70, v69
	v_mov_b32_e32 v69, v68
	v_mov_b32_e32 v68, v67
	v_mov_b32_e32 v67, v66
	v_mov_b32_e32 v66, v65
	v_mov_b32_e32 v65, v1
	s_addc_u32 s15, s11, s15
	v_add_co_u32 v1, vcc_lo, s14, v10
	v_mov_b32_e32 v79, v2
	v_add_co_ci_u32_e64 v2, null, s15, v11, vcc_lo
	v_add_co_u32 v1, vcc_lo, v1, v55
	v_mov_b32_e32 v77, v4
	v_add_co_ci_u32_e64 v2, null, 0, v2, vcc_lo
	v_mov_b32_e32 v78, v3
	v_mov_b32_e32 v76, v5
	;; [unrolled: 1-line block ×3, first 2 shown]
	global_load_dwordx4 v[1:4], v[1:2], off
	v_mov_b32_e32 v75, v6
	v_mov_b32_e32 v6, 0
	;; [unrolled: 1-line block ×10, first 2 shown]
	s_waitcnt vmcnt(0)
	ds_write_b128 v45, v[1:4]
	v_add_co_u32 v1, vcc_lo, s14, v12
	v_add_co_ci_u32_e64 v2, null, s15, v13, vcc_lo
	v_add_co_u32 v1, vcc_lo, v1, v55
	v_add_co_ci_u32_e64 v2, null, 0, v2, vcc_lo
	global_load_dwordx4 v[1:4], v[1:2], off
	s_waitcnt vmcnt(0)
	ds_write_b128 v46, v[1:4]
	v_add_co_u32 v1, vcc_lo, s14, v14
	v_add_co_ci_u32_e64 v2, null, s15, v15, vcc_lo
	v_add_co_u32 v1, vcc_lo, v1, v55
	v_add_co_ci_u32_e64 v2, null, 0, v2, vcc_lo
	global_load_dwordx4 v[1:4], v[1:2], off
	s_waitcnt vmcnt(0)
	ds_write_b128 v47, v[1:4]
	v_add_co_u32 v1, vcc_lo, s14, v16
	v_add_co_ci_u32_e64 v2, null, s15, v17, vcc_lo
	s_mul_hi_i32 s15, s6, s8
	v_add_co_u32 v1, vcc_lo, v1, v55
	v_add_co_ci_u32_e64 v2, null, 0, v2, vcc_lo
	v_cmp_gt_i32_e32 vcc_lo, 32, v43
	s_mul_i32 s14, s6, s8
	global_load_dwordx4 v[1:4], v[1:2], off
	s_lshl_b64 s[14:15], s[14:15], 2
	s_add_u32 s14, s12, s14
	s_addc_u32 s15, s13, s15
	s_waitcnt vmcnt(0)
	ds_write_b128 v48, v[1:4]
	s_waitcnt lgkmcnt(0)
	s_barrier
	buffer_gl0_inv
	ds_read_b128 v[80:83], v49
	ds_read_b128 v[88:91], v49 offset:4608
	ds_read_b128 v[92:95], v24
	ds_read_b128 v[96:99], v24 offset:128
	ds_read_b128 v[100:103], v24 offset:256
	;; [unrolled: 1-line block ×7, first 2 shown]
	v_mov_b32_e32 v1, 0
	s_waitcnt lgkmcnt(7)
	;;#ASMSTART
	v_dot2_f32_f16 v1, v80, v92, v1
	;;#ASMEND
	;;#ASMSTART
	v_dot2_f32_f16 v1, v81, v93, v1
	;;#ASMEND
	;;#ASMSTART
	v_dot2_f32_f16 v1, v82, v94, v1
	;;#ASMEND
	v_mov_b32_e32 v2, 0
	;;#ASMSTART
	v_dot2_f32_f16 v1, v83, v95, v1
	;;#ASMEND
	s_waitcnt lgkmcnt(6)
	;;#ASMSTART
	v_dot2_f32_f16 v2, v80, v96, v2
	;;#ASMEND
	;;#ASMSTART
	v_dot2_f32_f16 v2, v81, v97, v2
	;;#ASMEND
	;;#ASMSTART
	v_dot2_f32_f16 v2, v82, v98, v2
	;;#ASMEND
	v_mov_b32_e32 v3, 0
	;;#ASMSTART
	v_dot2_f32_f16 v2, v83, v99, v2
	;;#ASMEND
	;; [unrolled: 14-line block ×3, first 2 shown]
	s_waitcnt lgkmcnt(4)
	;;#ASMSTART
	v_dot2_f32_f16 v4, v80, v104, v4
	;;#ASMEND
	;;#ASMSTART
	v_dot2_f32_f16 v4, v81, v105, v4
	;;#ASMEND
	;;#ASMSTART
	v_dot2_f32_f16 v4, v82, v106, v4
	;;#ASMEND
	;;#ASMSTART
	v_dot2_f32_f16 v4, v83, v107, v4
	;;#ASMEND
	s_waitcnt lgkmcnt(3)
	;;#ASMSTART
	v_dot2_f32_f16 v5, v80, v108, v5
	;;#ASMEND
	;;#ASMSTART
	v_dot2_f32_f16 v5, v81, v109, v5
	;;#ASMEND
	;;#ASMSTART
	v_dot2_f32_f16 v5, v82, v110, v5
	;;#ASMEND
	;;#ASMSTART
	v_dot2_f32_f16 v5, v83, v111, v5
	;;#ASMEND
	;; [unrolled: 13-line block ×5, first 2 shown]
	;;#ASMSTART
	v_dot2_f32_f16 v87, v88, v92, v87
	;;#ASMEND
	;;#ASMSTART
	v_dot2_f32_f16 v87, v89, v93, v87
	;;#ASMEND
	;; [unrolled: 3-line block ×15, first 2 shown]
	v_mov_b32_e32 v83, 0
	;;#ASMSTART
	v_dot2_f32_f16 v84, v91, v107, v84
	;;#ASMEND
	;;#ASMSTART
	v_dot2_f32_f16 v83, v88, v108, v83
	;;#ASMEND
	;;#ASMSTART
	v_dot2_f32_f16 v83, v89, v109, v83
	;;#ASMEND
	;;#ASMSTART
	v_dot2_f32_f16 v83, v90, v110, v83
	;;#ASMEND
	v_mov_b32_e32 v82, 0
	;;#ASMSTART
	v_dot2_f32_f16 v83, v91, v111, v83
	;;#ASMEND
	;;#ASMSTART
	v_dot2_f32_f16 v82, v88, v112, v82
	;;#ASMEND
	;;#ASMSTART
	v_dot2_f32_f16 v82, v89, v113, v82
	;;#ASMEND
	;;#ASMSTART
	v_dot2_f32_f16 v82, v90, v114, v82
	;;#ASMEND
	;; [unrolled: 13-line block ×4, first 2 shown]
	;;#ASMSTART
	v_dot2_f32_f16 v80, v91, v123, v80
	;;#ASMEND
	ds_read_b128 v[88:91], v49 offset:16
	ds_read_b128 v[92:95], v49 offset:4624
	;; [unrolled: 1-line block ×10, first 2 shown]
	s_waitcnt lgkmcnt(7)
	;;#ASMSTART
	v_dot2_f32_f16 v1, v88, v96, v1
	;;#ASMEND
	;;#ASMSTART
	v_dot2_f32_f16 v1, v89, v97, v1
	;;#ASMEND
	;;#ASMSTART
	v_dot2_f32_f16 v1, v90, v98, v1
	;;#ASMEND
	;;#ASMSTART
	v_dot2_f32_f16 v1, v91, v99, v1
	;;#ASMEND
	s_waitcnt lgkmcnt(6)
	;;#ASMSTART
	v_dot2_f32_f16 v2, v88, v100, v2
	;;#ASMEND
	;;#ASMSTART
	v_dot2_f32_f16 v2, v89, v101, v2
	;;#ASMEND
	;;#ASMSTART
	v_dot2_f32_f16 v2, v90, v102, v2
	;;#ASMEND
	;;#ASMSTART
	v_dot2_f32_f16 v2, v91, v103, v2
	;;#ASMEND
	;; [unrolled: 13-line block ×8, first 2 shown]
	;;#ASMSTART
	v_dot2_f32_f16 v87, v92, v96, v87
	;;#ASMEND
	;;#ASMSTART
	v_dot2_f32_f16 v87, v93, v97, v87
	;;#ASMEND
	;; [unrolled: 3-line block ×32, first 2 shown]
	ds_read_b128 v[88:91], v49 offset:32
	ds_read_b128 v[92:95], v49 offset:4640
	;; [unrolled: 1-line block ×10, first 2 shown]
	s_waitcnt lgkmcnt(7)
	;;#ASMSTART
	v_dot2_f32_f16 v1, v88, v96, v1
	;;#ASMEND
	;;#ASMSTART
	v_dot2_f32_f16 v1, v89, v97, v1
	;;#ASMEND
	;;#ASMSTART
	v_dot2_f32_f16 v1, v90, v98, v1
	;;#ASMEND
	;;#ASMSTART
	v_dot2_f32_f16 v1, v91, v99, v1
	;;#ASMEND
	s_waitcnt lgkmcnt(6)
	;;#ASMSTART
	v_dot2_f32_f16 v2, v88, v100, v2
	;;#ASMEND
	;;#ASMSTART
	v_dot2_f32_f16 v2, v89, v101, v2
	;;#ASMEND
	;;#ASMSTART
	v_dot2_f32_f16 v2, v90, v102, v2
	;;#ASMEND
	;;#ASMSTART
	v_dot2_f32_f16 v2, v91, v103, v2
	;;#ASMEND
	;; [unrolled: 13-line block ×8, first 2 shown]
	;;#ASMSTART
	v_dot2_f32_f16 v87, v92, v96, v87
	;;#ASMEND
	;;#ASMSTART
	v_dot2_f32_f16 v87, v93, v97, v87
	;;#ASMEND
	;; [unrolled: 3-line block ×32, first 2 shown]
	ds_read_b128 v[88:91], v49 offset:48
	ds_read_b128 v[92:95], v49 offset:4656
	;; [unrolled: 1-line block ×10, first 2 shown]
	s_waitcnt lgkmcnt(7)
	;;#ASMSTART
	v_dot2_f32_f16 v1, v88, v96, v1
	;;#ASMEND
	;;#ASMSTART
	v_dot2_f32_f16 v1, v89, v97, v1
	;;#ASMEND
	;;#ASMSTART
	v_dot2_f32_f16 v1, v90, v98, v1
	;;#ASMEND
	;;#ASMSTART
	v_dot2_f32_f16 v1, v91, v99, v1
	;;#ASMEND
	s_waitcnt lgkmcnt(6)
	;;#ASMSTART
	v_dot2_f32_f16 v2, v88, v100, v2
	;;#ASMEND
	;;#ASMSTART
	v_dot2_f32_f16 v2, v89, v101, v2
	;;#ASMEND
	;;#ASMSTART
	v_dot2_f32_f16 v2, v90, v102, v2
	;;#ASMEND
	;;#ASMSTART
	v_dot2_f32_f16 v2, v91, v103, v2
	;;#ASMEND
	;; [unrolled: 13-line block ×8, first 2 shown]
	;;#ASMSTART
	v_dot2_f32_f16 v87, v92, v96, v87
	;;#ASMEND
	;;#ASMSTART
	v_dot2_f32_f16 v87, v93, v97, v87
	;;#ASMEND
	;;#ASMSTART
	v_dot2_f32_f16 v87, v94, v98, v87
	;;#ASMEND
	;;#ASMSTART
	v_dot2_f32_f16 v87, v95, v99, v87
	;;#ASMEND
	;;#ASMSTART
	v_dot2_f32_f16 v86, v92, v100, v86
	;;#ASMEND
	;;#ASMSTART
	v_dot2_f32_f16 v86, v93, v101, v86
	;;#ASMEND
	;;#ASMSTART
	v_dot2_f32_f16 v86, v94, v102, v86
	;;#ASMEND
	;;#ASMSTART
	v_dot2_f32_f16 v86, v95, v103, v86
	;;#ASMEND
	;;#ASMSTART
	v_dot2_f32_f16 v85, v92, v104, v85
	;;#ASMEND
	;;#ASMSTART
	v_dot2_f32_f16 v85, v93, v105, v85
	;;#ASMEND
	;;#ASMSTART
	v_dot2_f32_f16 v85, v94, v106, v85
	;;#ASMEND
	;;#ASMSTART
	v_dot2_f32_f16 v85, v95, v107, v85
	;;#ASMEND
	;;#ASMSTART
	v_dot2_f32_f16 v84, v92, v108, v84
	;;#ASMEND
	;;#ASMSTART
	v_dot2_f32_f16 v84, v93, v109, v84
	;;#ASMEND
	;;#ASMSTART
	v_dot2_f32_f16 v84, v94, v110, v84
	;;#ASMEND
	;;#ASMSTART
	v_dot2_f32_f16 v84, v95, v111, v84
	;;#ASMEND
	;;#ASMSTART
	v_dot2_f32_f16 v83, v92, v112, v83
	;;#ASMEND
	;;#ASMSTART
	v_dot2_f32_f16 v83, v93, v113, v83
	;;#ASMEND
	;;#ASMSTART
	v_dot2_f32_f16 v83, v94, v114, v83
	;;#ASMEND
	;;#ASMSTART
	v_dot2_f32_f16 v83, v95, v115, v83
	;;#ASMEND
	;;#ASMSTART
	v_dot2_f32_f16 v82, v92, v116, v82
	;;#ASMEND
	;;#ASMSTART
	v_dot2_f32_f16 v82, v93, v117, v82
	;;#ASMEND
	;;#ASMSTART
	v_dot2_f32_f16 v82, v94, v118, v82
	;;#ASMEND
	;;#ASMSTART
	v_dot2_f32_f16 v82, v95, v119, v82
	;;#ASMEND
	;;#ASMSTART
	v_dot2_f32_f16 v81, v92, v120, v81
	;;#ASMEND
	;;#ASMSTART
	v_dot2_f32_f16 v81, v93, v121, v81
	;;#ASMEND
	;;#ASMSTART
	v_dot2_f32_f16 v81, v94, v122, v81
	;;#ASMEND
	;;#ASMSTART
	v_dot2_f32_f16 v81, v95, v123, v81
	;;#ASMEND
	;;#ASMSTART
	v_dot2_f32_f16 v80, v92, v124, v80
	;;#ASMEND
	;;#ASMSTART
	v_dot2_f32_f16 v80, v93, v125, v80
	;;#ASMEND
	;;#ASMSTART
	v_dot2_f32_f16 v80, v94, v126, v80
	;;#ASMEND
	;;#ASMSTART
	v_dot2_f32_f16 v80, v95, v127, v80
	;;#ASMEND
	ds_read_b128 v[88:91], v49 offset:64
	ds_read_b128 v[92:95], v49 offset:4672
	;; [unrolled: 1-line block ×10, first 2 shown]
	s_waitcnt lgkmcnt(7)
	;;#ASMSTART
	v_dot2_f32_f16 v1, v88, v96, v1
	;;#ASMEND
	;;#ASMSTART
	v_dot2_f32_f16 v1, v89, v97, v1
	;;#ASMEND
	;;#ASMSTART
	v_dot2_f32_f16 v1, v90, v98, v1
	;;#ASMEND
	;;#ASMSTART
	v_dot2_f32_f16 v1, v91, v99, v1
	;;#ASMEND
	s_waitcnt lgkmcnt(6)
	;;#ASMSTART
	v_dot2_f32_f16 v2, v88, v100, v2
	;;#ASMEND
	;;#ASMSTART
	v_dot2_f32_f16 v2, v89, v101, v2
	;;#ASMEND
	;;#ASMSTART
	v_dot2_f32_f16 v2, v90, v102, v2
	;;#ASMEND
	;;#ASMSTART
	v_dot2_f32_f16 v2, v91, v103, v2
	;;#ASMEND
	;; [unrolled: 13-line block ×8, first 2 shown]
	;;#ASMSTART
	v_dot2_f32_f16 v87, v92, v96, v87
	;;#ASMEND
	;;#ASMSTART
	v_dot2_f32_f16 v87, v93, v97, v87
	;;#ASMEND
	;; [unrolled: 3-line block ×32, first 2 shown]
	ds_read_b128 v[88:91], v49 offset:80
	ds_read_b128 v[92:95], v49 offset:4688
	;; [unrolled: 1-line block ×10, first 2 shown]
	s_waitcnt lgkmcnt(7)
	;;#ASMSTART
	v_dot2_f32_f16 v1, v88, v96, v1
	;;#ASMEND
	;;#ASMSTART
	v_dot2_f32_f16 v1, v89, v97, v1
	;;#ASMEND
	;;#ASMSTART
	v_dot2_f32_f16 v1, v90, v98, v1
	;;#ASMEND
	;;#ASMSTART
	v_dot2_f32_f16 v1, v91, v99, v1
	;;#ASMEND
	s_waitcnt lgkmcnt(6)
	;;#ASMSTART
	v_dot2_f32_f16 v2, v88, v100, v2
	;;#ASMEND
	;;#ASMSTART
	v_dot2_f32_f16 v2, v89, v101, v2
	;;#ASMEND
	;;#ASMSTART
	v_dot2_f32_f16 v2, v90, v102, v2
	;;#ASMEND
	;;#ASMSTART
	v_dot2_f32_f16 v2, v91, v103, v2
	;;#ASMEND
	;; [unrolled: 13-line block ×8, first 2 shown]
	;;#ASMSTART
	v_dot2_f32_f16 v87, v92, v96, v87
	;;#ASMEND
	;;#ASMSTART
	v_dot2_f32_f16 v87, v93, v97, v87
	;;#ASMEND
	;; [unrolled: 3-line block ×32, first 2 shown]
	ds_read_b128 v[88:91], v49 offset:96
	ds_read_b128 v[92:95], v49 offset:4704
	;; [unrolled: 1-line block ×10, first 2 shown]
	s_waitcnt lgkmcnt(7)
	;;#ASMSTART
	v_dot2_f32_f16 v1, v88, v96, v1
	;;#ASMEND
	;;#ASMSTART
	v_dot2_f32_f16 v1, v89, v97, v1
	;;#ASMEND
	;;#ASMSTART
	v_dot2_f32_f16 v1, v90, v98, v1
	;;#ASMEND
	;;#ASMSTART
	v_dot2_f32_f16 v1, v91, v99, v1
	;;#ASMEND
	s_waitcnt lgkmcnt(6)
	;;#ASMSTART
	v_dot2_f32_f16 v2, v88, v100, v2
	;;#ASMEND
	;;#ASMSTART
	v_dot2_f32_f16 v2, v89, v101, v2
	;;#ASMEND
	;;#ASMSTART
	v_dot2_f32_f16 v2, v90, v102, v2
	;;#ASMEND
	;;#ASMSTART
	v_dot2_f32_f16 v2, v91, v103, v2
	;;#ASMEND
	;; [unrolled: 13-line block ×8, first 2 shown]
	;;#ASMSTART
	v_dot2_f32_f16 v87, v92, v96, v87
	;;#ASMEND
	;;#ASMSTART
	v_dot2_f32_f16 v87, v93, v97, v87
	;;#ASMEND
	;; [unrolled: 3-line block ×32, first 2 shown]
	ds_read_b128 v[88:91], v49 offset:112
	ds_read_b128 v[92:95], v49 offset:4720
	;; [unrolled: 1-line block ×10, first 2 shown]
	s_waitcnt lgkmcnt(7)
	;;#ASMSTART
	v_dot2_f32_f16 v1, v88, v96, v1
	;;#ASMEND
	;;#ASMSTART
	v_dot2_f32_f16 v1, v89, v97, v1
	;;#ASMEND
	;;#ASMSTART
	v_dot2_f32_f16 v1, v90, v98, v1
	;;#ASMEND
	;;#ASMSTART
	v_dot2_f32_f16 v1, v91, v99, v1
	;;#ASMEND
	s_waitcnt lgkmcnt(6)
	;;#ASMSTART
	v_dot2_f32_f16 v2, v88, v100, v2
	;;#ASMEND
	;;#ASMSTART
	v_dot2_f32_f16 v2, v89, v101, v2
	;;#ASMEND
	;;#ASMSTART
	v_dot2_f32_f16 v2, v90, v102, v2
	;;#ASMEND
	;;#ASMSTART
	v_dot2_f32_f16 v2, v91, v103, v2
	;;#ASMEND
	;; [unrolled: 13-line block ×8, first 2 shown]
	;;#ASMSTART
	v_dot2_f32_f16 v87, v92, v96, v87
	;;#ASMEND
	;;#ASMSTART
	v_dot2_f32_f16 v87, v93, v97, v87
	;;#ASMEND
	;; [unrolled: 3-line block ×23, first 2 shown]
	v_cndmask_b32_e32 v89, v38, v43, vcc_lo
	v_cmp_gt_i32_e32 vcc_lo, 32, v41
	;;#ASMSTART
	v_dot2_f32_f16 v82, v95, v119, v82
	;;#ASMEND
	;;#ASMSTART
	v_dot2_f32_f16 v81, v92, v120, v81
	;;#ASMEND
	;; [unrolled: 3-line block ×7, first 2 shown]
	v_lshlrev_b32_e32 v93, 2, v89
	v_cndmask_b32_e32 v89, v38, v41, vcc_lo
	v_cmp_gt_i32_e32 vcc_lo, 32, v40
	;;#ASMSTART
	v_dot2_f32_f16 v80, v94, v126, v80
	;;#ASMEND
	;;#ASMSTART
	v_dot2_f32_f16 v80, v95, v127, v80
	;;#ASMEND
	v_add_nc_u32_e32 v88, s6, v9
	v_lshlrev_b32_e32 v94, 2, v89
	v_cndmask_b32_e32 v89, v38, v40, vcc_lo
	v_cmp_gt_i32_e32 vcc_lo, 32, v39
	v_lshlrev_b32_e32 v95, 2, v89
	v_cndmask_b32_e32 v89, v38, v39, vcc_lo
	v_cmp_gt_i32_e32 vcc_lo, 32, v37
	v_lshlrev_b32_e32 v96, 2, v89
	v_cndmask_b32_e32 v89, v38, v37, vcc_lo
	v_lshlrev_b32_e32 v97, 2, v89
	v_ashrrev_i32_e32 v89, 31, v88
	v_lshlrev_b64 v[88:89], 1, v[88:89]
	v_add_co_u32 v88, vcc_lo, s36, v88
	v_add_co_ci_u32_e64 v89, null, s37, v89, vcc_lo
	s_clause 0x1
	global_load_ushort v90, v[88:89], off
	global_load_ushort v88, v[88:89], off offset:64
	s_waitcnt vmcnt(0)
	s_barrier
	buffer_gl0_inv
	v_cvt_f32_f16_e32 v98, v90
	v_cvt_f32_f16_e32 v100, v88
	v_add_f32_e32 v99, v1, v98
	v_add_f32_e32 v87, v87, v100
	;; [unrolled: 1-line block ×11, first 2 shown]
	v_max3_f32 v1, v65, v1, v88
	v_add_f32_e32 v84, 0x40051340, v106
	v_add_f32_e32 v89, v7, v98
	v_max3_f32 v2, v79, v2, v86
	v_add_f32_e32 v107, v5, v98
	ds_bpermute_b32 v88, v93, v1
	v_max3_f32 v4, v77, v4, v84
	v_add_f32_e32 v7, 0x40051340, v89
	ds_bpermute_b32 v86, v93, v2
	v_add_f32_e32 v92, v83, v100
	v_add_f32_e32 v91, v6, v98
	ds_bpermute_b32 v84, v93, v4
	v_add_f32_e32 v90, v82, v100
	v_add_f32_e32 v5, 0x40051340, v107
	;; [unrolled: 1-line block ×7, first 2 shown]
	v_max3_f32 v5, v76, v5, v83
	v_add_f32_e32 v3, 0x40051340, v103
	v_max3_f32 v6, v75, v6, v82
	v_add_f32_e32 v85, 0x40051340, v104
	ds_bpermute_b32 v83, v93, v5
	s_waitcnt lgkmcnt(3)
	v_max_f32_e32 v88, v88, v88
	ds_bpermute_b32 v82, v93, v6
	s_waitcnt lgkmcnt(3)
	v_max_f32_e32 v86, v86, v86
	v_max3_f32 v3, v78, v3, v85
	v_max_f32_e32 v1, v1, v88
	s_waitcnt lgkmcnt(2)
	v_max_f32_e32 v84, v84, v84
	v_max_f32_e32 v2, v2, v86
	ds_bpermute_b32 v85, v93, v3
	ds_bpermute_b32 v88, v94, v1
	v_max_f32_e32 v4, v4, v84
	ds_bpermute_b32 v86, v94, v2
	ds_bpermute_b32 v84, v94, v4
	s_waitcnt lgkmcnt(5)
	v_max_f32_e32 v83, v83, v83
	s_waitcnt lgkmcnt(4)
	v_max_f32_e32 v82, v82, v82
	v_max_f32_e32 v5, v5, v83
	;; [unrolled: 1-line block ×3, first 2 shown]
	ds_bpermute_b32 v83, v94, v5
	s_waitcnt lgkmcnt(3)
	v_max_f32_e32 v88, v88, v88
	v_max_f32_e32 v85, v85, v85
	ds_bpermute_b32 v82, v94, v6
	s_waitcnt lgkmcnt(3)
	v_max_f32_e32 v86, v86, v86
	v_max_f32_e32 v1, v1, v88
	s_waitcnt lgkmcnt(2)
	v_max_f32_e32 v84, v84, v84
	v_max_f32_e32 v3, v3, v85
	;; [unrolled: 1-line block ×3, first 2 shown]
	ds_bpermute_b32 v88, v95, v1
	v_max_f32_e32 v4, v4, v84
	ds_bpermute_b32 v85, v94, v3
	ds_bpermute_b32 v86, v95, v2
	;; [unrolled: 1-line block ×3, first 2 shown]
	s_waitcnt lgkmcnt(5)
	v_max_f32_e32 v83, v83, v83
	s_waitcnt lgkmcnt(4)
	v_max_f32_e32 v82, v82, v82
	v_max_f32_e32 v5, v5, v83
	;; [unrolled: 1-line block ×3, first 2 shown]
	ds_bpermute_b32 v83, v95, v5
	s_waitcnt lgkmcnt(4)
	v_max_f32_e32 v88, v88, v88
	ds_bpermute_b32 v82, v95, v6
	s_waitcnt lgkmcnt(3)
	v_max_f32_e32 v86, v86, v86
	v_max_f32_e32 v85, v85, v85
	;; [unrolled: 1-line block ×3, first 2 shown]
	s_waitcnt lgkmcnt(2)
	v_max_f32_e32 v84, v84, v84
	v_max_f32_e32 v2, v2, v86
	;; [unrolled: 1-line block ×3, first 2 shown]
	ds_bpermute_b32 v88, v96, v1
	v_max_f32_e32 v4, v4, v84
	ds_bpermute_b32 v86, v96, v2
	ds_bpermute_b32 v85, v95, v3
	;; [unrolled: 1-line block ×3, first 2 shown]
	s_waitcnt lgkmcnt(5)
	v_max_f32_e32 v83, v83, v83
	s_waitcnt lgkmcnt(4)
	v_max_f32_e32 v82, v82, v82
	v_max_f32_e32 v5, v5, v83
	;; [unrolled: 1-line block ×3, first 2 shown]
	ds_bpermute_b32 v83, v96, v5
	s_waitcnt lgkmcnt(4)
	v_max_f32_e32 v88, v88, v88
	ds_bpermute_b32 v82, v96, v6
	s_waitcnt lgkmcnt(4)
	v_max_f32_e32 v86, v86, v86
	s_waitcnt lgkmcnt(3)
	v_max_f32_e32 v85, v85, v85
	v_max_f32_e32 v1, v1, v88
	s_waitcnt lgkmcnt(2)
	v_max_f32_e32 v84, v84, v84
	v_max_f32_e32 v2, v2, v86
	;; [unrolled: 1-line block ×3, first 2 shown]
	ds_bpermute_b32 v88, v97, v1
	v_max_f32_e32 v4, v4, v84
	ds_bpermute_b32 v86, v97, v2
	ds_bpermute_b32 v85, v96, v3
	;; [unrolled: 1-line block ×3, first 2 shown]
	s_waitcnt lgkmcnt(5)
	v_max_f32_e32 v83, v83, v83
	s_waitcnt lgkmcnt(4)
	v_max_f32_e32 v82, v82, v82
	v_max_f32_e32 v5, v5, v83
	v_max_f32_e32 v6, v6, v82
	ds_bpermute_b32 v83, v97, v5
	s_waitcnt lgkmcnt(4)
	v_max_f32_e32 v88, v88, v88
	ds_bpermute_b32 v82, v97, v6
	s_waitcnt lgkmcnt(4)
	v_max_f32_e32 v86, v86, v86
	s_waitcnt lgkmcnt(3)
	v_max_f32_e32 v85, v85, v85
	v_max_f32_e32 v1, v1, v88
	s_waitcnt lgkmcnt(2)
	v_max_f32_e32 v84, v84, v84
	v_add_f32_e32 v88, v81, v100
	v_max_f32_e32 v2, v2, v86
	v_add_f32_e32 v86, v8, v98
	v_max_f32_e32 v3, v3, v85
	v_max_f32_e32 v4, v4, v84
	v_add_f32_e32 v81, 0x40051340, v88
	v_add_f32_e32 v84, v80, v100
	;; [unrolled: 1-line block ×3, first 2 shown]
	ds_bpermute_b32 v85, v97, v3
	v_sub_f32_e32 v79, v79, v2
	v_max3_f32 v7, v74, v7, v81
	v_add_f32_e32 v80, 0x40051340, v84
	s_waitcnt lgkmcnt(2)
	v_max_f32_e32 v83, v83, v83
	v_sub_f32_e32 v77, v77, v4
	ds_bpermute_b32 v81, v93, v7
	v_max3_f32 v8, v73, v8, v80
	s_waitcnt lgkmcnt(2)
	v_max_f32_e32 v82, v82, v82
	v_max_f32_e32 v5, v5, v83
	ds_bpermute_b32 v80, v93, v8
	v_max_f32_e32 v6, v6, v82
	v_sub_f32_e32 v76, v76, v5
	s_waitcnt lgkmcnt(2)
	v_max_f32_e32 v85, v85, v85
	v_max_f32_e32 v3, v3, v85
	s_waitcnt lgkmcnt(1)
	v_max_f32_e32 v81, v81, v81
	v_sub_f32_e32 v78, v78, v3
	v_max_f32_e32 v7, v7, v81
	s_waitcnt lgkmcnt(0)
	v_max_f32_e32 v80, v80, v80
	ds_bpermute_b32 v81, v94, v7
	v_max_f32_e32 v8, v8, v80
	ds_bpermute_b32 v80, v94, v8
	s_waitcnt lgkmcnt(1)
	v_max_f32_e32 v81, v81, v81
	v_max_f32_e32 v7, v7, v81
	s_waitcnt lgkmcnt(0)
	v_max_f32_e32 v80, v80, v80
	ds_bpermute_b32 v81, v95, v7
	v_max_f32_e32 v8, v8, v80
	ds_bpermute_b32 v80, v95, v8
	s_waitcnt lgkmcnt(1)
	v_max_f32_e32 v81, v81, v81
	;; [unrolled: 8-line block ×4, first 2 shown]
	v_max_f32_e32 v7, v7, v81
	s_waitcnt lgkmcnt(0)
	v_max_f32_e32 v80, v80, v80
	v_sub_f32_e32 v81, v65, v1
	v_sub_f32_e32 v65, v99, v1
	v_max_f32_e32 v8, v8, v80
	v_mul_f32_e32 v80, 0x3fb8aa3b, v65
	v_cmp_ngt_f32_e32 vcc_lo, 0xc2ce8ed0, v65
	v_fma_f32 v82, 0x3fb8aa3b, v65, -v80
	v_rndne_f32_e32 v83, v80
	v_fmac_f32_e32 v82, 0x32a5705f, v65
	v_sub_f32_e32 v80, v80, v83
	v_add_f32_e32 v80, v80, v82
	v_cvt_i32_f32_e32 v82, v83
	v_exp_f32_e32 v80, v80
	v_ldexp_f32 v80, v80, v82
	v_cndmask_b32_e32 v80, 0, v80, vcc_lo
	v_cmp_nlt_f32_e32 vcc_lo, 0x42b17218, v65
	v_cndmask_b32_e32 v65, 0x7f800000, v80, vcc_lo
	v_sub_f32_e32 v80, v87, v1
	v_cvt_f16_f32_e32 v82, v65
	v_mul_f32_e32 v83, 0x3fb8aa3b, v80
	v_cmp_ngt_f32_e32 vcc_lo, 0xc2ce8ed0, v80
	v_fma_f32 v85, 0x3fb8aa3b, v80, -v83
	v_rndne_f32_e32 v87, v83
	v_fmac_f32_e32 v85, 0x32a5705f, v80
	v_sub_f32_e32 v83, v83, v87
	v_add_f32_e32 v83, v83, v85
	v_cvt_i32_f32_e32 v85, v87
	v_exp_f32_e32 v83, v83
	v_ldexp_f32 v83, v83, v85
	v_cndmask_b32_e32 v83, 0, v83, vcc_lo
	v_cmp_nlt_f32_e32 vcc_lo, 0x42b17218, v80
	v_cndmask_b32_e32 v80, 0x7f800000, v83, vcc_lo
	v_mul_f32_e32 v83, 0x3fb8aa3b, v81
	v_cmp_ngt_f32_e32 vcc_lo, 0xc2ce8ed0, v81
	v_add_f32_e32 v65, v65, v80
	v_fma_f32 v85, 0x3fb8aa3b, v81, -v83
	v_rndne_f32_e32 v87, v83
	v_cvt_f16_f32_e32 v80, v80
	v_fmac_f32_e32 v85, 0x32a5705f, v81
	v_sub_f32_e32 v83, v83, v87
	v_add_f32_e32 v83, v83, v85
	v_cvt_i32_f32_e32 v85, v87
	v_exp_f32_e32 v83, v83
	v_ldexp_f32 v83, v83, v85
	v_cndmask_b32_e32 v83, 0, v83, vcc_lo
	v_cmp_nlt_f32_e32 vcc_lo, 0x42b17218, v81
	v_cndmask_b32_e32 v81, 0x7f800000, v83, vcc_lo
	v_fmac_f32_e32 v65, v66, v81
	v_cvt_f16_f32_e32 v66, v81
	v_mul_u32_u24_sdwa v66, v66, v57 dst_sel:DWORD dst_unused:UNUSED_PAD src0_sel:WORD_0 src1_sel:DWORD
	v_pk_mul_f16 v72, v72, v66
	v_sub_f32_e32 v66, v101, v2
	v_mul_f32_e32 v81, 0x3fb8aa3b, v66
	v_cmp_ngt_f32_e32 vcc_lo, 0xc2ce8ed0, v66
	v_fma_f32 v83, 0x3fb8aa3b, v66, -v81
	v_rndne_f32_e32 v85, v81
	v_fmac_f32_e32 v83, 0x32a5705f, v66
	v_sub_f32_e32 v81, v81, v85
	v_add_f32_e32 v81, v81, v83
	v_cvt_i32_f32_e32 v83, v85
	v_exp_f32_e32 v81, v81
	v_ldexp_f32 v81, v81, v83
	v_cndmask_b32_e32 v81, 0, v81, vcc_lo
	v_cmp_nlt_f32_e32 vcc_lo, 0x42b17218, v66
	v_cndmask_b32_e32 v66, 0x7f800000, v81, vcc_lo
	v_sub_f32_e32 v81, v102, v2
	v_cvt_f16_f32_e32 v83, v66
	v_mul_f32_e32 v85, 0x3fb8aa3b, v81
	v_cmp_ngt_f32_e32 vcc_lo, 0xc2ce8ed0, v81
	v_fma_f32 v87, 0x3fb8aa3b, v81, -v85
	v_rndne_f32_e32 v93, v85
	v_fmac_f32_e32 v87, 0x32a5705f, v81
	v_sub_f32_e32 v85, v85, v93
	v_add_f32_e32 v85, v85, v87
	v_cvt_i32_f32_e32 v87, v93
	v_exp_f32_e32 v85, v85
	v_ldexp_f32 v85, v85, v87
	v_cndmask_b32_e32 v85, 0, v85, vcc_lo
	v_cmp_nlt_f32_e32 vcc_lo, 0x42b17218, v81
	v_cndmask_b32_e32 v81, 0x7f800000, v85, vcc_lo
	v_mul_f32_e32 v85, 0x3fb8aa3b, v79
	v_cmp_ngt_f32_e32 vcc_lo, 0xc2ce8ed0, v79
	v_add_f32_e32 v66, v66, v81
	v_fma_f32 v87, 0x3fb8aa3b, v79, -v85
	v_rndne_f32_e32 v93, v85
	v_cvt_f16_f32_e32 v81, v81
	v_fmac_f32_e32 v87, 0x32a5705f, v79
	v_sub_f32_e32 v85, v85, v93
	v_add_f32_e32 v85, v85, v87
	v_cvt_i32_f32_e32 v87, v93
	v_exp_f32_e32 v85, v85
	v_ldexp_f32 v85, v85, v87
	v_cndmask_b32_e32 v85, 0, v85, vcc_lo
	v_cmp_nlt_f32_e32 vcc_lo, 0x42b17218, v79
	v_cndmask_b32_e32 v79, 0x7f800000, v85, vcc_lo
	v_fmac_f32_e32 v66, v67, v79
	v_cvt_f16_f32_e32 v67, v79
	v_mul_u32_u24_sdwa v67, v67, v57 dst_sel:DWORD dst_unused:UNUSED_PAD src0_sel:WORD_0 src1_sel:DWORD
	v_pk_mul_f16 v79, v35, v67
	v_sub_f32_e32 v35, v103, v3
	v_mul_f32_e32 v67, 0x3fb8aa3b, v35
	v_cmp_ngt_f32_e32 vcc_lo, 0xc2ce8ed0, v35
	v_fma_f32 v85, 0x3fb8aa3b, v35, -v67
	v_rndne_f32_e32 v87, v67
	v_fmac_f32_e32 v85, 0x32a5705f, v35
	v_sub_f32_e32 v67, v67, v87
	v_add_f32_e32 v67, v67, v85
	v_cvt_i32_f32_e32 v85, v87
	v_exp_f32_e32 v67, v67
	v_ldexp_f32 v67, v67, v85
	v_cndmask_b32_e32 v67, 0, v67, vcc_lo
	v_cmp_nlt_f32_e32 vcc_lo, 0x42b17218, v35
	v_cndmask_b32_e32 v35, 0x7f800000, v67, vcc_lo
	v_sub_f32_e32 v67, v104, v3
	v_cvt_f16_f32_e32 v85, v35
	v_mul_f32_e32 v87, 0x3fb8aa3b, v67
	v_cmp_ngt_f32_e32 vcc_lo, 0xc2ce8ed0, v67
	v_fma_f32 v93, 0x3fb8aa3b, v67, -v87
	v_rndne_f32_e32 v94, v87
	v_fmac_f32_e32 v93, 0x32a5705f, v67
	v_sub_f32_e32 v87, v87, v94
	v_add_f32_e32 v87, v87, v93
	v_cvt_i32_f32_e32 v93, v94
	v_exp_f32_e32 v87, v87
	v_ldexp_f32 v87, v87, v93
	v_cndmask_b32_e32 v87, 0, v87, vcc_lo
	v_cmp_nlt_f32_e32 vcc_lo, 0x42b17218, v67
	v_cndmask_b32_e32 v87, 0x7f800000, v87, vcc_lo
	v_cmp_ngt_f32_e32 vcc_lo, 0xc2ce8ed0, v78
	v_add_f32_e32 v67, v35, v87
	v_cvt_f16_f32_e32 v35, v87
	v_mul_f32_e32 v87, 0x3fb8aa3b, v78
	v_fma_f32 v93, 0x3fb8aa3b, v78, -v87
	v_rndne_f32_e32 v94, v87
	v_fmac_f32_e32 v93, 0x32a5705f, v78
	v_sub_f32_e32 v87, v87, v94
	v_add_f32_e32 v87, v87, v93
	v_cvt_i32_f32_e32 v93, v94
	v_exp_f32_e32 v87, v87
	v_ldexp_f32 v87, v87, v93
	v_cndmask_b32_e32 v87, 0, v87, vcc_lo
	v_cmp_nlt_f32_e32 vcc_lo, 0x42b17218, v78
	v_cndmask_b32_e32 v78, 0x7f800000, v87, vcc_lo
	v_fmac_f32_e32 v67, v68, v78
	v_cvt_f16_f32_e32 v68, v78
	v_mul_u32_u24_sdwa v68, v68, v57 dst_sel:DWORD dst_unused:UNUSED_PAD src0_sel:WORD_0 src1_sel:DWORD
	v_pk_mul_f16 v78, v34, v68
	v_sub_f32_e32 v34, v105, v4
	v_mul_f32_e32 v68, 0x3fb8aa3b, v34
	v_cmp_ngt_f32_e32 vcc_lo, 0xc2ce8ed0, v34
	v_fma_f32 v87, 0x3fb8aa3b, v34, -v68
	v_rndne_f32_e32 v93, v68
	v_fmac_f32_e32 v87, 0x32a5705f, v34
	v_sub_f32_e32 v68, v68, v93
	v_add_f32_e32 v68, v68, v87
	v_cvt_i32_f32_e32 v87, v93
	v_exp_f32_e32 v68, v68
	v_ldexp_f32 v68, v68, v87
	v_cndmask_b32_e32 v68, 0, v68, vcc_lo
	v_cmp_nlt_f32_e32 vcc_lo, 0x42b17218, v34
	v_cndmask_b32_e32 v34, 0x7f800000, v68, vcc_lo
	v_sub_f32_e32 v68, v106, v4
	v_cvt_f16_f32_e32 v87, v34
	v_mul_f32_e32 v93, 0x3fb8aa3b, v68
	v_cmp_ngt_f32_e32 vcc_lo, 0xc2ce8ed0, v68
	v_fma_f32 v94, 0x3fb8aa3b, v68, -v93
	v_rndne_f32_e32 v95, v93
	v_fmac_f32_e32 v94, 0x32a5705f, v68
	v_sub_f32_e32 v93, v93, v95
	v_add_f32_e32 v93, v93, v94
	v_cvt_i32_f32_e32 v94, v95
	v_exp_f32_e32 v93, v93
	v_ldexp_f32 v93, v93, v94
	v_cndmask_b32_e32 v93, 0, v93, vcc_lo
	v_cmp_nlt_f32_e32 vcc_lo, 0x42b17218, v68
	v_cndmask_b32_e32 v93, 0x7f800000, v93, vcc_lo
	v_cmp_ngt_f32_e32 vcc_lo, 0xc2ce8ed0, v77
	v_add_f32_e32 v68, v34, v93
	v_cvt_f16_f32_e32 v34, v93
	v_mul_f32_e32 v93, 0x3fb8aa3b, v77
	v_fma_f32 v94, 0x3fb8aa3b, v77, -v93
	v_rndne_f32_e32 v95, v93
	;; [unrolled: 48-line block ×3, first 2 shown]
	v_fmac_f32_e32 v94, 0x32a5705f, v76
	v_sub_f32_e32 v92, v92, v95
	v_add_f32_e32 v92, v92, v94
	v_cvt_i32_f32_e32 v94, v95
	v_exp_f32_e32 v92, v92
	v_ldexp_f32 v92, v92, v94
	v_cndmask_b32_e32 v92, 0, v92, vcc_lo
	v_cmp_nlt_f32_e32 vcc_lo, 0x42b17218, v76
	v_cndmask_b32_e32 v76, 0x7f800000, v92, vcc_lo
	v_fmac_f32_e32 v69, v70, v76
	v_cvt_f16_f32_e32 v70, v76
	v_mul_u32_u24_sdwa v70, v70, v57 dst_sel:DWORD dst_unused:UNUSED_PAD src0_sel:WORD_0 src1_sel:DWORD
	v_pk_mul_f16 v76, v32, v70
	v_sub_f32_e32 v70, v91, v6
	v_sub_f32_e32 v32, v75, v6
	v_mul_f32_e32 v75, 0x3fb8aa3b, v70
	v_cmp_ngt_f32_e32 vcc_lo, 0xc2ce8ed0, v70
	v_fma_f32 v91, 0x3fb8aa3b, v70, -v75
	v_rndne_f32_e32 v92, v75
	v_fmac_f32_e32 v91, 0x32a5705f, v70
	v_sub_f32_e32 v75, v75, v92
	v_add_f32_e32 v75, v75, v91
	v_cvt_i32_f32_e32 v91, v92
	v_exp_f32_e32 v75, v75
	v_ldexp_f32 v75, v75, v91
	v_cndmask_b32_e32 v75, 0, v75, vcc_lo
	v_cmp_nlt_f32_e32 vcc_lo, 0x42b17218, v70
	v_cndmask_b32_e32 v70, 0x7f800000, v75, vcc_lo
	v_sub_f32_e32 v75, v90, v6
	v_cvt_f16_f32_e32 v91, v70
	v_mul_f32_e32 v90, 0x3fb8aa3b, v75
	v_cmp_ngt_f32_e32 vcc_lo, 0xc2ce8ed0, v75
	v_fma_f32 v92, 0x3fb8aa3b, v75, -v90
	v_rndne_f32_e32 v94, v90
	v_fmac_f32_e32 v92, 0x32a5705f, v75
	v_sub_f32_e32 v90, v90, v94
	v_add_f32_e32 v90, v90, v92
	v_cvt_i32_f32_e32 v92, v94
	v_exp_f32_e32 v90, v90
	v_ldexp_f32 v90, v90, v92
	v_cndmask_b32_e32 v90, 0, v90, vcc_lo
	v_cmp_nlt_f32_e32 vcc_lo, 0x42b17218, v75
	v_cndmask_b32_e32 v75, 0x7f800000, v90, vcc_lo
	v_cmp_ngt_f32_e32 vcc_lo, 0xc2ce8ed0, v32
	v_add_f32_e32 v70, v70, v75
	v_cvt_f16_f32_e32 v90, v75
	v_mul_f32_e32 v75, 0x3fb8aa3b, v32
	v_fma_f32 v92, 0x3fb8aa3b, v32, -v75
	v_rndne_f32_e32 v94, v75
	v_fmac_f32_e32 v92, 0x32a5705f, v32
	v_sub_f32_e32 v75, v75, v94
	v_add_f32_e32 v75, v75, v92
	v_cvt_i32_f32_e32 v92, v94
	v_exp_f32_e32 v75, v75
	v_ldexp_f32 v75, v75, v92
	v_cndmask_b32_e32 v75, 0, v75, vcc_lo
	v_cmp_nlt_f32_e32 vcc_lo, 0x42b17218, v32
	v_cndmask_b32_e32 v32, 0x7f800000, v75, vcc_lo
	v_fmac_f32_e32 v70, v71, v32
	v_cvt_f16_f32_e32 v32, v32
	v_mul_u32_u24_sdwa v32, v32, v57 dst_sel:DWORD dst_unused:UNUSED_PAD src0_sel:WORD_0 src1_sel:DWORD
	v_pk_mul_f16 v75, v31, v32
	v_sub_f32_e32 v32, v89, v7
	v_sub_f32_e32 v31, v74, v7
	v_mul_f32_e32 v71, 0x3fb8aa3b, v32
	v_cmp_ngt_f32_e32 vcc_lo, 0xc2ce8ed0, v32
	v_fma_f32 v74, 0x3fb8aa3b, v32, -v71
	v_rndne_f32_e32 v89, v71
	v_fmac_f32_e32 v74, 0x32a5705f, v32
	v_sub_f32_e32 v71, v71, v89
	v_add_f32_e32 v71, v71, v74
	v_cvt_i32_f32_e32 v74, v89
	v_exp_f32_e32 v71, v71
	v_ldexp_f32 v71, v71, v74
	v_cndmask_b32_e32 v71, 0, v71, vcc_lo
	v_cmp_nlt_f32_e32 vcc_lo, 0x42b17218, v32
	v_cndmask_b32_e32 v32, 0x7f800000, v71, vcc_lo
	v_sub_f32_e32 v71, v88, v7
	v_cvt_f16_f32_e32 v89, v32
	v_mul_f32_e32 v74, 0x3fb8aa3b, v71
	v_cmp_ngt_f32_e32 vcc_lo, 0xc2ce8ed0, v71
	v_fma_f32 v88, 0x3fb8aa3b, v71, -v74
	v_rndne_f32_e32 v92, v74
	v_fmac_f32_e32 v88, 0x32a5705f, v71
	v_sub_f32_e32 v74, v74, v92
	v_add_f32_e32 v74, v74, v88
	v_cvt_i32_f32_e32 v88, v92
	v_exp_f32_e32 v74, v74
	v_ldexp_f32 v74, v74, v88
	v_cndmask_b32_e32 v74, 0, v74, vcc_lo
	v_cmp_nlt_f32_e32 vcc_lo, 0x42b17218, v71
	v_cndmask_b32_e32 v74, 0x7f800000, v74, vcc_lo
	v_cmp_ngt_f32_e32 vcc_lo, 0xc2ce8ed0, v31
	v_add_f32_e32 v71, v32, v74
	v_cvt_f16_f32_e32 v32, v74
	v_mul_f32_e32 v74, 0x3fb8aa3b, v31
	v_fma_f32 v88, 0x3fb8aa3b, v31, -v74
	v_rndne_f32_e32 v92, v74
	v_fmac_f32_e32 v88, 0x32a5705f, v31
	v_sub_f32_e32 v74, v74, v92
	v_add_f32_e32 v74, v74, v88
	v_cvt_i32_f32_e32 v88, v92
	v_exp_f32_e32 v74, v74
	v_ldexp_f32 v74, v74, v88
	v_cndmask_b32_e32 v74, 0, v74, vcc_lo
	v_cmp_nlt_f32_e32 vcc_lo, 0x42b17218, v31
	v_cndmask_b32_e32 v31, 0x7f800000, v74, vcc_lo
	v_fmac_f32_e32 v71, v29, v31
	v_cvt_f16_f32_e32 v29, v31
	v_mul_u32_u24_sdwa v29, v29, v57 dst_sel:DWORD dst_unused:UNUSED_PAD src0_sel:WORD_0 src1_sel:DWORD
	v_pk_mul_f16 v74, v30, v29
	v_sub_f32_e32 v30, v86, v8
	v_sub_f32_e32 v29, v73, v8
	v_mul_f32_e32 v31, 0x3fb8aa3b, v30
	v_cmp_ngt_f32_e32 vcc_lo, 0xc2ce8ed0, v30
	v_fma_f32 v73, 0x3fb8aa3b, v30, -v31
	v_rndne_f32_e32 v86, v31
	v_fmac_f32_e32 v73, 0x32a5705f, v30
	v_sub_f32_e32 v31, v31, v86
	v_add_f32_e32 v31, v31, v73
	v_cvt_i32_f32_e32 v73, v86
	v_exp_f32_e32 v31, v31
	v_ldexp_f32 v31, v31, v73
	v_sub_f32_e32 v73, v84, v8
	v_cndmask_b32_e32 v31, 0, v31, vcc_lo
	v_mul_f32_e32 v84, 0x3fb8aa3b, v73
	v_cmp_nlt_f32_e32 vcc_lo, 0x42b17218, v30
	v_fma_f32 v86, 0x3fb8aa3b, v73, -v84
	v_rndne_f32_e32 v88, v84
	v_cndmask_b32_e32 v30, 0x7f800000, v31, vcc_lo
	v_cmp_ngt_f32_e32 vcc_lo, 0xc2ce8ed0, v73
	v_fmac_f32_e32 v86, 0x32a5705f, v73
	v_sub_f32_e32 v84, v84, v88
	v_cvt_f16_f32_e32 v31, v30
	v_add_f32_e32 v84, v84, v86
	v_cvt_i32_f32_e32 v86, v88
	v_pack_b32_f16 v31, v89, v31
	v_exp_f32_e32 v84, v84
	v_ldexp_f32 v84, v84, v86
	v_cndmask_b32_e32 v84, 0, v84, vcc_lo
	v_cmp_nlt_f32_e32 vcc_lo, 0x42b17218, v73
	v_cndmask_b32_e32 v73, 0x7f800000, v84, vcc_lo
	v_cmp_ngt_f32_e32 vcc_lo, 0xc2ce8ed0, v29
	v_add_f32_e32 v30, v30, v73
	v_cvt_f16_f32_e32 v84, v73
	v_mul_f32_e32 v73, 0x3fb8aa3b, v29
	v_fma_f32 v86, 0x3fb8aa3b, v29, -v73
	v_rndne_f32_e32 v88, v73
	v_fmac_f32_e32 v86, 0x32a5705f, v29
	v_sub_f32_e32 v73, v73, v88
	v_add_f32_e32 v73, v73, v86
	v_cvt_i32_f32_e32 v86, v88
	v_exp_f32_e32 v73, v73
	v_ldexp_f32 v73, v73, v86
	v_cndmask_b32_e32 v73, 0, v73, vcc_lo
	v_cmp_nlt_f32_e32 vcc_lo, 0x42b17218, v29
	v_cndmask_b32_e32 v29, 0x7f800000, v73, vcc_lo
	v_mov_b32_e32 v73, v42
	v_mov_b32_e32 v42, v30
	v_pack_b32_f16 v30, v93, v91
	v_fmac_f32_e32 v42, v73, v29
	v_cvt_f16_f32_e32 v29, v29
	v_mul_u32_u24_sdwa v29, v29, v57 dst_sel:DWORD dst_unused:UNUSED_PAD src0_sel:WORD_0 src1_sel:DWORD
	v_pk_mul_f16 v73, v28, v29
	v_pack_b32_f16 v29, v85, v87
	v_pack_b32_f16 v28, v82, v83
	ds_write_b128 v56, v[28:31]
	v_pack_b32_f16 v31, v32, v84
	v_pack_b32_f16 v30, v33, v90
	;; [unrolled: 1-line block ×4, first 2 shown]
	ds_write_b128 v56, v[28:31] offset:512
	v_add_co_u32 v28, vcc_lo, s14, v18
	v_add_co_ci_u32_e64 v29, null, s15, v19, vcc_lo
	v_add_co_u32 v34, vcc_lo, v28, v55
	v_add_co_ci_u32_e64 v35, null, 0, v29, vcc_lo
	;; [unrolled: 2-line block ×3, first 2 shown]
	global_load_dwordx4 v[80:83], v[34:35], off
	v_add_co_u32 v32, vcc_lo, v28, v55
	v_add_co_ci_u32_e64 v33, null, 0, v29, vcc_lo
	v_add_co_u32 v28, vcc_lo, s14, v22
	v_add_co_ci_u32_e64 v29, null, s15, v23, vcc_lo
	global_load_dwordx4 v[32:35], v[32:33], off
	v_add_co_u32 v30, vcc_lo, v28, v55
	v_add_co_ci_u32_e64 v31, null, 0, v29, vcc_lo
	v_add_co_u32 v28, vcc_lo, s14, v26
	v_add_co_ci_u32_e64 v29, null, s15, v27, vcc_lo
	;; [unrolled: 2-line block ×3, first 2 shown]
	s_waitcnt vmcnt(1)
	ds_write_b128 v50, v[80:83]
	s_waitcnt vmcnt(0)
	ds_write_b128 v52, v[32:35]
	global_load_dwordx4 v[30:33], v[30:31], off
	s_waitcnt vmcnt(0)
	ds_write_b128 v53, v[30:33]
	global_load_dwordx4 v[28:31], v[28:29], off
	s_waitcnt vmcnt(0)
	ds_write_b128 v54, v[28:31]
	s_waitcnt lgkmcnt(0)
	s_barrier
	buffer_gl0_inv
	ds_read2_b32 v[88:89], v44 offset1:32
	ds_read_b128 v[28:31], v51
	ds_read_b128 v[32:35], v51 offset:16
	ds_read_b128 v[80:83], v51 offset:32
	;; [unrolled: 1-line block ×3, first 2 shown]
	s_waitcnt lgkmcnt(3)
	v_mul_u32_u24_sdwa v90, v28, v57 dst_sel:DWORD dst_unused:UNUSED_PAD src0_sel:WORD_0 src1_sel:DWORD
	v_mul_u32_u24_sdwa v28, v28, v57 dst_sel:DWORD dst_unused:UNUSED_PAD src0_sel:WORD_1 src1_sel:DWORD
	v_mul_u32_u24_sdwa v91, v29, v57 dst_sel:DWORD dst_unused:UNUSED_PAD src0_sel:WORD_0 src1_sel:DWORD
	v_mul_u32_u24_sdwa v29, v29, v57 dst_sel:DWORD dst_unused:UNUSED_PAD src0_sel:WORD_1 src1_sel:DWORD
	;; [unrolled: 2-line block ×4, first 2 shown]
	v_pk_fma_f16 v28, v88, v28, v79
	v_pk_fma_f16 v29, v88, v29, v77
	;; [unrolled: 1-line block ×3, first 2 shown]
	s_waitcnt lgkmcnt(2)
	v_mul_u32_u24_sdwa v75, v33, v57 dst_sel:DWORD dst_unused:UNUSED_PAD src0_sel:WORD_0 src1_sel:DWORD
	v_pk_fma_f16 v31, v88, v31, v73
	v_mul_u32_u24_sdwa v73, v32, v57 dst_sel:DWORD dst_unused:UNUSED_PAD src0_sel:WORD_0 src1_sel:DWORD
	v_mul_u32_u24_sdwa v32, v32, v57 dst_sel:DWORD dst_unused:UNUSED_PAD src0_sel:WORD_1 src1_sel:DWORD
	v_mul_u32_u24_sdwa v33, v33, v57 dst_sel:DWORD dst_unused:UNUSED_PAD src0_sel:WORD_1 src1_sel:DWORD
	v_pk_fma_f16 v72, v88, v90, v72
	v_pk_fma_f16 v78, v88, v91, v78
	v_pk_fma_f16 v76, v88, v92, v76
	v_pk_fma_f16 v32, v89, v32, v28
	v_pk_fma_f16 v33, v89, v33, v29
	ds_read2_b32 v[28:29], v44 offset0:64 offset1:96
	v_pk_fma_f16 v74, v88, v93, v74
	v_mul_u32_u24_sdwa v77, v34, v57 dst_sel:DWORD dst_unused:UNUSED_PAD src0_sel:WORD_0 src1_sel:DWORD
	v_mul_u32_u24_sdwa v34, v34, v57 dst_sel:DWORD dst_unused:UNUSED_PAD src0_sel:WORD_1 src1_sel:DWORD
	v_mul_u32_u24_sdwa v79, v35, v57 dst_sel:DWORD dst_unused:UNUSED_PAD src0_sel:WORD_0 src1_sel:DWORD
	v_mul_u32_u24_sdwa v35, v35, v57 dst_sel:DWORD dst_unused:UNUSED_PAD src0_sel:WORD_1 src1_sel:DWORD
	v_pk_fma_f16 v72, v89, v73, v72
	v_pk_fma_f16 v73, v89, v75, v78
	v_pk_fma_f16 v75, v89, v77, v76
	v_pk_fma_f16 v30, v89, v34, v30
	v_pk_fma_f16 v34, v89, v79, v74
	v_pk_fma_f16 v31, v89, v35, v31
	s_waitcnt lgkmcnt(2)
	v_mul_u32_u24_sdwa v35, v80, v57 dst_sel:DWORD dst_unused:UNUSED_PAD src0_sel:WORD_0 src1_sel:DWORD
	v_mul_u32_u24_sdwa v74, v80, v57 dst_sel:DWORD dst_unused:UNUSED_PAD src0_sel:WORD_1 src1_sel:DWORD
	v_mul_u32_u24_sdwa v76, v81, v57 dst_sel:DWORD dst_unused:UNUSED_PAD src0_sel:WORD_0 src1_sel:DWORD
	v_mul_u32_u24_sdwa v77, v81, v57 dst_sel:DWORD dst_unused:UNUSED_PAD src0_sel:WORD_1 src1_sel:DWORD
	;; [unrolled: 2-line block ×4, first 2 shown]
	s_waitcnt lgkmcnt(0)
	v_pk_fma_f16 v35, v28, v35, v72
	v_pk_fma_f16 v32, v28, v74, v32
	;; [unrolled: 1-line block ×8, first 2 shown]
	v_mul_u32_u24_sdwa v31, v84, v57 dst_sel:DWORD dst_unused:UNUSED_PAD src0_sel:WORD_0 src1_sel:DWORD
	v_mul_u32_u24_sdwa v74, v84, v57 dst_sel:DWORD dst_unused:UNUSED_PAD src0_sel:WORD_1 src1_sel:DWORD
	v_mul_u32_u24_sdwa v75, v85, v57 dst_sel:DWORD dst_unused:UNUSED_PAD src0_sel:WORD_0 src1_sel:DWORD
	v_mul_u32_u24_sdwa v76, v85, v57 dst_sel:DWORD dst_unused:UNUSED_PAD src0_sel:WORD_1 src1_sel:DWORD
	;; [unrolled: 2-line block ×4, first 2 shown]
	v_pk_fma_f16 v35, v29, v31, v35
	v_pk_fma_f16 v74, v29, v74, v32
	;; [unrolled: 1-line block ×8, first 2 shown]
	ds_read2_b32 v[32:33], v44 offset0:128 offset1:160
	ds_read_b128 v[28:31], v51 offset:64
	s_waitcnt lgkmcnt(0)
	v_mul_u32_u24_sdwa v78, v28, v57 dst_sel:DWORD dst_unused:UNUSED_PAD src0_sel:WORD_0 src1_sel:DWORD
	v_mul_u32_u24_sdwa v28, v28, v57 dst_sel:DWORD dst_unused:UNUSED_PAD src0_sel:WORD_1 src1_sel:DWORD
	v_mul_u32_u24_sdwa v79, v29, v57 dst_sel:DWORD dst_unused:UNUSED_PAD src0_sel:WORD_0 src1_sel:DWORD
	v_mul_u32_u24_sdwa v29, v29, v57 dst_sel:DWORD dst_unused:UNUSED_PAD src0_sel:WORD_1 src1_sel:DWORD
	;; [unrolled: 2-line block ×4, first 2 shown]
	v_pk_fma_f16 v35, v32, v78, v35
	v_pk_fma_f16 v74, v32, v28, v74
	;; [unrolled: 1-line block ×8, first 2 shown]
	ds_read_b128 v[28:31], v51 offset:80
	s_waitcnt lgkmcnt(0)
	v_mul_u32_u24_sdwa v77, v28, v57 dst_sel:DWORD dst_unused:UNUSED_PAD src0_sel:WORD_0 src1_sel:DWORD
	v_mul_u32_u24_sdwa v28, v28, v57 dst_sel:DWORD dst_unused:UNUSED_PAD src0_sel:WORD_1 src1_sel:DWORD
	v_mul_u32_u24_sdwa v78, v29, v57 dst_sel:DWORD dst_unused:UNUSED_PAD src0_sel:WORD_0 src1_sel:DWORD
	v_mul_u32_u24_sdwa v29, v29, v57 dst_sel:DWORD dst_unused:UNUSED_PAD src0_sel:WORD_1 src1_sel:DWORD
	;; [unrolled: 2-line block ×4, first 2 shown]
	v_pk_fma_f16 v35, v33, v77, v35
	v_pk_fma_f16 v74, v33, v28, v74
	;; [unrolled: 1-line block ×8, first 2 shown]
	ds_read2_b32 v[32:33], v44 offset0:192 offset1:224
	ds_read_b128 v[28:31], v51 offset:96
	s_waitcnt lgkmcnt(0)
	v_mul_u32_u24_sdwa v78, v28, v57 dst_sel:DWORD dst_unused:UNUSED_PAD src0_sel:WORD_0 src1_sel:DWORD
	v_mul_u32_u24_sdwa v28, v28, v57 dst_sel:DWORD dst_unused:UNUSED_PAD src0_sel:WORD_1 src1_sel:DWORD
	v_mul_u32_u24_sdwa v79, v29, v57 dst_sel:DWORD dst_unused:UNUSED_PAD src0_sel:WORD_0 src1_sel:DWORD
	v_mul_u32_u24_sdwa v29, v29, v57 dst_sel:DWORD dst_unused:UNUSED_PAD src0_sel:WORD_1 src1_sel:DWORD
	;; [unrolled: 2-line block ×4, first 2 shown]
	v_pk_fma_f16 v35, v32, v78, v35
	v_pk_fma_f16 v74, v32, v28, v74
	;; [unrolled: 1-line block ×8, first 2 shown]
	ds_read_b128 v[28:31], v51 offset:112
	s_waitcnt lgkmcnt(0)
	v_mul_u32_u24_sdwa v77, v28, v57 dst_sel:DWORD dst_unused:UNUSED_PAD src0_sel:WORD_0 src1_sel:DWORD
	v_mul_u32_u24_sdwa v28, v28, v57 dst_sel:DWORD dst_unused:UNUSED_PAD src0_sel:WORD_1 src1_sel:DWORD
	v_mul_u32_u24_sdwa v78, v29, v57 dst_sel:DWORD dst_unused:UNUSED_PAD src0_sel:WORD_0 src1_sel:DWORD
	v_mul_u32_u24_sdwa v29, v29, v57 dst_sel:DWORD dst_unused:UNUSED_PAD src0_sel:WORD_1 src1_sel:DWORD
	;; [unrolled: 2-line block ×4, first 2 shown]
	v_pk_fma_f16 v35, v33, v77, v35
	v_pk_fma_f16 v74, v33, v28, v74
	;; [unrolled: 1-line block ×8, first 2 shown]
	ds_read2_b32 v[32:33], v58 offset1:32
	ds_read_b128 v[28:31], v51 offset:128
	s_waitcnt lgkmcnt(0)
	v_mul_u32_u24_sdwa v78, v28, v57 dst_sel:DWORD dst_unused:UNUSED_PAD src0_sel:WORD_0 src1_sel:DWORD
	v_mul_u32_u24_sdwa v28, v28, v57 dst_sel:DWORD dst_unused:UNUSED_PAD src0_sel:WORD_1 src1_sel:DWORD
	v_mul_u32_u24_sdwa v79, v29, v57 dst_sel:DWORD dst_unused:UNUSED_PAD src0_sel:WORD_0 src1_sel:DWORD
	v_mul_u32_u24_sdwa v29, v29, v57 dst_sel:DWORD dst_unused:UNUSED_PAD src0_sel:WORD_1 src1_sel:DWORD
	v_mul_u32_u24_sdwa v80, v30, v57 dst_sel:DWORD dst_unused:UNUSED_PAD src0_sel:WORD_0 src1_sel:DWORD
	v_mul_u32_u24_sdwa v30, v30, v57 dst_sel:DWORD dst_unused:UNUSED_PAD src0_sel:WORD_1 src1_sel:DWORD
	v_mul_u32_u24_sdwa v81, v31, v57 dst_sel:DWORD dst_unused:UNUSED_PAD src0_sel:WORD_0 src1_sel:DWORD
	v_mul_u32_u24_sdwa v31, v31, v57 dst_sel:DWORD dst_unused:UNUSED_PAD src0_sel:WORD_1 src1_sel:DWORD
	v_pk_fma_f16 v35, v32, v78, v35
	v_pk_fma_f16 v74, v32, v28, v74
	v_pk_fma_f16 v72, v32, v79, v72
	v_pk_fma_f16 v75, v32, v29, v75
	v_pk_fma_f16 v73, v32, v80, v73
	v_pk_fma_f16 v76, v32, v30, v76
	v_pk_fma_f16 v34, v32, v81, v34
	v_pk_fma_f16 v32, v32, v31, v77
	ds_read_b128 v[28:31], v51 offset:144
	s_waitcnt lgkmcnt(0)
	v_mul_u32_u24_sdwa v77, v28, v57 dst_sel:DWORD dst_unused:UNUSED_PAD src0_sel:WORD_0 src1_sel:DWORD
	v_mul_u32_u24_sdwa v28, v28, v57 dst_sel:DWORD dst_unused:UNUSED_PAD src0_sel:WORD_1 src1_sel:DWORD
	v_mul_u32_u24_sdwa v78, v29, v57 dst_sel:DWORD dst_unused:UNUSED_PAD src0_sel:WORD_0 src1_sel:DWORD
	v_mul_u32_u24_sdwa v29, v29, v57 dst_sel:DWORD dst_unused:UNUSED_PAD src0_sel:WORD_1 src1_sel:DWORD
	v_mul_u32_u24_sdwa v79, v30, v57 dst_sel:DWORD dst_unused:UNUSED_PAD src0_sel:WORD_0 src1_sel:DWORD
	v_mul_u32_u24_sdwa v30, v30, v57 dst_sel:DWORD dst_unused:UNUSED_PAD src0_sel:WORD_1 src1_sel:DWORD
	v_mul_u32_u24_sdwa v80, v31, v57 dst_sel:DWORD dst_unused:UNUSED_PAD src0_sel:WORD_0 src1_sel:DWORD
	v_mul_u32_u24_sdwa v31, v31, v57 dst_sel:DWORD dst_unused:UNUSED_PAD src0_sel:WORD_1 src1_sel:DWORD
	v_pk_fma_f16 v35, v33, v77, v35
	v_pk_fma_f16 v74, v33, v28, v74
	v_pk_fma_f16 v72, v33, v78, v72
	v_pk_fma_f16 v75, v33, v29, v75
	v_pk_fma_f16 v73, v33, v79, v73
	v_pk_fma_f16 v76, v33, v30, v76
	v_pk_fma_f16 v34, v33, v80, v34
	v_pk_fma_f16 v77, v33, v31, v32
	ds_read2_b32 v[32:33], v58 offset0:64 offset1:96
	ds_read_b128 v[28:31], v51 offset:160
	s_waitcnt lgkmcnt(0)
	v_mul_u32_u24_sdwa v78, v28, v57 dst_sel:DWORD dst_unused:UNUSED_PAD src0_sel:WORD_0 src1_sel:DWORD
	v_mul_u32_u24_sdwa v28, v28, v57 dst_sel:DWORD dst_unused:UNUSED_PAD src0_sel:WORD_1 src1_sel:DWORD
	v_mul_u32_u24_sdwa v79, v29, v57 dst_sel:DWORD dst_unused:UNUSED_PAD src0_sel:WORD_0 src1_sel:DWORD
	v_mul_u32_u24_sdwa v29, v29, v57 dst_sel:DWORD dst_unused:UNUSED_PAD src0_sel:WORD_1 src1_sel:DWORD
	v_mul_u32_u24_sdwa v80, v30, v57 dst_sel:DWORD dst_unused:UNUSED_PAD src0_sel:WORD_0 src1_sel:DWORD
	v_mul_u32_u24_sdwa v30, v30, v57 dst_sel:DWORD dst_unused:UNUSED_PAD src0_sel:WORD_1 src1_sel:DWORD
	v_mul_u32_u24_sdwa v81, v31, v57 dst_sel:DWORD dst_unused:UNUSED_PAD src0_sel:WORD_0 src1_sel:DWORD
	v_mul_u32_u24_sdwa v31, v31, v57 dst_sel:DWORD dst_unused:UNUSED_PAD src0_sel:WORD_1 src1_sel:DWORD
	v_pk_fma_f16 v35, v32, v78, v35
	v_pk_fma_f16 v74, v32, v28, v74
	v_pk_fma_f16 v72, v32, v79, v72
	v_pk_fma_f16 v75, v32, v29, v75
	v_pk_fma_f16 v73, v32, v80, v73
	v_pk_fma_f16 v76, v32, v30, v76
	v_pk_fma_f16 v34, v32, v81, v34
	v_pk_fma_f16 v32, v32, v31, v77
	ds_read_b128 v[28:31], v51 offset:176
	s_waitcnt lgkmcnt(0)
	v_mul_u32_u24_sdwa v77, v28, v57 dst_sel:DWORD dst_unused:UNUSED_PAD src0_sel:WORD_0 src1_sel:DWORD
	v_mul_u32_u24_sdwa v28, v28, v57 dst_sel:DWORD dst_unused:UNUSED_PAD src0_sel:WORD_1 src1_sel:DWORD
	v_mul_u32_u24_sdwa v78, v29, v57 dst_sel:DWORD dst_unused:UNUSED_PAD src0_sel:WORD_0 src1_sel:DWORD
	v_mul_u32_u24_sdwa v29, v29, v57 dst_sel:DWORD dst_unused:UNUSED_PAD src0_sel:WORD_1 src1_sel:DWORD
	v_mul_u32_u24_sdwa v79, v30, v57 dst_sel:DWORD dst_unused:UNUSED_PAD src0_sel:WORD_0 src1_sel:DWORD
	v_mul_u32_u24_sdwa v30, v30, v57 dst_sel:DWORD dst_unused:UNUSED_PAD src0_sel:WORD_1 src1_sel:DWORD
	v_mul_u32_u24_sdwa v80, v31, v57 dst_sel:DWORD dst_unused:UNUSED_PAD src0_sel:WORD_0 src1_sel:DWORD
	v_mul_u32_u24_sdwa v31, v31, v57 dst_sel:DWORD dst_unused:UNUSED_PAD src0_sel:WORD_1 src1_sel:DWORD
	v_pk_fma_f16 v35, v33, v77, v35
	v_pk_fma_f16 v74, v33, v28, v74
	v_pk_fma_f16 v72, v33, v78, v72
	v_pk_fma_f16 v75, v33, v29, v75
	v_pk_fma_f16 v73, v33, v79, v73
	v_pk_fma_f16 v76, v33, v30, v76
	v_pk_fma_f16 v34, v33, v80, v34
	v_pk_fma_f16 v77, v33, v31, v32
	ds_read2_b32 v[32:33], v58 offset0:128 offset1:160
	;; [unrolled: 37-line block ×3, first 2 shown]
	ds_read_b128 v[28:31], v51 offset:224
	s_waitcnt lgkmcnt(0)
	v_mul_u32_u24_sdwa v78, v28, v57 dst_sel:DWORD dst_unused:UNUSED_PAD src0_sel:WORD_0 src1_sel:DWORD
	v_mul_u32_u24_sdwa v28, v28, v57 dst_sel:DWORD dst_unused:UNUSED_PAD src0_sel:WORD_1 src1_sel:DWORD
	v_mul_u32_u24_sdwa v79, v29, v57 dst_sel:DWORD dst_unused:UNUSED_PAD src0_sel:WORD_0 src1_sel:DWORD
	v_mul_u32_u24_sdwa v29, v29, v57 dst_sel:DWORD dst_unused:UNUSED_PAD src0_sel:WORD_1 src1_sel:DWORD
	;; [unrolled: 2-line block ×4, first 2 shown]
	v_pk_fma_f16 v35, v32, v78, v35
	v_pk_fma_f16 v74, v32, v28, v74
	;; [unrolled: 1-line block ×8, first 2 shown]
	ds_read_b128 v[28:31], v51 offset:240
	s_waitcnt lgkmcnt(0)
	v_mul_u32_u24_sdwa v77, v28, v57 dst_sel:DWORD dst_unused:UNUSED_PAD src0_sel:WORD_0 src1_sel:DWORD
	v_mul_u32_u24_sdwa v28, v28, v57 dst_sel:DWORD dst_unused:UNUSED_PAD src0_sel:WORD_1 src1_sel:DWORD
	v_mul_u32_u24_sdwa v78, v29, v57 dst_sel:DWORD dst_unused:UNUSED_PAD src0_sel:WORD_0 src1_sel:DWORD
	v_mul_u32_u24_sdwa v29, v29, v57 dst_sel:DWORD dst_unused:UNUSED_PAD src0_sel:WORD_1 src1_sel:DWORD
	;; [unrolled: 2-line block ×4, first 2 shown]
	v_pk_fma_f16 v35, v33, v77, v35
	v_pk_fma_f16 v74, v33, v28, v74
	;; [unrolled: 1-line block ×8, first 2 shown]
	ds_read2_b32 v[32:33], v59 offset1:32
	ds_read_b128 v[28:31], v51 offset:256
	s_waitcnt lgkmcnt(0)
	v_mul_u32_u24_sdwa v78, v28, v57 dst_sel:DWORD dst_unused:UNUSED_PAD src0_sel:WORD_0 src1_sel:DWORD
	v_mul_u32_u24_sdwa v28, v28, v57 dst_sel:DWORD dst_unused:UNUSED_PAD src0_sel:WORD_1 src1_sel:DWORD
	v_mul_u32_u24_sdwa v79, v29, v57 dst_sel:DWORD dst_unused:UNUSED_PAD src0_sel:WORD_0 src1_sel:DWORD
	v_mul_u32_u24_sdwa v29, v29, v57 dst_sel:DWORD dst_unused:UNUSED_PAD src0_sel:WORD_1 src1_sel:DWORD
	v_mul_u32_u24_sdwa v80, v30, v57 dst_sel:DWORD dst_unused:UNUSED_PAD src0_sel:WORD_0 src1_sel:DWORD
	v_mul_u32_u24_sdwa v30, v30, v57 dst_sel:DWORD dst_unused:UNUSED_PAD src0_sel:WORD_1 src1_sel:DWORD
	v_mul_u32_u24_sdwa v81, v31, v57 dst_sel:DWORD dst_unused:UNUSED_PAD src0_sel:WORD_0 src1_sel:DWORD
	v_mul_u32_u24_sdwa v31, v31, v57 dst_sel:DWORD dst_unused:UNUSED_PAD src0_sel:WORD_1 src1_sel:DWORD
	v_pk_fma_f16 v35, v32, v78, v35
	v_pk_fma_f16 v74, v32, v28, v74
	v_pk_fma_f16 v72, v32, v79, v72
	v_pk_fma_f16 v75, v32, v29, v75
	v_pk_fma_f16 v73, v32, v80, v73
	v_pk_fma_f16 v76, v32, v30, v76
	v_pk_fma_f16 v34, v32, v81, v34
	v_pk_fma_f16 v32, v32, v31, v77
	ds_read_b128 v[28:31], v51 offset:272
	s_waitcnt lgkmcnt(0)
	v_mul_u32_u24_sdwa v77, v28, v57 dst_sel:DWORD dst_unused:UNUSED_PAD src0_sel:WORD_0 src1_sel:DWORD
	v_mul_u32_u24_sdwa v28, v28, v57 dst_sel:DWORD dst_unused:UNUSED_PAD src0_sel:WORD_1 src1_sel:DWORD
	v_mul_u32_u24_sdwa v78, v29, v57 dst_sel:DWORD dst_unused:UNUSED_PAD src0_sel:WORD_0 src1_sel:DWORD
	v_mul_u32_u24_sdwa v29, v29, v57 dst_sel:DWORD dst_unused:UNUSED_PAD src0_sel:WORD_1 src1_sel:DWORD
	v_mul_u32_u24_sdwa v79, v30, v57 dst_sel:DWORD dst_unused:UNUSED_PAD src0_sel:WORD_0 src1_sel:DWORD
	v_mul_u32_u24_sdwa v30, v30, v57 dst_sel:DWORD dst_unused:UNUSED_PAD src0_sel:WORD_1 src1_sel:DWORD
	v_mul_u32_u24_sdwa v80, v31, v57 dst_sel:DWORD dst_unused:UNUSED_PAD src0_sel:WORD_0 src1_sel:DWORD
	v_mul_u32_u24_sdwa v31, v31, v57 dst_sel:DWORD dst_unused:UNUSED_PAD src0_sel:WORD_1 src1_sel:DWORD
	v_pk_fma_f16 v35, v33, v77, v35
	v_pk_fma_f16 v74, v33, v28, v74
	v_pk_fma_f16 v72, v33, v78, v72
	v_pk_fma_f16 v75, v33, v29, v75
	v_pk_fma_f16 v73, v33, v79, v73
	v_pk_fma_f16 v76, v33, v30, v76
	v_pk_fma_f16 v34, v33, v80, v34
	v_pk_fma_f16 v77, v33, v31, v32
	ds_read2_b32 v[32:33], v59 offset0:64 offset1:96
	ds_read_b128 v[28:31], v51 offset:288
	s_waitcnt lgkmcnt(0)
	v_mul_u32_u24_sdwa v78, v28, v57 dst_sel:DWORD dst_unused:UNUSED_PAD src0_sel:WORD_0 src1_sel:DWORD
	v_mul_u32_u24_sdwa v28, v28, v57 dst_sel:DWORD dst_unused:UNUSED_PAD src0_sel:WORD_1 src1_sel:DWORD
	v_mul_u32_u24_sdwa v79, v29, v57 dst_sel:DWORD dst_unused:UNUSED_PAD src0_sel:WORD_0 src1_sel:DWORD
	v_mul_u32_u24_sdwa v29, v29, v57 dst_sel:DWORD dst_unused:UNUSED_PAD src0_sel:WORD_1 src1_sel:DWORD
	v_mul_u32_u24_sdwa v80, v30, v57 dst_sel:DWORD dst_unused:UNUSED_PAD src0_sel:WORD_0 src1_sel:DWORD
	v_mul_u32_u24_sdwa v30, v30, v57 dst_sel:DWORD dst_unused:UNUSED_PAD src0_sel:WORD_1 src1_sel:DWORD
	v_mul_u32_u24_sdwa v81, v31, v57 dst_sel:DWORD dst_unused:UNUSED_PAD src0_sel:WORD_0 src1_sel:DWORD
	v_mul_u32_u24_sdwa v31, v31, v57 dst_sel:DWORD dst_unused:UNUSED_PAD src0_sel:WORD_1 src1_sel:DWORD
	v_pk_fma_f16 v35, v32, v78, v35
	v_pk_fma_f16 v74, v32, v28, v74
	v_pk_fma_f16 v72, v32, v79, v72
	v_pk_fma_f16 v75, v32, v29, v75
	v_pk_fma_f16 v73, v32, v80, v73
	v_pk_fma_f16 v76, v32, v30, v76
	v_pk_fma_f16 v34, v32, v81, v34
	v_pk_fma_f16 v32, v32, v31, v77
	ds_read_b128 v[28:31], v51 offset:304
	s_waitcnt lgkmcnt(0)
	v_mul_u32_u24_sdwa v77, v28, v57 dst_sel:DWORD dst_unused:UNUSED_PAD src0_sel:WORD_0 src1_sel:DWORD
	v_mul_u32_u24_sdwa v28, v28, v57 dst_sel:DWORD dst_unused:UNUSED_PAD src0_sel:WORD_1 src1_sel:DWORD
	v_mul_u32_u24_sdwa v78, v29, v57 dst_sel:DWORD dst_unused:UNUSED_PAD src0_sel:WORD_0 src1_sel:DWORD
	v_mul_u32_u24_sdwa v29, v29, v57 dst_sel:DWORD dst_unused:UNUSED_PAD src0_sel:WORD_1 src1_sel:DWORD
	v_mul_u32_u24_sdwa v79, v30, v57 dst_sel:DWORD dst_unused:UNUSED_PAD src0_sel:WORD_0 src1_sel:DWORD
	v_mul_u32_u24_sdwa v30, v30, v57 dst_sel:DWORD dst_unused:UNUSED_PAD src0_sel:WORD_1 src1_sel:DWORD
	v_mul_u32_u24_sdwa v80, v31, v57 dst_sel:DWORD dst_unused:UNUSED_PAD src0_sel:WORD_0 src1_sel:DWORD
	v_mul_u32_u24_sdwa v31, v31, v57 dst_sel:DWORD dst_unused:UNUSED_PAD src0_sel:WORD_1 src1_sel:DWORD
	v_pk_fma_f16 v35, v33, v77, v35
	v_pk_fma_f16 v74, v33, v28, v74
	v_pk_fma_f16 v72, v33, v78, v72
	v_pk_fma_f16 v75, v33, v29, v75
	v_pk_fma_f16 v73, v33, v79, v73
	v_pk_fma_f16 v76, v33, v30, v76
	v_pk_fma_f16 v34, v33, v80, v34
	v_pk_fma_f16 v77, v33, v31, v32
	ds_read2_b32 v[32:33], v59 offset0:128 offset1:160
	;; [unrolled: 37-line block ×3, first 2 shown]
	ds_read_b128 v[28:31], v51 offset:352
	s_waitcnt lgkmcnt(0)
	v_mul_u32_u24_sdwa v78, v28, v57 dst_sel:DWORD dst_unused:UNUSED_PAD src0_sel:WORD_0 src1_sel:DWORD
	v_mul_u32_u24_sdwa v28, v28, v57 dst_sel:DWORD dst_unused:UNUSED_PAD src0_sel:WORD_1 src1_sel:DWORD
	v_mul_u32_u24_sdwa v79, v29, v57 dst_sel:DWORD dst_unused:UNUSED_PAD src0_sel:WORD_0 src1_sel:DWORD
	v_mul_u32_u24_sdwa v29, v29, v57 dst_sel:DWORD dst_unused:UNUSED_PAD src0_sel:WORD_1 src1_sel:DWORD
	;; [unrolled: 2-line block ×4, first 2 shown]
	v_pk_fma_f16 v35, v32, v78, v35
	v_pk_fma_f16 v74, v32, v28, v74
	;; [unrolled: 1-line block ×8, first 2 shown]
	ds_read_b128 v[28:31], v51 offset:368
	s_waitcnt lgkmcnt(0)
	v_mul_u32_u24_sdwa v77, v28, v57 dst_sel:DWORD dst_unused:UNUSED_PAD src0_sel:WORD_0 src1_sel:DWORD
	v_mul_u32_u24_sdwa v28, v28, v57 dst_sel:DWORD dst_unused:UNUSED_PAD src0_sel:WORD_1 src1_sel:DWORD
	v_mul_u32_u24_sdwa v78, v29, v57 dst_sel:DWORD dst_unused:UNUSED_PAD src0_sel:WORD_0 src1_sel:DWORD
	v_mul_u32_u24_sdwa v29, v29, v57 dst_sel:DWORD dst_unused:UNUSED_PAD src0_sel:WORD_1 src1_sel:DWORD
	;; [unrolled: 2-line block ×4, first 2 shown]
	v_pk_fma_f16 v35, v33, v77, v35
	v_pk_fma_f16 v74, v33, v28, v74
	;; [unrolled: 1-line block ×8, first 2 shown]
	ds_read2_b32 v[32:33], v60 offset1:32
	ds_read_b128 v[28:31], v51 offset:384
	s_waitcnt lgkmcnt(0)
	v_mul_u32_u24_sdwa v78, v28, v57 dst_sel:DWORD dst_unused:UNUSED_PAD src0_sel:WORD_0 src1_sel:DWORD
	v_mul_u32_u24_sdwa v28, v28, v57 dst_sel:DWORD dst_unused:UNUSED_PAD src0_sel:WORD_1 src1_sel:DWORD
	v_mul_u32_u24_sdwa v79, v29, v57 dst_sel:DWORD dst_unused:UNUSED_PAD src0_sel:WORD_0 src1_sel:DWORD
	v_mul_u32_u24_sdwa v29, v29, v57 dst_sel:DWORD dst_unused:UNUSED_PAD src0_sel:WORD_1 src1_sel:DWORD
	v_mul_u32_u24_sdwa v80, v30, v57 dst_sel:DWORD dst_unused:UNUSED_PAD src0_sel:WORD_0 src1_sel:DWORD
	v_mul_u32_u24_sdwa v30, v30, v57 dst_sel:DWORD dst_unused:UNUSED_PAD src0_sel:WORD_1 src1_sel:DWORD
	v_mul_u32_u24_sdwa v81, v31, v57 dst_sel:DWORD dst_unused:UNUSED_PAD src0_sel:WORD_0 src1_sel:DWORD
	v_mul_u32_u24_sdwa v31, v31, v57 dst_sel:DWORD dst_unused:UNUSED_PAD src0_sel:WORD_1 src1_sel:DWORD
	v_pk_fma_f16 v35, v32, v78, v35
	v_pk_fma_f16 v74, v32, v28, v74
	v_pk_fma_f16 v72, v32, v79, v72
	v_pk_fma_f16 v75, v32, v29, v75
	v_pk_fma_f16 v73, v32, v80, v73
	v_pk_fma_f16 v76, v32, v30, v76
	v_pk_fma_f16 v34, v32, v81, v34
	v_pk_fma_f16 v32, v32, v31, v77
	ds_read_b128 v[28:31], v51 offset:400
	s_waitcnt lgkmcnt(0)
	v_mul_u32_u24_sdwa v77, v28, v57 dst_sel:DWORD dst_unused:UNUSED_PAD src0_sel:WORD_0 src1_sel:DWORD
	v_mul_u32_u24_sdwa v28, v28, v57 dst_sel:DWORD dst_unused:UNUSED_PAD src0_sel:WORD_1 src1_sel:DWORD
	v_mul_u32_u24_sdwa v78, v29, v57 dst_sel:DWORD dst_unused:UNUSED_PAD src0_sel:WORD_0 src1_sel:DWORD
	v_mul_u32_u24_sdwa v29, v29, v57 dst_sel:DWORD dst_unused:UNUSED_PAD src0_sel:WORD_1 src1_sel:DWORD
	v_mul_u32_u24_sdwa v79, v30, v57 dst_sel:DWORD dst_unused:UNUSED_PAD src0_sel:WORD_0 src1_sel:DWORD
	v_mul_u32_u24_sdwa v30, v30, v57 dst_sel:DWORD dst_unused:UNUSED_PAD src0_sel:WORD_1 src1_sel:DWORD
	v_mul_u32_u24_sdwa v80, v31, v57 dst_sel:DWORD dst_unused:UNUSED_PAD src0_sel:WORD_0 src1_sel:DWORD
	v_mul_u32_u24_sdwa v31, v31, v57 dst_sel:DWORD dst_unused:UNUSED_PAD src0_sel:WORD_1 src1_sel:DWORD
	v_pk_fma_f16 v35, v33, v77, v35
	v_pk_fma_f16 v74, v33, v28, v74
	v_pk_fma_f16 v72, v33, v78, v72
	v_pk_fma_f16 v75, v33, v29, v75
	v_pk_fma_f16 v73, v33, v79, v73
	v_pk_fma_f16 v76, v33, v30, v76
	v_pk_fma_f16 v34, v33, v80, v34
	v_pk_fma_f16 v77, v33, v31, v32
	ds_read2_b32 v[32:33], v60 offset0:64 offset1:96
	ds_read_b128 v[28:31], v51 offset:416
	s_waitcnt lgkmcnt(0)
	v_mul_u32_u24_sdwa v78, v28, v57 dst_sel:DWORD dst_unused:UNUSED_PAD src0_sel:WORD_0 src1_sel:DWORD
	v_mul_u32_u24_sdwa v28, v28, v57 dst_sel:DWORD dst_unused:UNUSED_PAD src0_sel:WORD_1 src1_sel:DWORD
	v_mul_u32_u24_sdwa v79, v29, v57 dst_sel:DWORD dst_unused:UNUSED_PAD src0_sel:WORD_0 src1_sel:DWORD
	v_mul_u32_u24_sdwa v29, v29, v57 dst_sel:DWORD dst_unused:UNUSED_PAD src0_sel:WORD_1 src1_sel:DWORD
	v_mul_u32_u24_sdwa v80, v30, v57 dst_sel:DWORD dst_unused:UNUSED_PAD src0_sel:WORD_0 src1_sel:DWORD
	v_mul_u32_u24_sdwa v30, v30, v57 dst_sel:DWORD dst_unused:UNUSED_PAD src0_sel:WORD_1 src1_sel:DWORD
	v_mul_u32_u24_sdwa v81, v31, v57 dst_sel:DWORD dst_unused:UNUSED_PAD src0_sel:WORD_0 src1_sel:DWORD
	v_mul_u32_u24_sdwa v31, v31, v57 dst_sel:DWORD dst_unused:UNUSED_PAD src0_sel:WORD_1 src1_sel:DWORD
	v_pk_fma_f16 v35, v32, v78, v35
	v_pk_fma_f16 v74, v32, v28, v74
	v_pk_fma_f16 v72, v32, v79, v72
	v_pk_fma_f16 v75, v32, v29, v75
	v_pk_fma_f16 v73, v32, v80, v73
	v_pk_fma_f16 v76, v32, v30, v76
	v_pk_fma_f16 v34, v32, v81, v34
	v_pk_fma_f16 v32, v32, v31, v77
	ds_read_b128 v[28:31], v51 offset:432
	s_waitcnt lgkmcnt(0)
	v_mul_u32_u24_sdwa v77, v28, v57 dst_sel:DWORD dst_unused:UNUSED_PAD src0_sel:WORD_0 src1_sel:DWORD
	v_mul_u32_u24_sdwa v28, v28, v57 dst_sel:DWORD dst_unused:UNUSED_PAD src0_sel:WORD_1 src1_sel:DWORD
	v_mul_u32_u24_sdwa v78, v29, v57 dst_sel:DWORD dst_unused:UNUSED_PAD src0_sel:WORD_0 src1_sel:DWORD
	v_mul_u32_u24_sdwa v29, v29, v57 dst_sel:DWORD dst_unused:UNUSED_PAD src0_sel:WORD_1 src1_sel:DWORD
	v_mul_u32_u24_sdwa v79, v30, v57 dst_sel:DWORD dst_unused:UNUSED_PAD src0_sel:WORD_0 src1_sel:DWORD
	v_mul_u32_u24_sdwa v30, v30, v57 dst_sel:DWORD dst_unused:UNUSED_PAD src0_sel:WORD_1 src1_sel:DWORD
	v_mul_u32_u24_sdwa v80, v31, v57 dst_sel:DWORD dst_unused:UNUSED_PAD src0_sel:WORD_0 src1_sel:DWORD
	v_mul_u32_u24_sdwa v31, v31, v57 dst_sel:DWORD dst_unused:UNUSED_PAD src0_sel:WORD_1 src1_sel:DWORD
	v_pk_fma_f16 v35, v33, v77, v35
	v_pk_fma_f16 v74, v33, v28, v74
	v_pk_fma_f16 v72, v33, v78, v72
	v_pk_fma_f16 v75, v33, v29, v75
	v_pk_fma_f16 v73, v33, v79, v73
	v_pk_fma_f16 v76, v33, v30, v76
	v_pk_fma_f16 v34, v33, v80, v34
	v_pk_fma_f16 v77, v33, v31, v32
	ds_read2_b32 v[32:33], v60 offset0:128 offset1:160
	ds_read_b128 v[28:31], v51 offset:448
	s_waitcnt lgkmcnt(0)
	v_mul_u32_u24_sdwa v78, v28, v57 dst_sel:DWORD dst_unused:UNUSED_PAD src0_sel:WORD_0 src1_sel:DWORD
	v_mul_u32_u24_sdwa v28, v28, v57 dst_sel:DWORD dst_unused:UNUSED_PAD src0_sel:WORD_1 src1_sel:DWORD
	v_mul_u32_u24_sdwa v79, v29, v57 dst_sel:DWORD dst_unused:UNUSED_PAD src0_sel:WORD_0 src1_sel:DWORD
	v_mul_u32_u24_sdwa v29, v29, v57 dst_sel:DWORD dst_unused:UNUSED_PAD src0_sel:WORD_1 src1_sel:DWORD
	v_mul_u32_u24_sdwa v80, v30, v57 dst_sel:DWORD dst_unused:UNUSED_PAD src0_sel:WORD_0 src1_sel:DWORD
	v_mul_u32_u24_sdwa v30, v30, v57 dst_sel:DWORD dst_unused:UNUSED_PAD src0_sel:WORD_1 src1_sel:DWORD
	v_mul_u32_u24_sdwa v81, v31, v57 dst_sel:DWORD dst_unused:UNUSED_PAD src0_sel:WORD_0 src1_sel:DWORD
	v_mul_u32_u24_sdwa v31, v31, v57 dst_sel:DWORD dst_unused:UNUSED_PAD src0_sel:WORD_1 src1_sel:DWORD
	v_pk_fma_f16 v35, v32, v78, v35
	v_pk_fma_f16 v74, v32, v28, v74
	v_pk_fma_f16 v72, v32, v79, v72
	v_pk_fma_f16 v75, v32, v29, v75
	v_pk_fma_f16 v73, v32, v80, v73
	v_pk_fma_f16 v76, v32, v30, v76
	v_pk_fma_f16 v34, v32, v81, v34
	v_pk_fma_f16 v32, v32, v31, v77
	ds_read_b128 v[28:31], v51 offset:464
	s_waitcnt lgkmcnt(0)
	v_mul_u32_u24_sdwa v77, v28, v57 dst_sel:DWORD dst_unused:UNUSED_PAD src0_sel:WORD_0 src1_sel:DWORD
	v_mul_u32_u24_sdwa v28, v28, v57 dst_sel:DWORD dst_unused:UNUSED_PAD src0_sel:WORD_1 src1_sel:DWORD
	v_mul_u32_u24_sdwa v78, v29, v57 dst_sel:DWORD dst_unused:UNUSED_PAD src0_sel:WORD_0 src1_sel:DWORD
	v_mul_u32_u24_sdwa v29, v29, v57 dst_sel:DWORD dst_unused:UNUSED_PAD src0_sel:WORD_1 src1_sel:DWORD
	v_mul_u32_u24_sdwa v79, v30, v57 dst_sel:DWORD dst_unused:UNUSED_PAD src0_sel:WORD_0 src1_sel:DWORD
	v_mul_u32_u24_sdwa v30, v30, v57 dst_sel:DWORD dst_unused:UNUSED_PAD src0_sel:WORD_1 src1_sel:DWORD
	v_mul_u32_u24_sdwa v80, v31, v57 dst_sel:DWORD dst_unused:UNUSED_PAD src0_sel:WORD_0 src1_sel:DWORD
	v_mul_u32_u24_sdwa v31, v31, v57 dst_sel:DWORD dst_unused:UNUSED_PAD src0_sel:WORD_1 src1_sel:DWORD
	v_pk_fma_f16 v35, v33, v77, v35
	v_pk_fma_f16 v74, v33, v28, v74
	v_pk_fma_f16 v72, v33, v78, v72
	v_pk_fma_f16 v75, v33, v29, v75
	v_pk_fma_f16 v73, v33, v79, v73
	v_pk_fma_f16 v76, v33, v30, v76
	v_pk_fma_f16 v34, v33, v80, v34
	v_pk_fma_f16 v77, v33, v31, v32
	ds_read2_b32 v[32:33], v60 offset0:192 offset1:224
	ds_read_b128 v[28:31], v51 offset:480
	s_waitcnt lgkmcnt(0)
	v_mul_u32_u24_sdwa v78, v28, v57 dst_sel:DWORD dst_unused:UNUSED_PAD src0_sel:WORD_0 src1_sel:DWORD
	v_mul_u32_u24_sdwa v28, v28, v57 dst_sel:DWORD dst_unused:UNUSED_PAD src0_sel:WORD_1 src1_sel:DWORD
	v_mul_u32_u24_sdwa v79, v29, v57 dst_sel:DWORD dst_unused:UNUSED_PAD src0_sel:WORD_0 src1_sel:DWORD
	v_mul_u32_u24_sdwa v29, v29, v57 dst_sel:DWORD dst_unused:UNUSED_PAD src0_sel:WORD_1 src1_sel:DWORD
	;; [unrolled: 2-line block ×4, first 2 shown]
	v_pk_fma_f16 v35, v32, v78, v35
	v_pk_fma_f16 v74, v32, v28, v74
	;; [unrolled: 1-line block ×8, first 2 shown]
	ds_read_b128 v[28:31], v51 offset:496
	s_waitcnt lgkmcnt(0)
	v_mul_u32_u24_sdwa v77, v28, v57 dst_sel:DWORD dst_unused:UNUSED_PAD src0_sel:WORD_0 src1_sel:DWORD
	v_mul_u32_u24_sdwa v28, v28, v57 dst_sel:DWORD dst_unused:UNUSED_PAD src0_sel:WORD_1 src1_sel:DWORD
	v_mul_u32_u24_sdwa v78, v29, v57 dst_sel:DWORD dst_unused:UNUSED_PAD src0_sel:WORD_0 src1_sel:DWORD
	v_mul_u32_u24_sdwa v29, v29, v57 dst_sel:DWORD dst_unused:UNUSED_PAD src0_sel:WORD_1 src1_sel:DWORD
	;; [unrolled: 2-line block ×4, first 2 shown]
	v_pk_fma_f16 v35, v33, v77, v35
	v_pk_fma_f16 v74, v33, v28, v74
	;; [unrolled: 1-line block ×8, first 2 shown]
	ds_read2_b32 v[32:33], v61 offset1:32
	ds_read_b128 v[28:31], v51 offset:512
	s_waitcnt lgkmcnt(0)
	v_mul_u32_u24_sdwa v78, v28, v57 dst_sel:DWORD dst_unused:UNUSED_PAD src0_sel:WORD_0 src1_sel:DWORD
	v_mul_u32_u24_sdwa v28, v28, v57 dst_sel:DWORD dst_unused:UNUSED_PAD src0_sel:WORD_1 src1_sel:DWORD
	v_mul_u32_u24_sdwa v79, v29, v57 dst_sel:DWORD dst_unused:UNUSED_PAD src0_sel:WORD_0 src1_sel:DWORD
	v_mul_u32_u24_sdwa v29, v29, v57 dst_sel:DWORD dst_unused:UNUSED_PAD src0_sel:WORD_1 src1_sel:DWORD
	v_mul_u32_u24_sdwa v80, v30, v57 dst_sel:DWORD dst_unused:UNUSED_PAD src0_sel:WORD_0 src1_sel:DWORD
	v_mul_u32_u24_sdwa v30, v30, v57 dst_sel:DWORD dst_unused:UNUSED_PAD src0_sel:WORD_1 src1_sel:DWORD
	v_mul_u32_u24_sdwa v81, v31, v57 dst_sel:DWORD dst_unused:UNUSED_PAD src0_sel:WORD_0 src1_sel:DWORD
	v_mul_u32_u24_sdwa v31, v31, v57 dst_sel:DWORD dst_unused:UNUSED_PAD src0_sel:WORD_1 src1_sel:DWORD
	v_pk_fma_f16 v35, v32, v78, v35
	v_pk_fma_f16 v74, v32, v28, v74
	v_pk_fma_f16 v72, v32, v79, v72
	v_pk_fma_f16 v75, v32, v29, v75
	v_pk_fma_f16 v73, v32, v80, v73
	v_pk_fma_f16 v76, v32, v30, v76
	v_pk_fma_f16 v34, v32, v81, v34
	v_pk_fma_f16 v32, v32, v31, v77
	ds_read_b128 v[28:31], v51 offset:528
	s_waitcnt lgkmcnt(0)
	v_mul_u32_u24_sdwa v77, v28, v57 dst_sel:DWORD dst_unused:UNUSED_PAD src0_sel:WORD_0 src1_sel:DWORD
	v_mul_u32_u24_sdwa v28, v28, v57 dst_sel:DWORD dst_unused:UNUSED_PAD src0_sel:WORD_1 src1_sel:DWORD
	v_mul_u32_u24_sdwa v78, v29, v57 dst_sel:DWORD dst_unused:UNUSED_PAD src0_sel:WORD_0 src1_sel:DWORD
	v_mul_u32_u24_sdwa v29, v29, v57 dst_sel:DWORD dst_unused:UNUSED_PAD src0_sel:WORD_1 src1_sel:DWORD
	v_mul_u32_u24_sdwa v79, v30, v57 dst_sel:DWORD dst_unused:UNUSED_PAD src0_sel:WORD_0 src1_sel:DWORD
	v_mul_u32_u24_sdwa v30, v30, v57 dst_sel:DWORD dst_unused:UNUSED_PAD src0_sel:WORD_1 src1_sel:DWORD
	v_mul_u32_u24_sdwa v80, v31, v57 dst_sel:DWORD dst_unused:UNUSED_PAD src0_sel:WORD_0 src1_sel:DWORD
	v_mul_u32_u24_sdwa v31, v31, v57 dst_sel:DWORD dst_unused:UNUSED_PAD src0_sel:WORD_1 src1_sel:DWORD
	v_pk_fma_f16 v35, v33, v77, v35
	v_pk_fma_f16 v74, v33, v28, v74
	v_pk_fma_f16 v72, v33, v78, v72
	v_pk_fma_f16 v75, v33, v29, v75
	v_pk_fma_f16 v73, v33, v79, v73
	v_pk_fma_f16 v76, v33, v30, v76
	v_pk_fma_f16 v34, v33, v80, v34
	v_pk_fma_f16 v77, v33, v31, v32
	ds_read2_b32 v[32:33], v61 offset0:64 offset1:96
	ds_read_b128 v[28:31], v51 offset:544
	s_waitcnt lgkmcnt(0)
	v_mul_u32_u24_sdwa v78, v28, v57 dst_sel:DWORD dst_unused:UNUSED_PAD src0_sel:WORD_0 src1_sel:DWORD
	v_mul_u32_u24_sdwa v28, v28, v57 dst_sel:DWORD dst_unused:UNUSED_PAD src0_sel:WORD_1 src1_sel:DWORD
	v_mul_u32_u24_sdwa v79, v29, v57 dst_sel:DWORD dst_unused:UNUSED_PAD src0_sel:WORD_0 src1_sel:DWORD
	v_mul_u32_u24_sdwa v29, v29, v57 dst_sel:DWORD dst_unused:UNUSED_PAD src0_sel:WORD_1 src1_sel:DWORD
	v_mul_u32_u24_sdwa v80, v30, v57 dst_sel:DWORD dst_unused:UNUSED_PAD src0_sel:WORD_0 src1_sel:DWORD
	v_mul_u32_u24_sdwa v30, v30, v57 dst_sel:DWORD dst_unused:UNUSED_PAD src0_sel:WORD_1 src1_sel:DWORD
	v_mul_u32_u24_sdwa v81, v31, v57 dst_sel:DWORD dst_unused:UNUSED_PAD src0_sel:WORD_0 src1_sel:DWORD
	v_mul_u32_u24_sdwa v31, v31, v57 dst_sel:DWORD dst_unused:UNUSED_PAD src0_sel:WORD_1 src1_sel:DWORD
	v_pk_fma_f16 v35, v32, v78, v35
	v_pk_fma_f16 v74, v32, v28, v74
	v_pk_fma_f16 v72, v32, v79, v72
	v_pk_fma_f16 v75, v32, v29, v75
	v_pk_fma_f16 v73, v32, v80, v73
	v_pk_fma_f16 v76, v32, v30, v76
	v_pk_fma_f16 v34, v32, v81, v34
	v_pk_fma_f16 v32, v32, v31, v77
	ds_read_b128 v[28:31], v51 offset:560
	s_waitcnt lgkmcnt(0)
	v_mul_u32_u24_sdwa v77, v28, v57 dst_sel:DWORD dst_unused:UNUSED_PAD src0_sel:WORD_0 src1_sel:DWORD
	v_mul_u32_u24_sdwa v28, v28, v57 dst_sel:DWORD dst_unused:UNUSED_PAD src0_sel:WORD_1 src1_sel:DWORD
	v_mul_u32_u24_sdwa v78, v29, v57 dst_sel:DWORD dst_unused:UNUSED_PAD src0_sel:WORD_0 src1_sel:DWORD
	v_mul_u32_u24_sdwa v29, v29, v57 dst_sel:DWORD dst_unused:UNUSED_PAD src0_sel:WORD_1 src1_sel:DWORD
	v_mul_u32_u24_sdwa v79, v30, v57 dst_sel:DWORD dst_unused:UNUSED_PAD src0_sel:WORD_0 src1_sel:DWORD
	v_mul_u32_u24_sdwa v30, v30, v57 dst_sel:DWORD dst_unused:UNUSED_PAD src0_sel:WORD_1 src1_sel:DWORD
	v_mul_u32_u24_sdwa v80, v31, v57 dst_sel:DWORD dst_unused:UNUSED_PAD src0_sel:WORD_0 src1_sel:DWORD
	v_mul_u32_u24_sdwa v31, v31, v57 dst_sel:DWORD dst_unused:UNUSED_PAD src0_sel:WORD_1 src1_sel:DWORD
	v_pk_fma_f16 v35, v33, v77, v35
	v_pk_fma_f16 v74, v33, v28, v74
	v_pk_fma_f16 v72, v33, v78, v72
	v_pk_fma_f16 v75, v33, v29, v75
	v_pk_fma_f16 v73, v33, v79, v73
	v_pk_fma_f16 v76, v33, v30, v76
	v_pk_fma_f16 v34, v33, v80, v34
	v_pk_fma_f16 v77, v33, v31, v32
	ds_read2_b32 v[32:33], v61 offset0:128 offset1:160
	;; [unrolled: 37-line block ×3, first 2 shown]
	ds_read_b128 v[28:31], v51 offset:608
	s_waitcnt lgkmcnt(0)
	v_mul_u32_u24_sdwa v78, v28, v57 dst_sel:DWORD dst_unused:UNUSED_PAD src0_sel:WORD_0 src1_sel:DWORD
	v_mul_u32_u24_sdwa v28, v28, v57 dst_sel:DWORD dst_unused:UNUSED_PAD src0_sel:WORD_1 src1_sel:DWORD
	v_mul_u32_u24_sdwa v79, v29, v57 dst_sel:DWORD dst_unused:UNUSED_PAD src0_sel:WORD_0 src1_sel:DWORD
	v_mul_u32_u24_sdwa v29, v29, v57 dst_sel:DWORD dst_unused:UNUSED_PAD src0_sel:WORD_1 src1_sel:DWORD
	;; [unrolled: 2-line block ×4, first 2 shown]
	v_pk_fma_f16 v35, v32, v78, v35
	v_pk_fma_f16 v74, v32, v28, v74
	;; [unrolled: 1-line block ×8, first 2 shown]
	ds_read_b128 v[28:31], v51 offset:624
	s_waitcnt lgkmcnt(0)
	v_mul_u32_u24_sdwa v77, v28, v57 dst_sel:DWORD dst_unused:UNUSED_PAD src0_sel:WORD_0 src1_sel:DWORD
	v_mul_u32_u24_sdwa v28, v28, v57 dst_sel:DWORD dst_unused:UNUSED_PAD src0_sel:WORD_1 src1_sel:DWORD
	v_mul_u32_u24_sdwa v78, v29, v57 dst_sel:DWORD dst_unused:UNUSED_PAD src0_sel:WORD_0 src1_sel:DWORD
	v_mul_u32_u24_sdwa v29, v29, v57 dst_sel:DWORD dst_unused:UNUSED_PAD src0_sel:WORD_1 src1_sel:DWORD
	;; [unrolled: 2-line block ×4, first 2 shown]
	v_pk_fma_f16 v35, v33, v77, v35
	v_pk_fma_f16 v74, v33, v28, v74
	;; [unrolled: 1-line block ×8, first 2 shown]
	ds_read2_b32 v[32:33], v62 offset1:32
	ds_read_b128 v[28:31], v51 offset:640
	s_waitcnt lgkmcnt(0)
	v_mul_u32_u24_sdwa v78, v28, v57 dst_sel:DWORD dst_unused:UNUSED_PAD src0_sel:WORD_0 src1_sel:DWORD
	v_mul_u32_u24_sdwa v28, v28, v57 dst_sel:DWORD dst_unused:UNUSED_PAD src0_sel:WORD_1 src1_sel:DWORD
	v_mul_u32_u24_sdwa v79, v29, v57 dst_sel:DWORD dst_unused:UNUSED_PAD src0_sel:WORD_0 src1_sel:DWORD
	v_mul_u32_u24_sdwa v29, v29, v57 dst_sel:DWORD dst_unused:UNUSED_PAD src0_sel:WORD_1 src1_sel:DWORD
	v_mul_u32_u24_sdwa v80, v30, v57 dst_sel:DWORD dst_unused:UNUSED_PAD src0_sel:WORD_0 src1_sel:DWORD
	v_mul_u32_u24_sdwa v30, v30, v57 dst_sel:DWORD dst_unused:UNUSED_PAD src0_sel:WORD_1 src1_sel:DWORD
	v_mul_u32_u24_sdwa v81, v31, v57 dst_sel:DWORD dst_unused:UNUSED_PAD src0_sel:WORD_0 src1_sel:DWORD
	v_mul_u32_u24_sdwa v31, v31, v57 dst_sel:DWORD dst_unused:UNUSED_PAD src0_sel:WORD_1 src1_sel:DWORD
	v_pk_fma_f16 v35, v32, v78, v35
	v_pk_fma_f16 v74, v32, v28, v74
	v_pk_fma_f16 v72, v32, v79, v72
	v_pk_fma_f16 v75, v32, v29, v75
	v_pk_fma_f16 v73, v32, v80, v73
	v_pk_fma_f16 v76, v32, v30, v76
	v_pk_fma_f16 v34, v32, v81, v34
	v_pk_fma_f16 v32, v32, v31, v77
	ds_read_b128 v[28:31], v51 offset:656
	s_waitcnt lgkmcnt(0)
	v_mul_u32_u24_sdwa v77, v28, v57 dst_sel:DWORD dst_unused:UNUSED_PAD src0_sel:WORD_0 src1_sel:DWORD
	v_mul_u32_u24_sdwa v28, v28, v57 dst_sel:DWORD dst_unused:UNUSED_PAD src0_sel:WORD_1 src1_sel:DWORD
	v_mul_u32_u24_sdwa v78, v29, v57 dst_sel:DWORD dst_unused:UNUSED_PAD src0_sel:WORD_0 src1_sel:DWORD
	v_mul_u32_u24_sdwa v29, v29, v57 dst_sel:DWORD dst_unused:UNUSED_PAD src0_sel:WORD_1 src1_sel:DWORD
	v_mul_u32_u24_sdwa v79, v30, v57 dst_sel:DWORD dst_unused:UNUSED_PAD src0_sel:WORD_0 src1_sel:DWORD
	v_mul_u32_u24_sdwa v30, v30, v57 dst_sel:DWORD dst_unused:UNUSED_PAD src0_sel:WORD_1 src1_sel:DWORD
	v_mul_u32_u24_sdwa v80, v31, v57 dst_sel:DWORD dst_unused:UNUSED_PAD src0_sel:WORD_0 src1_sel:DWORD
	v_mul_u32_u24_sdwa v31, v31, v57 dst_sel:DWORD dst_unused:UNUSED_PAD src0_sel:WORD_1 src1_sel:DWORD
	v_pk_fma_f16 v35, v33, v77, v35
	v_pk_fma_f16 v74, v33, v28, v74
	v_pk_fma_f16 v72, v33, v78, v72
	v_pk_fma_f16 v75, v33, v29, v75
	v_pk_fma_f16 v73, v33, v79, v73
	v_pk_fma_f16 v76, v33, v30, v76
	v_pk_fma_f16 v34, v33, v80, v34
	v_pk_fma_f16 v77, v33, v31, v32
	ds_read2_b32 v[32:33], v62 offset0:64 offset1:96
	ds_read_b128 v[28:31], v51 offset:672
	s_waitcnt lgkmcnt(0)
	v_mul_u32_u24_sdwa v78, v28, v57 dst_sel:DWORD dst_unused:UNUSED_PAD src0_sel:WORD_0 src1_sel:DWORD
	v_mul_u32_u24_sdwa v28, v28, v57 dst_sel:DWORD dst_unused:UNUSED_PAD src0_sel:WORD_1 src1_sel:DWORD
	v_mul_u32_u24_sdwa v79, v29, v57 dst_sel:DWORD dst_unused:UNUSED_PAD src0_sel:WORD_0 src1_sel:DWORD
	v_mul_u32_u24_sdwa v29, v29, v57 dst_sel:DWORD dst_unused:UNUSED_PAD src0_sel:WORD_1 src1_sel:DWORD
	v_mul_u32_u24_sdwa v80, v30, v57 dst_sel:DWORD dst_unused:UNUSED_PAD src0_sel:WORD_0 src1_sel:DWORD
	v_mul_u32_u24_sdwa v30, v30, v57 dst_sel:DWORD dst_unused:UNUSED_PAD src0_sel:WORD_1 src1_sel:DWORD
	v_mul_u32_u24_sdwa v81, v31, v57 dst_sel:DWORD dst_unused:UNUSED_PAD src0_sel:WORD_0 src1_sel:DWORD
	v_mul_u32_u24_sdwa v31, v31, v57 dst_sel:DWORD dst_unused:UNUSED_PAD src0_sel:WORD_1 src1_sel:DWORD
	v_pk_fma_f16 v35, v32, v78, v35
	v_pk_fma_f16 v74, v32, v28, v74
	v_pk_fma_f16 v72, v32, v79, v72
	v_pk_fma_f16 v75, v32, v29, v75
	v_pk_fma_f16 v73, v32, v80, v73
	v_pk_fma_f16 v76, v32, v30, v76
	v_pk_fma_f16 v34, v32, v81, v34
	v_pk_fma_f16 v32, v32, v31, v77
	ds_read_b128 v[28:31], v51 offset:688
	s_waitcnt lgkmcnt(0)
	v_mul_u32_u24_sdwa v77, v28, v57 dst_sel:DWORD dst_unused:UNUSED_PAD src0_sel:WORD_0 src1_sel:DWORD
	v_mul_u32_u24_sdwa v28, v28, v57 dst_sel:DWORD dst_unused:UNUSED_PAD src0_sel:WORD_1 src1_sel:DWORD
	v_mul_u32_u24_sdwa v78, v29, v57 dst_sel:DWORD dst_unused:UNUSED_PAD src0_sel:WORD_0 src1_sel:DWORD
	v_mul_u32_u24_sdwa v29, v29, v57 dst_sel:DWORD dst_unused:UNUSED_PAD src0_sel:WORD_1 src1_sel:DWORD
	v_mul_u32_u24_sdwa v79, v30, v57 dst_sel:DWORD dst_unused:UNUSED_PAD src0_sel:WORD_0 src1_sel:DWORD
	v_mul_u32_u24_sdwa v30, v30, v57 dst_sel:DWORD dst_unused:UNUSED_PAD src0_sel:WORD_1 src1_sel:DWORD
	v_mul_u32_u24_sdwa v80, v31, v57 dst_sel:DWORD dst_unused:UNUSED_PAD src0_sel:WORD_0 src1_sel:DWORD
	v_mul_u32_u24_sdwa v31, v31, v57 dst_sel:DWORD dst_unused:UNUSED_PAD src0_sel:WORD_1 src1_sel:DWORD
	v_pk_fma_f16 v35, v33, v77, v35
	v_pk_fma_f16 v74, v33, v28, v74
	v_pk_fma_f16 v72, v33, v78, v72
	v_pk_fma_f16 v75, v33, v29, v75
	v_pk_fma_f16 v73, v33, v79, v73
	v_pk_fma_f16 v76, v33, v30, v76
	v_pk_fma_f16 v34, v33, v80, v34
	v_pk_fma_f16 v77, v33, v31, v32
	ds_read2_b32 v[32:33], v62 offset0:128 offset1:160
	;; [unrolled: 37-line block ×3, first 2 shown]
	ds_read_b128 v[28:31], v51 offset:736
	s_waitcnt lgkmcnt(0)
	v_mul_u32_u24_sdwa v78, v28, v57 dst_sel:DWORD dst_unused:UNUSED_PAD src0_sel:WORD_0 src1_sel:DWORD
	v_mul_u32_u24_sdwa v28, v28, v57 dst_sel:DWORD dst_unused:UNUSED_PAD src0_sel:WORD_1 src1_sel:DWORD
	v_mul_u32_u24_sdwa v79, v29, v57 dst_sel:DWORD dst_unused:UNUSED_PAD src0_sel:WORD_0 src1_sel:DWORD
	v_mul_u32_u24_sdwa v29, v29, v57 dst_sel:DWORD dst_unused:UNUSED_PAD src0_sel:WORD_1 src1_sel:DWORD
	;; [unrolled: 2-line block ×4, first 2 shown]
	v_pk_fma_f16 v35, v32, v78, v35
	v_pk_fma_f16 v74, v32, v28, v74
	;; [unrolled: 1-line block ×8, first 2 shown]
	ds_read_b128 v[28:31], v51 offset:752
	s_waitcnt lgkmcnt(0)
	v_mul_u32_u24_sdwa v77, v28, v57 dst_sel:DWORD dst_unused:UNUSED_PAD src0_sel:WORD_0 src1_sel:DWORD
	v_mul_u32_u24_sdwa v28, v28, v57 dst_sel:DWORD dst_unused:UNUSED_PAD src0_sel:WORD_1 src1_sel:DWORD
	v_mul_u32_u24_sdwa v78, v29, v57 dst_sel:DWORD dst_unused:UNUSED_PAD src0_sel:WORD_0 src1_sel:DWORD
	v_mul_u32_u24_sdwa v29, v29, v57 dst_sel:DWORD dst_unused:UNUSED_PAD src0_sel:WORD_1 src1_sel:DWORD
	v_mul_u32_u24_sdwa v79, v30, v57 dst_sel:DWORD dst_unused:UNUSED_PAD src0_sel:WORD_0 src1_sel:DWORD
	v_mul_u32_u24_sdwa v30, v30, v57 dst_sel:DWORD dst_unused:UNUSED_PAD src0_sel:WORD_1 src1_sel:DWORD
	v_mul_u32_u24_sdwa v80, v31, v57 dst_sel:DWORD dst_unused:UNUSED_PAD src0_sel:WORD_0 src1_sel:DWORD
	v_mul_u32_u24_sdwa v31, v31, v57 dst_sel:DWORD dst_unused:UNUSED_PAD src0_sel:WORD_1 src1_sel:DWORD
	v_pk_fma_f16 v35, v33, v77, v35
	v_pk_fma_f16 v74, v33, v28, v74
	;; [unrolled: 1-line block ×8, first 2 shown]
	ds_read2_b32 v[32:33], v63 offset1:32
	ds_read_b128 v[28:31], v51 offset:768
	s_waitcnt lgkmcnt(0)
	v_mul_u32_u24_sdwa v78, v28, v57 dst_sel:DWORD dst_unused:UNUSED_PAD src0_sel:WORD_0 src1_sel:DWORD
	v_mul_u32_u24_sdwa v28, v28, v57 dst_sel:DWORD dst_unused:UNUSED_PAD src0_sel:WORD_1 src1_sel:DWORD
	v_mul_u32_u24_sdwa v79, v29, v57 dst_sel:DWORD dst_unused:UNUSED_PAD src0_sel:WORD_0 src1_sel:DWORD
	v_mul_u32_u24_sdwa v29, v29, v57 dst_sel:DWORD dst_unused:UNUSED_PAD src0_sel:WORD_1 src1_sel:DWORD
	v_mul_u32_u24_sdwa v80, v30, v57 dst_sel:DWORD dst_unused:UNUSED_PAD src0_sel:WORD_0 src1_sel:DWORD
	v_mul_u32_u24_sdwa v30, v30, v57 dst_sel:DWORD dst_unused:UNUSED_PAD src0_sel:WORD_1 src1_sel:DWORD
	v_mul_u32_u24_sdwa v81, v31, v57 dst_sel:DWORD dst_unused:UNUSED_PAD src0_sel:WORD_0 src1_sel:DWORD
	v_mul_u32_u24_sdwa v31, v31, v57 dst_sel:DWORD dst_unused:UNUSED_PAD src0_sel:WORD_1 src1_sel:DWORD
	v_pk_fma_f16 v35, v32, v78, v35
	v_pk_fma_f16 v74, v32, v28, v74
	v_pk_fma_f16 v72, v32, v79, v72
	v_pk_fma_f16 v75, v32, v29, v75
	v_pk_fma_f16 v73, v32, v80, v73
	v_pk_fma_f16 v76, v32, v30, v76
	v_pk_fma_f16 v34, v32, v81, v34
	v_pk_fma_f16 v32, v32, v31, v77
	ds_read_b128 v[28:31], v51 offset:784
	s_waitcnt lgkmcnt(0)
	v_mul_u32_u24_sdwa v77, v28, v57 dst_sel:DWORD dst_unused:UNUSED_PAD src0_sel:WORD_0 src1_sel:DWORD
	v_mul_u32_u24_sdwa v28, v28, v57 dst_sel:DWORD dst_unused:UNUSED_PAD src0_sel:WORD_1 src1_sel:DWORD
	v_mul_u32_u24_sdwa v78, v29, v57 dst_sel:DWORD dst_unused:UNUSED_PAD src0_sel:WORD_0 src1_sel:DWORD
	v_mul_u32_u24_sdwa v29, v29, v57 dst_sel:DWORD dst_unused:UNUSED_PAD src0_sel:WORD_1 src1_sel:DWORD
	v_mul_u32_u24_sdwa v79, v30, v57 dst_sel:DWORD dst_unused:UNUSED_PAD src0_sel:WORD_0 src1_sel:DWORD
	v_mul_u32_u24_sdwa v30, v30, v57 dst_sel:DWORD dst_unused:UNUSED_PAD src0_sel:WORD_1 src1_sel:DWORD
	v_mul_u32_u24_sdwa v80, v31, v57 dst_sel:DWORD dst_unused:UNUSED_PAD src0_sel:WORD_0 src1_sel:DWORD
	v_mul_u32_u24_sdwa v31, v31, v57 dst_sel:DWORD dst_unused:UNUSED_PAD src0_sel:WORD_1 src1_sel:DWORD
	v_pk_fma_f16 v35, v33, v77, v35
	v_pk_fma_f16 v74, v33, v28, v74
	v_pk_fma_f16 v72, v33, v78, v72
	v_pk_fma_f16 v75, v33, v29, v75
	v_pk_fma_f16 v73, v33, v79, v73
	v_pk_fma_f16 v76, v33, v30, v76
	v_pk_fma_f16 v34, v33, v80, v34
	v_pk_fma_f16 v77, v33, v31, v32
	ds_read2_b32 v[32:33], v63 offset0:64 offset1:96
	ds_read_b128 v[28:31], v51 offset:800
	s_waitcnt lgkmcnt(0)
	v_mul_u32_u24_sdwa v78, v28, v57 dst_sel:DWORD dst_unused:UNUSED_PAD src0_sel:WORD_0 src1_sel:DWORD
	v_mul_u32_u24_sdwa v28, v28, v57 dst_sel:DWORD dst_unused:UNUSED_PAD src0_sel:WORD_1 src1_sel:DWORD
	v_mul_u32_u24_sdwa v79, v29, v57 dst_sel:DWORD dst_unused:UNUSED_PAD src0_sel:WORD_0 src1_sel:DWORD
	v_mul_u32_u24_sdwa v29, v29, v57 dst_sel:DWORD dst_unused:UNUSED_PAD src0_sel:WORD_1 src1_sel:DWORD
	v_mul_u32_u24_sdwa v80, v30, v57 dst_sel:DWORD dst_unused:UNUSED_PAD src0_sel:WORD_0 src1_sel:DWORD
	v_mul_u32_u24_sdwa v30, v30, v57 dst_sel:DWORD dst_unused:UNUSED_PAD src0_sel:WORD_1 src1_sel:DWORD
	v_mul_u32_u24_sdwa v81, v31, v57 dst_sel:DWORD dst_unused:UNUSED_PAD src0_sel:WORD_0 src1_sel:DWORD
	v_mul_u32_u24_sdwa v31, v31, v57 dst_sel:DWORD dst_unused:UNUSED_PAD src0_sel:WORD_1 src1_sel:DWORD
	v_pk_fma_f16 v35, v32, v78, v35
	v_pk_fma_f16 v74, v32, v28, v74
	v_pk_fma_f16 v72, v32, v79, v72
	v_pk_fma_f16 v75, v32, v29, v75
	v_pk_fma_f16 v73, v32, v80, v73
	v_pk_fma_f16 v76, v32, v30, v76
	v_pk_fma_f16 v34, v32, v81, v34
	v_pk_fma_f16 v32, v32, v31, v77
	ds_read_b128 v[28:31], v51 offset:816
	s_waitcnt lgkmcnt(0)
	v_mul_u32_u24_sdwa v77, v28, v57 dst_sel:DWORD dst_unused:UNUSED_PAD src0_sel:WORD_0 src1_sel:DWORD
	v_mul_u32_u24_sdwa v28, v28, v57 dst_sel:DWORD dst_unused:UNUSED_PAD src0_sel:WORD_1 src1_sel:DWORD
	v_mul_u32_u24_sdwa v78, v29, v57 dst_sel:DWORD dst_unused:UNUSED_PAD src0_sel:WORD_0 src1_sel:DWORD
	v_mul_u32_u24_sdwa v29, v29, v57 dst_sel:DWORD dst_unused:UNUSED_PAD src0_sel:WORD_1 src1_sel:DWORD
	v_mul_u32_u24_sdwa v79, v30, v57 dst_sel:DWORD dst_unused:UNUSED_PAD src0_sel:WORD_0 src1_sel:DWORD
	v_mul_u32_u24_sdwa v30, v30, v57 dst_sel:DWORD dst_unused:UNUSED_PAD src0_sel:WORD_1 src1_sel:DWORD
	v_mul_u32_u24_sdwa v80, v31, v57 dst_sel:DWORD dst_unused:UNUSED_PAD src0_sel:WORD_0 src1_sel:DWORD
	v_mul_u32_u24_sdwa v31, v31, v57 dst_sel:DWORD dst_unused:UNUSED_PAD src0_sel:WORD_1 src1_sel:DWORD
	v_pk_fma_f16 v35, v33, v77, v35
	v_pk_fma_f16 v74, v33, v28, v74
	v_pk_fma_f16 v72, v33, v78, v72
	v_pk_fma_f16 v75, v33, v29, v75
	v_pk_fma_f16 v73, v33, v79, v73
	v_pk_fma_f16 v76, v33, v30, v76
	v_pk_fma_f16 v34, v33, v80, v34
	v_pk_fma_f16 v77, v33, v31, v32
	ds_read2_b32 v[32:33], v63 offset0:128 offset1:160
	;; [unrolled: 37-line block ×3, first 2 shown]
	ds_read_b128 v[28:31], v51 offset:864
	s_waitcnt lgkmcnt(0)
	v_mul_u32_u24_sdwa v78, v28, v57 dst_sel:DWORD dst_unused:UNUSED_PAD src0_sel:WORD_0 src1_sel:DWORD
	v_mul_u32_u24_sdwa v28, v28, v57 dst_sel:DWORD dst_unused:UNUSED_PAD src0_sel:WORD_1 src1_sel:DWORD
	v_mul_u32_u24_sdwa v79, v29, v57 dst_sel:DWORD dst_unused:UNUSED_PAD src0_sel:WORD_0 src1_sel:DWORD
	v_mul_u32_u24_sdwa v29, v29, v57 dst_sel:DWORD dst_unused:UNUSED_PAD src0_sel:WORD_1 src1_sel:DWORD
	;; [unrolled: 2-line block ×4, first 2 shown]
	v_pk_fma_f16 v35, v32, v78, v35
	v_pk_fma_f16 v74, v32, v28, v74
	;; [unrolled: 1-line block ×8, first 2 shown]
	ds_read_b128 v[28:31], v51 offset:880
	s_waitcnt lgkmcnt(0)
	v_mul_u32_u24_sdwa v77, v28, v57 dst_sel:DWORD dst_unused:UNUSED_PAD src0_sel:WORD_0 src1_sel:DWORD
	v_mul_u32_u24_sdwa v28, v28, v57 dst_sel:DWORD dst_unused:UNUSED_PAD src0_sel:WORD_1 src1_sel:DWORD
	v_mul_u32_u24_sdwa v78, v29, v57 dst_sel:DWORD dst_unused:UNUSED_PAD src0_sel:WORD_0 src1_sel:DWORD
	v_mul_u32_u24_sdwa v29, v29, v57 dst_sel:DWORD dst_unused:UNUSED_PAD src0_sel:WORD_1 src1_sel:DWORD
	v_mul_u32_u24_sdwa v79, v30, v57 dst_sel:DWORD dst_unused:UNUSED_PAD src0_sel:WORD_0 src1_sel:DWORD
	v_mul_u32_u24_sdwa v30, v30, v57 dst_sel:DWORD dst_unused:UNUSED_PAD src0_sel:WORD_1 src1_sel:DWORD
	v_mul_u32_u24_sdwa v80, v31, v57 dst_sel:DWORD dst_unused:UNUSED_PAD src0_sel:WORD_0 src1_sel:DWORD
	v_mul_u32_u24_sdwa v31, v31, v57 dst_sel:DWORD dst_unused:UNUSED_PAD src0_sel:WORD_1 src1_sel:DWORD
	v_pk_fma_f16 v35, v33, v77, v35
	v_pk_fma_f16 v74, v33, v28, v74
	;; [unrolled: 1-line block ×8, first 2 shown]
	ds_read2_b32 v[32:33], v64 offset1:32
	ds_read_b128 v[28:31], v51 offset:896
	s_waitcnt lgkmcnt(0)
	v_mul_u32_u24_sdwa v78, v28, v57 dst_sel:DWORD dst_unused:UNUSED_PAD src0_sel:WORD_0 src1_sel:DWORD
	v_mul_u32_u24_sdwa v28, v28, v57 dst_sel:DWORD dst_unused:UNUSED_PAD src0_sel:WORD_1 src1_sel:DWORD
	v_mul_u32_u24_sdwa v79, v29, v57 dst_sel:DWORD dst_unused:UNUSED_PAD src0_sel:WORD_0 src1_sel:DWORD
	v_mul_u32_u24_sdwa v29, v29, v57 dst_sel:DWORD dst_unused:UNUSED_PAD src0_sel:WORD_1 src1_sel:DWORD
	v_mul_u32_u24_sdwa v80, v30, v57 dst_sel:DWORD dst_unused:UNUSED_PAD src0_sel:WORD_0 src1_sel:DWORD
	v_mul_u32_u24_sdwa v30, v30, v57 dst_sel:DWORD dst_unused:UNUSED_PAD src0_sel:WORD_1 src1_sel:DWORD
	v_mul_u32_u24_sdwa v81, v31, v57 dst_sel:DWORD dst_unused:UNUSED_PAD src0_sel:WORD_0 src1_sel:DWORD
	v_mul_u32_u24_sdwa v31, v31, v57 dst_sel:DWORD dst_unused:UNUSED_PAD src0_sel:WORD_1 src1_sel:DWORD
	v_pk_fma_f16 v35, v32, v78, v35
	v_pk_fma_f16 v74, v32, v28, v74
	v_pk_fma_f16 v72, v32, v79, v72
	v_pk_fma_f16 v75, v32, v29, v75
	v_pk_fma_f16 v73, v32, v80, v73
	v_pk_fma_f16 v76, v32, v30, v76
	v_pk_fma_f16 v34, v32, v81, v34
	v_pk_fma_f16 v32, v32, v31, v77
	ds_read_b128 v[28:31], v51 offset:912
	s_waitcnt lgkmcnt(0)
	v_mul_u32_u24_sdwa v77, v28, v57 dst_sel:DWORD dst_unused:UNUSED_PAD src0_sel:WORD_0 src1_sel:DWORD
	v_mul_u32_u24_sdwa v28, v28, v57 dst_sel:DWORD dst_unused:UNUSED_PAD src0_sel:WORD_1 src1_sel:DWORD
	v_mul_u32_u24_sdwa v78, v29, v57 dst_sel:DWORD dst_unused:UNUSED_PAD src0_sel:WORD_0 src1_sel:DWORD
	v_mul_u32_u24_sdwa v29, v29, v57 dst_sel:DWORD dst_unused:UNUSED_PAD src0_sel:WORD_1 src1_sel:DWORD
	v_mul_u32_u24_sdwa v79, v30, v57 dst_sel:DWORD dst_unused:UNUSED_PAD src0_sel:WORD_0 src1_sel:DWORD
	v_mul_u32_u24_sdwa v30, v30, v57 dst_sel:DWORD dst_unused:UNUSED_PAD src0_sel:WORD_1 src1_sel:DWORD
	v_mul_u32_u24_sdwa v80, v31, v57 dst_sel:DWORD dst_unused:UNUSED_PAD src0_sel:WORD_0 src1_sel:DWORD
	v_mul_u32_u24_sdwa v31, v31, v57 dst_sel:DWORD dst_unused:UNUSED_PAD src0_sel:WORD_1 src1_sel:DWORD
	v_pk_fma_f16 v35, v33, v77, v35
	v_pk_fma_f16 v74, v33, v28, v74
	v_pk_fma_f16 v72, v33, v78, v72
	v_pk_fma_f16 v75, v33, v29, v75
	v_pk_fma_f16 v73, v33, v79, v73
	v_pk_fma_f16 v76, v33, v30, v76
	v_pk_fma_f16 v34, v33, v80, v34
	v_pk_fma_f16 v77, v33, v31, v32
	ds_read2_b32 v[32:33], v64 offset0:64 offset1:96
	ds_read_b128 v[28:31], v51 offset:928
	s_waitcnt lgkmcnt(0)
	v_mul_u32_u24_sdwa v78, v28, v57 dst_sel:DWORD dst_unused:UNUSED_PAD src0_sel:WORD_0 src1_sel:DWORD
	v_mul_u32_u24_sdwa v28, v28, v57 dst_sel:DWORD dst_unused:UNUSED_PAD src0_sel:WORD_1 src1_sel:DWORD
	v_mul_u32_u24_sdwa v79, v29, v57 dst_sel:DWORD dst_unused:UNUSED_PAD src0_sel:WORD_0 src1_sel:DWORD
	v_mul_u32_u24_sdwa v29, v29, v57 dst_sel:DWORD dst_unused:UNUSED_PAD src0_sel:WORD_1 src1_sel:DWORD
	v_mul_u32_u24_sdwa v80, v30, v57 dst_sel:DWORD dst_unused:UNUSED_PAD src0_sel:WORD_0 src1_sel:DWORD
	v_mul_u32_u24_sdwa v30, v30, v57 dst_sel:DWORD dst_unused:UNUSED_PAD src0_sel:WORD_1 src1_sel:DWORD
	v_mul_u32_u24_sdwa v81, v31, v57 dst_sel:DWORD dst_unused:UNUSED_PAD src0_sel:WORD_0 src1_sel:DWORD
	v_mul_u32_u24_sdwa v31, v31, v57 dst_sel:DWORD dst_unused:UNUSED_PAD src0_sel:WORD_1 src1_sel:DWORD
	v_pk_fma_f16 v35, v32, v78, v35
	v_pk_fma_f16 v74, v32, v28, v74
	v_pk_fma_f16 v72, v32, v79, v72
	v_pk_fma_f16 v75, v32, v29, v75
	v_pk_fma_f16 v73, v32, v80, v73
	v_pk_fma_f16 v76, v32, v30, v76
	v_pk_fma_f16 v34, v32, v81, v34
	v_pk_fma_f16 v32, v32, v31, v77
	ds_read_b128 v[28:31], v51 offset:944
	s_waitcnt lgkmcnt(0)
	v_mul_u32_u24_sdwa v77, v28, v57 dst_sel:DWORD dst_unused:UNUSED_PAD src0_sel:WORD_0 src1_sel:DWORD
	v_mul_u32_u24_sdwa v28, v28, v57 dst_sel:DWORD dst_unused:UNUSED_PAD src0_sel:WORD_1 src1_sel:DWORD
	v_mul_u32_u24_sdwa v78, v29, v57 dst_sel:DWORD dst_unused:UNUSED_PAD src0_sel:WORD_0 src1_sel:DWORD
	v_mul_u32_u24_sdwa v29, v29, v57 dst_sel:DWORD dst_unused:UNUSED_PAD src0_sel:WORD_1 src1_sel:DWORD
	v_mul_u32_u24_sdwa v79, v30, v57 dst_sel:DWORD dst_unused:UNUSED_PAD src0_sel:WORD_0 src1_sel:DWORD
	v_mul_u32_u24_sdwa v30, v30, v57 dst_sel:DWORD dst_unused:UNUSED_PAD src0_sel:WORD_1 src1_sel:DWORD
	v_mul_u32_u24_sdwa v80, v31, v57 dst_sel:DWORD dst_unused:UNUSED_PAD src0_sel:WORD_0 src1_sel:DWORD
	v_mul_u32_u24_sdwa v31, v31, v57 dst_sel:DWORD dst_unused:UNUSED_PAD src0_sel:WORD_1 src1_sel:DWORD
	v_pk_fma_f16 v35, v33, v77, v35
	v_pk_fma_f16 v74, v33, v28, v74
	v_pk_fma_f16 v72, v33, v78, v72
	v_pk_fma_f16 v75, v33, v29, v75
	v_pk_fma_f16 v73, v33, v79, v73
	v_pk_fma_f16 v76, v33, v30, v76
	v_pk_fma_f16 v34, v33, v80, v34
	v_pk_fma_f16 v77, v33, v31, v32
	ds_read2_b32 v[32:33], v64 offset0:128 offset1:160
	ds_read_b128 v[28:31], v51 offset:960
	s_waitcnt lgkmcnt(0)
	v_mul_u32_u24_sdwa v78, v28, v57 dst_sel:DWORD dst_unused:UNUSED_PAD src0_sel:WORD_0 src1_sel:DWORD
	v_mul_u32_u24_sdwa v28, v28, v57 dst_sel:DWORD dst_unused:UNUSED_PAD src0_sel:WORD_1 src1_sel:DWORD
	v_mul_u32_u24_sdwa v79, v29, v57 dst_sel:DWORD dst_unused:UNUSED_PAD src0_sel:WORD_0 src1_sel:DWORD
	v_mul_u32_u24_sdwa v29, v29, v57 dst_sel:DWORD dst_unused:UNUSED_PAD src0_sel:WORD_1 src1_sel:DWORD
	v_mul_u32_u24_sdwa v80, v30, v57 dst_sel:DWORD dst_unused:UNUSED_PAD src0_sel:WORD_0 src1_sel:DWORD
	v_mul_u32_u24_sdwa v30, v30, v57 dst_sel:DWORD dst_unused:UNUSED_PAD src0_sel:WORD_1 src1_sel:DWORD
	v_mul_u32_u24_sdwa v81, v31, v57 dst_sel:DWORD dst_unused:UNUSED_PAD src0_sel:WORD_0 src1_sel:DWORD
	v_mul_u32_u24_sdwa v31, v31, v57 dst_sel:DWORD dst_unused:UNUSED_PAD src0_sel:WORD_1 src1_sel:DWORD
	v_pk_fma_f16 v35, v32, v78, v35
	v_pk_fma_f16 v74, v32, v28, v74
	v_pk_fma_f16 v72, v32, v79, v72
	v_pk_fma_f16 v75, v32, v29, v75
	v_pk_fma_f16 v73, v32, v80, v73
	v_pk_fma_f16 v76, v32, v30, v76
	v_pk_fma_f16 v34, v32, v81, v34
	v_pk_fma_f16 v32, v32, v31, v77
	ds_read_b128 v[28:31], v51 offset:976
	s_waitcnt lgkmcnt(0)
	v_mul_u32_u24_sdwa v77, v28, v57 dst_sel:DWORD dst_unused:UNUSED_PAD src0_sel:WORD_0 src1_sel:DWORD
	v_mul_u32_u24_sdwa v28, v28, v57 dst_sel:DWORD dst_unused:UNUSED_PAD src0_sel:WORD_1 src1_sel:DWORD
	v_mul_u32_u24_sdwa v78, v29, v57 dst_sel:DWORD dst_unused:UNUSED_PAD src0_sel:WORD_0 src1_sel:DWORD
	v_mul_u32_u24_sdwa v29, v29, v57 dst_sel:DWORD dst_unused:UNUSED_PAD src0_sel:WORD_1 src1_sel:DWORD
	v_mul_u32_u24_sdwa v79, v30, v57 dst_sel:DWORD dst_unused:UNUSED_PAD src0_sel:WORD_0 src1_sel:DWORD
	v_mul_u32_u24_sdwa v30, v30, v57 dst_sel:DWORD dst_unused:UNUSED_PAD src0_sel:WORD_1 src1_sel:DWORD
	v_mul_u32_u24_sdwa v80, v31, v57 dst_sel:DWORD dst_unused:UNUSED_PAD src0_sel:WORD_0 src1_sel:DWORD
	v_mul_u32_u24_sdwa v31, v31, v57 dst_sel:DWORD dst_unused:UNUSED_PAD src0_sel:WORD_1 src1_sel:DWORD
	v_pk_fma_f16 v35, v33, v77, v35
	v_pk_fma_f16 v74, v33, v28, v74
	v_pk_fma_f16 v72, v33, v78, v72
	v_pk_fma_f16 v75, v33, v29, v75
	v_pk_fma_f16 v73, v33, v79, v73
	v_pk_fma_f16 v76, v33, v30, v76
	v_pk_fma_f16 v34, v33, v80, v34
	v_pk_fma_f16 v77, v33, v31, v32
	ds_read2_b32 v[28:29], v64 offset0:192 offset1:224
	ds_read_b128 v[30:33], v51 offset:992
	s_waitcnt lgkmcnt(0)
	v_mul_u32_u24_sdwa v78, v30, v57 dst_sel:DWORD dst_unused:UNUSED_PAD src0_sel:WORD_0 src1_sel:DWORD
	v_mul_u32_u24_sdwa v79, v30, v57 dst_sel:DWORD dst_unused:UNUSED_PAD src0_sel:WORD_1 src1_sel:DWORD
	v_mul_u32_u24_sdwa v80, v31, v57 dst_sel:DWORD dst_unused:UNUSED_PAD src0_sel:WORD_0 src1_sel:DWORD
	v_mul_u32_u24_sdwa v81, v31, v57 dst_sel:DWORD dst_unused:UNUSED_PAD src0_sel:WORD_1 src1_sel:DWORD
	;; [unrolled: 2-line block ×4, first 2 shown]
	v_pk_fma_f16 v30, v28, v78, v35
	v_pk_fma_f16 v31, v28, v79, v74
	;; [unrolled: 1-line block ×4, first 2 shown]
	ds_read_b128 v[78:81], v51 offset:1008
	s_waitcnt lgkmcnt(0)
	s_barrier
	buffer_gl0_inv
	s_load_dword s14, s[0:1], 0x4
	v_pk_fma_f16 v73, v28, v82, v73
	v_pk_fma_f16 v74, v28, v83, v76
	;; [unrolled: 1-line block ×4, first 2 shown]
	v_mul_u32_u24_sdwa v34, v78, v57 dst_sel:DWORD dst_unused:UNUSED_PAD src0_sel:WORD_0 src1_sel:DWORD
	v_mul_u32_u24_sdwa v35, v78, v57 dst_sel:DWORD dst_unused:UNUSED_PAD src0_sel:WORD_1 src1_sel:DWORD
	v_mul_u32_u24_sdwa v76, v79, v57 dst_sel:DWORD dst_unused:UNUSED_PAD src0_sel:WORD_0 src1_sel:DWORD
	v_mul_u32_u24_sdwa v77, v79, v57 dst_sel:DWORD dst_unused:UNUSED_PAD src0_sel:WORD_1 src1_sel:DWORD
	;; [unrolled: 2-line block ×4, first 2 shown]
	s_waitcnt lgkmcnt(0)
	s_lshl_b32 s14, s14, 6
	v_pk_fma_f16 v72, v29, v34, v30
	v_pk_fma_f16 v35, v29, v35, v31
	;; [unrolled: 1-line block ×8, first 2 shown]
	s_add_i32 s6, s14, s6
	s_cmp_ge_i32 s6, s34
	s_cbranch_scc0 .LBB5_9
; %bb.10:
	v_mov_b32_e32 v9, v38
.LBB5_11:
	v_lshlrev_b32_e32 v27, 1, v0
	v_cmp_lt_i32_e32 vcc_lo, v43, v36
	s_cmp_lg_u64 s[16:17], 0
	s_cselect_b32 s0, -1, 0
	s_cmp_eq_u32 s28, 0
	v_cndmask_b32_e32 v10, v9, v43, vcc_lo
	v_cmp_lt_i32_e32 vcc_lo, v41, v36
	s_cselect_b32 s1, -1, 0
	s_and_b32 s0, s1, s0
	v_lshlrev_b32_e32 v10, 2, v10
	v_cndmask_b32_e32 v18, v9, v41, vcc_lo
	v_cmp_lt_i32_e32 vcc_lo, v40, v36
	ds_bpermute_b32 v11, v10, v65
	ds_bpermute_b32 v12, v10, v66
	;; [unrolled: 1-line block ×8, first 2 shown]
	v_lshlrev_b32_e32 v18, 2, v18
	v_cndmask_b32_e32 v29, v9, v40, vcc_lo
	v_cmp_lt_i32_e32 vcc_lo, v39, v36
	v_lshlrev_b32_e32 v29, 2, v29
	s_waitcnt lgkmcnt(7)
	v_add_f32_e32 v11, v65, v11
	s_waitcnt lgkmcnt(6)
	v_add_f32_e32 v12, v66, v12
	s_waitcnt lgkmcnt(5)
	v_add_f32_e32 v13, v67, v13
	s_waitcnt lgkmcnt(4)
	v_add_f32_e32 v14, v68, v14
	s_waitcnt lgkmcnt(3)
	v_add_f32_e32 v15, v69, v15
	s_waitcnt lgkmcnt(2)
	v_add_f32_e32 v16, v70, v16
	s_waitcnt lgkmcnt(1)
	v_add_f32_e32 v17, v71, v17
	s_waitcnt lgkmcnt(0)
	v_add_f32_e32 v10, v42, v10
	ds_bpermute_b32 v19, v18, v11
	ds_bpermute_b32 v20, v18, v12
	;; [unrolled: 1-line block ×8, first 2 shown]
	s_waitcnt lgkmcnt(7)
	v_add_f32_e32 v11, v11, v19
	s_waitcnt lgkmcnt(6)
	v_add_f32_e32 v12, v12, v20
	;; [unrolled: 2-line block ×8, first 2 shown]
	ds_bpermute_b32 v18, v29, v11
	ds_bpermute_b32 v19, v29, v12
	;; [unrolled: 1-line block ×8, first 2 shown]
	v_cndmask_b32_e32 v29, v9, v39, vcc_lo
	v_cmp_lt_i32_e32 vcc_lo, v37, v36
	v_lshlrev_b32_e32 v29, 2, v29
	v_cndmask_b32_e32 v9, v9, v37, vcc_lo
	s_and_b32 vcc_lo, exec_lo, s0
	v_lshlrev_b32_e32 v9, 2, v9
	s_waitcnt lgkmcnt(7)
	v_add_f32_e32 v11, v11, v18
	s_waitcnt lgkmcnt(6)
	v_add_f32_e32 v12, v12, v19
	;; [unrolled: 2-line block ×8, first 2 shown]
	ds_bpermute_b32 v18, v29, v11
	ds_bpermute_b32 v19, v29, v12
	;; [unrolled: 1-line block ×8, first 2 shown]
	s_waitcnt lgkmcnt(7)
	v_add_f32_e32 v11, v11, v18
	s_waitcnt lgkmcnt(6)
	v_add_f32_e32 v12, v12, v19
	;; [unrolled: 2-line block ×8, first 2 shown]
	ds_bpermute_b32 v10, v9, v11
	ds_bpermute_b32 v19, v9, v12
	;; [unrolled: 1-line block ×8, first 2 shown]
	s_waitcnt lgkmcnt(7)
	v_add_f32_e32 v9, v11, v10
	s_waitcnt lgkmcnt(6)
	v_add_f32_e32 v10, v12, v19
	;; [unrolled: 2-line block ×8, first 2 shown]
	s_cbranch_vccz .LBB5_13
; %bb.12:
	s_ashr_i32 s31, s30, 31
	v_mov_b32_e32 v17, 0
	s_lshl_b64 s[0:1], s[30:31], 2
	v_max_f32_e32 v18, v2, v2
	s_add_u32 s0, s16, s0
	s_addc_u32 s1, s17, s1
	v_max_f32_e32 v19, v3, v3
	s_clause 0x1
	global_load_dwordx4 v[36:39], v17, s[0:1]
	global_load_dwordx4 v[40:43], v17, s[0:1] offset:16
	v_max_f32_e32 v17, v1, v1
	v_max_f32_e32 v20, v4, v4
	;; [unrolled: 1-line block ×6, first 2 shown]
	v_mov_b32_e32 v26, 0x10001
	s_waitcnt vmcnt(1)
	v_max_f32_e32 v29, v36, v36
	v_max_f32_e32 v44, v37, v37
	;; [unrolled: 1-line block ×4, first 2 shown]
	s_waitcnt vmcnt(0)
	v_max_f32_e32 v47, v40, v40
	v_max_f32_e32 v48, v41, v41
	;; [unrolled: 1-line block ×12, first 2 shown]
	v_sub_f32_e32 v29, v1, v17
	v_sub_f32_e32 v44, v2, v18
	;; [unrolled: 1-line block ×8, first 2 shown]
	v_mov_b32_e32 v1, v17
	v_sub_f32_e32 v36, v36, v17
	v_mov_b32_e32 v2, v18
	v_mov_b32_e32 v3, v19
	;; [unrolled: 1-line block ×7, first 2 shown]
	v_mul_f32_e32 v17, 0x3fb8aa3b, v29
	v_sub_f32_e32 v37, v37, v18
	v_mul_f32_e32 v18, 0x3fb8aa3b, v36
	v_sub_f32_e32 v38, v38, v19
	v_mul_f32_e32 v19, 0x3fb8aa3b, v44
	v_fma_f32 v59, 0x3fb8aa3b, v29, -v17
	v_rndne_f32_e32 v60, v17
	v_fma_f32 v61, 0x3fb8aa3b, v36, -v18
	v_rndne_f32_e32 v62, v18
	v_sub_f32_e32 v39, v39, v20
	v_fmac_f32_e32 v59, 0x32a5705f, v29
	v_sub_f32_e32 v17, v17, v60
	v_mul_f32_e32 v20, 0x3fb8aa3b, v37
	v_fma_f32 v63, 0x3fb8aa3b, v44, -v19
	v_rndne_f32_e32 v64, v19
	v_fmac_f32_e32 v61, 0x32a5705f, v36
	v_sub_f32_e32 v18, v18, v62
	v_add_f32_e32 v17, v17, v59
	v_sub_f32_e32 v40, v40, v21
	v_mul_f32_e32 v21, 0x3fb8aa3b, v45
	v_fma_f32 v65, 0x3fb8aa3b, v37, -v20
	v_rndne_f32_e32 v66, v20
	v_fmac_f32_e32 v63, 0x32a5705f, v44
	v_sub_f32_e32 v19, v19, v64
	v_add_f32_e32 v18, v18, v61
	v_exp_f32_e32 v17, v17
	v_sub_f32_e32 v41, v41, v22
	v_mul_f32_e32 v22, 0x3fb8aa3b, v38
	v_fma_f32 v67, 0x3fb8aa3b, v45, -v21
	v_rndne_f32_e32 v68, v21
	v_cvt_i32_f32_e32 v60, v60
	v_fmac_f32_e32 v65, 0x32a5705f, v37
	v_sub_f32_e32 v20, v20, v66
	v_add_f32_e32 v19, v19, v63
	v_exp_f32_e32 v18, v18
	v_sub_f32_e32 v42, v42, v23
	v_mul_f32_e32 v23, 0x3fb8aa3b, v46
	v_fma_f32 v69, 0x3fb8aa3b, v38, -v22
	v_rndne_f32_e32 v70, v22
	v_cvt_i32_f32_e32 v62, v62
	v_fmac_f32_e32 v67, 0x32a5705f, v45
	v_sub_f32_e32 v21, v21, v68
	v_add_f32_e32 v20, v20, v65
	v_exp_f32_e32 v19, v19
	v_ldexp_f32 v17, v17, v60
	v_cmp_ngt_f32_e32 vcc_lo, 0xc2ce8ed0, v29
	v_sub_f32_e32 v43, v43, v24
	v_mul_f32_e32 v24, 0x3fb8aa3b, v39
	v_fma_f32 v71, 0x3fb8aa3b, v46, -v23
	v_rndne_f32_e32 v73, v23
	v_cvt_i32_f32_e32 v64, v64
	v_fmac_f32_e32 v69, 0x32a5705f, v38
	v_sub_f32_e32 v22, v22, v70
	v_add_f32_e32 v21, v21, v67
	v_exp_f32_e32 v20, v20
	v_ldexp_f32 v18, v18, v62
	v_cndmask_b32_e32 v17, 0, v17, vcc_lo
	v_cmp_ngt_f32_e32 vcc_lo, 0xc2ce8ed0, v36
	v_mul_f32_e32 v51, 0x3fb8aa3b, v47
	v_fma_f32 v74, 0x3fb8aa3b, v39, -v24
	v_rndne_f32_e32 v75, v24
	v_cvt_i32_f32_e32 v66, v66
	v_fmac_f32_e32 v71, 0x32a5705f, v46
	v_sub_f32_e32 v23, v23, v73
	v_add_f32_e32 v22, v22, v69
	v_exp_f32_e32 v21, v21
	v_ldexp_f32 v19, v19, v64
	v_cndmask_b32_e32 v18, 0, v18, vcc_lo
	v_cmp_ngt_f32_e32 vcc_lo, 0xc2ce8ed0, v44
	;; [unrolled: 11-line block ×9, first 2 shown]
	v_fma_f32 v90, 0x3fb8aa3b, v43, -v58
	v_rndne_f32_e32 v91, v58
	v_cvt_i32_f32_e32 v83, v83
	v_fmac_f32_e32 v88, 0x32a5705f, v50
	v_sub_f32_e32 v57, v57, v89
	v_add_f32_e32 v56, v56, v86
	v_exp_f32_e32 v55, v55
	v_ldexp_f32 v53, v53, v81
	v_cndmask_b32_e32 v52, 0, v52, vcc_lo
	v_cmp_ngt_f32_e32 vcc_lo, 0xc2ce8ed0, v48
	v_cvt_i32_f32_e32 v85, v85
	v_fmac_f32_e32 v90, 0x32a5705f, v43
	v_sub_f32_e32 v58, v58, v91
	v_add_f32_e32 v57, v57, v88
	v_exp_f32_e32 v56, v56
	v_ldexp_f32 v54, v54, v83
	v_cndmask_b32_e32 v53, 0, v53, vcc_lo
	v_cmp_ngt_f32_e32 vcc_lo, 0xc2ce8ed0, v41
	v_cvt_i32_f32_e32 v87, v87
	v_add_f32_e32 v58, v58, v90
	v_exp_f32_e32 v57, v57
	v_ldexp_f32 v55, v55, v85
	v_cndmask_b32_e32 v54, 0, v54, vcc_lo
	v_cmp_ngt_f32_e32 vcc_lo, 0xc2ce8ed0, v49
	v_cvt_i32_f32_e32 v89, v89
	v_exp_f32_e32 v58, v58
	v_ldexp_f32 v56, v56, v87
	v_cvt_i32_f32_e32 v91, v91
	v_cndmask_b32_e32 v55, 0, v55, vcc_lo
	v_cmp_ngt_f32_e32 vcc_lo, 0xc2ce8ed0, v42
	v_ldexp_f32 v57, v57, v89
	v_cndmask_b32_e32 v56, 0, v56, vcc_lo
	v_cmp_ngt_f32_e32 vcc_lo, 0xc2ce8ed0, v50
	v_ldexp_f32 v58, v58, v91
	v_cndmask_b32_e32 v57, 0, v57, vcc_lo
	v_cmp_ngt_f32_e32 vcc_lo, 0xc2ce8ed0, v43
	v_cndmask_b32_e32 v58, 0, v58, vcc_lo
	v_cmp_nlt_f32_e32 vcc_lo, 0x42b17218, v29
	v_cndmask_b32_e32 v29, 0x7f800000, v17, vcc_lo
	v_cmp_nlt_f32_e32 vcc_lo, 0x42b17218, v36
	;; [unrolled: 2-line block ×3, first 2 shown]
	v_fmac_f32_e32 v17, v9, v29
	v_cndmask_b32_e32 v36, 0x7f800000, v19, vcc_lo
	v_cmp_nlt_f32_e32 vcc_lo, 0x42b17218, v37
	v_cvt_f16_f32_e32 v9, v29
	v_cndmask_b32_e32 v18, 0x7f800000, v20, vcc_lo
	v_cmp_nlt_f32_e32 vcc_lo, 0x42b17218, v45
	v_mul_u32_u24_sdwa v29, v9, v26 dst_sel:DWORD dst_unused:UNUSED_PAD src0_sel:WORD_0 src1_sel:DWORD
	v_mov_b32_e32 v9, v17
	v_fmac_f32_e32 v18, v10, v36
	v_cndmask_b32_e32 v37, 0x7f800000, v21, vcc_lo
	v_cmp_nlt_f32_e32 vcc_lo, 0x42b17218, v38
	v_cvt_f16_f32_e32 v10, v36
	v_pk_mul_f16 v72, v72, v29
	v_cndmask_b32_e32 v19, 0x7f800000, v22, vcc_lo
	v_cmp_nlt_f32_e32 vcc_lo, 0x42b17218, v46
	v_mul_u32_u24_sdwa v36, v10, v26 dst_sel:DWORD dst_unused:UNUSED_PAD src0_sel:WORD_0 src1_sel:DWORD
	v_mov_b32_e32 v10, v18
	v_fmac_f32_e32 v19, v11, v37
	v_cndmask_b32_e32 v38, 0x7f800000, v23, vcc_lo
	v_cmp_nlt_f32_e32 vcc_lo, 0x42b17218, v39
	v_cvt_f16_f32_e32 v11, v37
	v_pk_mul_f16 v35, v35, v36
	;; [unrolled: 9-line block ×6, first 2 shown]
	v_cndmask_b32_e32 v24, 0x7f800000, v58, vcc_lo
	v_mul_u32_u24_sdwa v41, v15, v26 dst_sel:DWORD dst_unused:UNUSED_PAD src0_sel:WORD_0 src1_sel:DWORD
	v_mov_b32_e32 v15, v23
	v_fmac_f32_e32 v24, v16, v42
	v_cvt_f16_f32_e32 v16, v42
	v_pk_mul_f16 v30, v30, v41
	v_mul_u32_u24_sdwa v16, v16, v26 dst_sel:DWORD dst_unused:UNUSED_PAD src0_sel:WORD_0 src1_sel:DWORD
	v_pk_mul_f16 v28, v28, v16
	v_mov_b32_e32 v16, v24
	s_mov_b32 s0, exec_lo
	v_cmpx_gt_i32_e64 s2, v25
	s_cbranch_execnz .LBB5_14
	s_branch .LBB5_46
.LBB5_13:
	v_mov_b32_e32 v24, v16
	v_mov_b32_e32 v23, v15
	;; [unrolled: 1-line block ×8, first 2 shown]
	s_mov_b32 s0, exec_lo
	v_cmpx_gt_i32_e64 s2, v25
	s_cbranch_execz .LBB5_46
.LBB5_14:
	s_load_dword s1, s[4:5], 0xd4
	v_mov_b32_e32 v29, 1.0
	s_waitcnt lgkmcnt(0)
	s_cmp_lg_u32 s1, 1
	s_cselect_b32 s5, -1, 0
	s_cmp_eq_u32 s1, 1
	s_cselect_b32 s4, -1, 0
	s_and_b32 vcc_lo, exec_lo, s5
	s_cbranch_vccnz .LBB5_16
; %bb.15:
	v_div_scale_f32 v26, null, v9, v9, 1.0
	v_rcp_f32_e32 v29, v26
	v_fma_f32 v36, -v26, v29, 1.0
	v_fmac_f32_e32 v29, v36, v29
	v_div_scale_f32 v36, vcc_lo, 1.0, v9, 1.0
	v_mul_f32_e32 v37, v36, v29
	v_fma_f32 v38, -v26, v37, v36
	v_fmac_f32_e32 v37, v38, v29
	v_fma_f32 v26, -v26, v37, v36
	v_div_fmas_f32 v26, v26, v29, v37
	v_div_fixup_f32 v29, v26, v9, 1.0
.LBB5_16:
	v_mad_u64_u32 v[25:26], null, s7, s2, v[25:26]
	v_mov_b32_e32 v37, 0
	v_cvt_f32_f16_e32 v9, v72
	v_cmp_eq_u32_e32 vcc_lo, 0, v0
	v_mul_f32_e32 v38, v29, v9
	v_mad_u64_u32 v[25:26], null, v25, s3, s[30:31]
	v_mad_u64_u32 v[25:26], null, s1, v25, s[28:29]
	v_cvt_f32_f16_sdwa v26, v72 dst_sel:DWORD dst_unused:UNUSED_PAD src0_sel:WORD_1
	v_mul_f32_e32 v39, v29, v26
	v_lshl_add_u32 v36, v25, 6, v27
	v_lshlrev_b64 v[36:37], 2, v[36:37]
	v_add_co_u32 v36, s0, s20, v36
	v_add_co_ci_u32_e64 v37, null, s21, v37, s0
	s_and_b32 s0, vcc_lo, s5
	global_store_dwordx2 v[36:37], v[38:39], off
	s_and_saveexec_b32 s2, s0
	s_cbranch_execz .LBB5_18
; %bb.17:
	v_ashrrev_i32_e32 v26, 31, v25
	v_mov_b32_e32 v0, v1
	v_mov_b32_e32 v1, v17
	v_lshlrev_b64 v[36:37], 3, v[25:26]
	v_add_co_u32 v36, vcc_lo, s22, v36
	v_add_co_ci_u32_e64 v37, null, s23, v37, vcc_lo
	global_store_dwordx2 v[36:37], v[0:1], off
.LBB5_18:
	s_or_b32 exec_lo, exec_lo, s2
	v_cndmask_b32_e64 v9, 0, 1, s4
	v_mov_b32_e32 v1, 1.0
	s_andn2_b32 vcc_lo, exec_lo, s4
	s_cbranch_vccnz .LBB5_20
; %bb.19:
	v_div_scale_f32 v0, null, v10, v10, 1.0
	v_rcp_f32_e32 v1, v0
	v_fma_f32 v17, -v0, v1, 1.0
	v_fmac_f32_e32 v1, v17, v1
	v_div_scale_f32 v17, vcc_lo, 1.0, v10, 1.0
	v_mul_f32_e32 v26, v17, v1
	v_fma_f32 v29, -v0, v26, v17
	v_fmac_f32_e32 v26, v29, v1
	v_fma_f32 v0, -v0, v26, v17
	v_div_fmas_f32 v0, v0, v1, v26
	v_div_fixup_f32 v1, v0, v10, 1.0
.LBB5_20:
	v_add_nc_u32_e32 v0, s1, v25
	v_mov_b32_e32 v26, 0
	v_cvt_f32_f16_e32 v10, v35
	v_cvt_f32_f16_sdwa v17, v35 dst_sel:DWORD dst_unused:UNUSED_PAD src0_sel:WORD_1
	v_lshl_add_u32 v25, v0, 6, v27
	v_mul_f32_e32 v35, v1, v10
	v_mul_f32_e32 v36, v1, v17
	v_lshlrev_b64 v[25:26], 2, v[25:26]
	v_add_co_u32 v25, vcc_lo, s20, v25
	v_add_co_ci_u32_e64 v26, null, s21, v26, vcc_lo
	global_store_dwordx2 v[25:26], v[35:36], off
	s_and_saveexec_b32 s2, s0
	s_cbranch_execz .LBB5_22
; %bb.21:
	v_ashrrev_i32_e32 v1, 31, v0
	v_mov_b32_e32 v17, v2
	v_lshlrev_b64 v[25:26], 3, v[0:1]
	v_add_co_u32 v25, vcc_lo, s22, v25
	v_add_co_ci_u32_e64 v26, null, s23, v26, vcc_lo
	global_store_dwordx2 v[25:26], v[17:18], off
.LBB5_22:
	s_or_b32 exec_lo, exec_lo, s2
	v_cmp_ne_u32_e32 vcc_lo, 1, v9
	v_mov_b32_e32 v1, 1.0
	s_cbranch_vccnz .LBB5_24
; %bb.23:
	v_div_scale_f32 v1, null, v11, v11, 1.0
	v_rcp_f32_e32 v2, v1
	v_fma_f32 v10, -v1, v2, 1.0
	v_fmac_f32_e32 v2, v10, v2
	v_div_scale_f32 v10, vcc_lo, 1.0, v11, 1.0
	v_mul_f32_e32 v17, v10, v2
	v_fma_f32 v18, -v1, v17, v10
	v_fmac_f32_e32 v17, v18, v2
	v_fma_f32 v1, -v1, v17, v10
	v_div_fmas_f32 v1, v1, v2, v17
	v_div_fixup_f32 v1, v1, v11, 1.0
.LBB5_24:
	v_add_nc_u32_e32 v0, s1, v0
	v_mov_b32_e32 v11, 0
	v_cvt_f32_f16_e32 v2, v34
	v_cvt_f32_f16_sdwa v18, v34 dst_sel:DWORD dst_unused:UNUSED_PAD src0_sel:WORD_1
	v_lshl_add_u32 v10, v0, 6, v27
	v_mul_f32_e32 v17, v1, v2
	v_mul_f32_e32 v18, v1, v18
	v_lshlrev_b64 v[10:11], 2, v[10:11]
	v_add_co_u32 v1, vcc_lo, s20, v10
	v_add_co_ci_u32_e64 v2, null, s21, v11, vcc_lo
	global_store_dwordx2 v[1:2], v[17:18], off
	s_and_saveexec_b32 s2, s0
	s_cbranch_execz .LBB5_26
; %bb.25:
	v_ashrrev_i32_e32 v1, 31, v0
	v_mov_b32_e32 v18, v3
	v_lshlrev_b64 v[1:2], 3, v[0:1]
	v_add_co_u32 v1, vcc_lo, s22, v1
	v_add_co_ci_u32_e64 v2, null, s23, v2, vcc_lo
	global_store_dwordx2 v[1:2], v[18:19], off
.LBB5_26:
	s_or_b32 exec_lo, exec_lo, s2
	v_cmp_ne_u32_e32 vcc_lo, 1, v9
	v_mov_b32_e32 v1, 1.0
	;; [unrolled: 38-line block ×6, first 2 shown]
	s_cbranch_vccnz .LBB5_44
; %bb.43:
	v_div_scale_f32 v1, null, v16, v16, 1.0
	v_rcp_f32_e32 v2, v1
	v_fma_f32 v3, -v1, v2, 1.0
	v_fmac_f32_e32 v2, v3, v2
	v_div_scale_f32 v3, vcc_lo, 1.0, v16, 1.0
	v_mul_f32_e32 v4, v3, v2
	v_fma_f32 v5, -v1, v4, v3
	v_fmac_f32_e32 v4, v5, v2
	v_fma_f32 v1, -v1, v4, v3
	v_div_fmas_f32 v1, v1, v2, v4
	v_div_fixup_f32 v1, v1, v16, 1.0
.LBB5_44:
	v_add_nc_u32_e32 v0, s1, v0
	v_mov_b32_e32 v3, 0
	v_cvt_f32_f16_e32 v4, v28
	v_cvt_f32_f16_sdwa v5, v28 dst_sel:DWORD dst_unused:UNUSED_PAD src0_sel:WORD_1
	v_lshl_add_u32 v2, v0, 6, v27
	v_mul_f32_e32 v4, v1, v4
	v_mul_f32_e32 v5, v1, v5
	v_lshlrev_b64 v[2:3], 2, v[2:3]
	v_add_co_u32 v1, vcc_lo, s20, v2
	v_add_co_ci_u32_e64 v2, null, s21, v3, vcc_lo
	global_store_dwordx2 v[1:2], v[4:5], off
	s_and_b32 exec_lo, exec_lo, s0
	s_cbranch_execz .LBB5_46
; %bb.45:
	v_ashrrev_i32_e32 v1, 31, v0
	v_mov_b32_e32 v23, v8
	v_lshlrev_b64 v[0:1], 3, v[0:1]
	v_add_co_u32 v0, vcc_lo, s22, v0
	v_add_co_ci_u32_e64 v1, null, s23, v1, vcc_lo
	global_store_dwordx2 v[0:1], v[23:24], off
	s_endpgm
.LBB5_46:
	s_endpgm
	.section	.rodata,"a",@progbits
	.p2align	6, 0x0
	.amdhsa_kernel _ZL15flash_attn_tileILi64ELi64ELi4ELi8ELb0EEvPKcS1_S1_S1_S1_PKiPfP15HIP_vector_typeIfLj2EEffffjfiS5_IjLj3EEiiiiiiiiiiiliiliiiiil
		.amdhsa_group_segment_fixed_size 17408
		.amdhsa_private_segment_fixed_size 0
		.amdhsa_kernarg_size 464
		.amdhsa_user_sgpr_count 6
		.amdhsa_user_sgpr_private_segment_buffer 1
		.amdhsa_user_sgpr_dispatch_ptr 0
		.amdhsa_user_sgpr_queue_ptr 0
		.amdhsa_user_sgpr_kernarg_segment_ptr 1
		.amdhsa_user_sgpr_dispatch_id 0
		.amdhsa_user_sgpr_flat_scratch_init 0
		.amdhsa_user_sgpr_private_segment_size 0
		.amdhsa_wavefront_size32 1
		.amdhsa_uses_dynamic_stack 0
		.amdhsa_system_sgpr_private_segment_wavefront_offset 0
		.amdhsa_system_sgpr_workgroup_id_x 1
		.amdhsa_system_sgpr_workgroup_id_y 1
		.amdhsa_system_sgpr_workgroup_id_z 1
		.amdhsa_system_sgpr_workgroup_info 0
		.amdhsa_system_vgpr_workitem_id 1
		.amdhsa_next_free_vgpr 129
		.amdhsa_next_free_sgpr 40
		.amdhsa_reserve_vcc 1
		.amdhsa_reserve_flat_scratch 0
		.amdhsa_float_round_mode_32 0
		.amdhsa_float_round_mode_16_64 0
		.amdhsa_float_denorm_mode_32 3
		.amdhsa_float_denorm_mode_16_64 3
		.amdhsa_dx10_clamp 1
		.amdhsa_ieee_mode 1
		.amdhsa_fp16_overflow 0
		.amdhsa_workgroup_processor_mode 1
		.amdhsa_memory_ordered 1
		.amdhsa_forward_progress 1
		.amdhsa_shared_vgpr_count 0
		.amdhsa_exception_fp_ieee_invalid_op 0
		.amdhsa_exception_fp_denorm_src 0
		.amdhsa_exception_fp_ieee_div_zero 0
		.amdhsa_exception_fp_ieee_overflow 0
		.amdhsa_exception_fp_ieee_underflow 0
		.amdhsa_exception_fp_ieee_inexact 0
		.amdhsa_exception_int_div_zero 0
	.end_amdhsa_kernel
	.section	.text._ZL15flash_attn_tileILi64ELi64ELi4ELi8ELb0EEvPKcS1_S1_S1_S1_PKiPfP15HIP_vector_typeIfLj2EEffffjfiS5_IjLj3EEiiiiiiiiiiiliiliiiiil,"axG",@progbits,_ZL15flash_attn_tileILi64ELi64ELi4ELi8ELb0EEvPKcS1_S1_S1_S1_PKiPfP15HIP_vector_typeIfLj2EEffffjfiS5_IjLj3EEiiiiiiiiiiiliiliiiiil,comdat
.Lfunc_end5:
	.size	_ZL15flash_attn_tileILi64ELi64ELi4ELi8ELb0EEvPKcS1_S1_S1_S1_PKiPfP15HIP_vector_typeIfLj2EEffffjfiS5_IjLj3EEiiiiiiiiiiiliiliiiiil, .Lfunc_end5-_ZL15flash_attn_tileILi64ELi64ELi4ELi8ELb0EEvPKcS1_S1_S1_S1_PKiPfP15HIP_vector_typeIfLj2EEffffjfiS5_IjLj3EEiiiiiiiiiiiliiliiiiil
                                        ; -- End function
	.set _ZL15flash_attn_tileILi64ELi64ELi4ELi8ELb0EEvPKcS1_S1_S1_S1_PKiPfP15HIP_vector_typeIfLj2EEffffjfiS5_IjLj3EEiiiiiiiiiiiliiliiiiil.num_vgpr, 128
	.set _ZL15flash_attn_tileILi64ELi64ELi4ELi8ELb0EEvPKcS1_S1_S1_S1_PKiPfP15HIP_vector_typeIfLj2EEffffjfiS5_IjLj3EEiiiiiiiiiiiliiliiiiil.num_agpr, 0
	.set _ZL15flash_attn_tileILi64ELi64ELi4ELi8ELb0EEvPKcS1_S1_S1_S1_PKiPfP15HIP_vector_typeIfLj2EEffffjfiS5_IjLj3EEiiiiiiiiiiiliiliiiiil.numbered_sgpr, 40
	.set _ZL15flash_attn_tileILi64ELi64ELi4ELi8ELb0EEvPKcS1_S1_S1_S1_PKiPfP15HIP_vector_typeIfLj2EEffffjfiS5_IjLj3EEiiiiiiiiiiiliiliiiiil.num_named_barrier, 0
	.set _ZL15flash_attn_tileILi64ELi64ELi4ELi8ELb0EEvPKcS1_S1_S1_S1_PKiPfP15HIP_vector_typeIfLj2EEffffjfiS5_IjLj3EEiiiiiiiiiiiliiliiiiil.private_seg_size, 0
	.set _ZL15flash_attn_tileILi64ELi64ELi4ELi8ELb0EEvPKcS1_S1_S1_S1_PKiPfP15HIP_vector_typeIfLj2EEffffjfiS5_IjLj3EEiiiiiiiiiiiliiliiiiil.uses_vcc, 1
	.set _ZL15flash_attn_tileILi64ELi64ELi4ELi8ELb0EEvPKcS1_S1_S1_S1_PKiPfP15HIP_vector_typeIfLj2EEffffjfiS5_IjLj3EEiiiiiiiiiiiliiliiiiil.uses_flat_scratch, 0
	.set _ZL15flash_attn_tileILi64ELi64ELi4ELi8ELb0EEvPKcS1_S1_S1_S1_PKiPfP15HIP_vector_typeIfLj2EEffffjfiS5_IjLj3EEiiiiiiiiiiiliiliiiiil.has_dyn_sized_stack, 0
	.set _ZL15flash_attn_tileILi64ELi64ELi4ELi8ELb0EEvPKcS1_S1_S1_S1_PKiPfP15HIP_vector_typeIfLj2EEffffjfiS5_IjLj3EEiiiiiiiiiiiliiliiiiil.has_recursion, 0
	.set _ZL15flash_attn_tileILi64ELi64ELi4ELi8ELb0EEvPKcS1_S1_S1_S1_PKiPfP15HIP_vector_typeIfLj2EEffffjfiS5_IjLj3EEiiiiiiiiiiiliiliiiiil.has_indirect_call, 0
	.section	.AMDGPU.csdata,"",@progbits
; Kernel info:
; codeLenInByte = 31164
; TotalNumSgprs: 42
; NumVgprs: 128
; ScratchSize: 0
; MemoryBound: 0
; FloatMode: 240
; IeeeMode: 1
; LDSByteSize: 17408 bytes/workgroup (compile time only)
; SGPRBlocks: 0
; VGPRBlocks: 16
; NumSGPRsForWavesPerEU: 42
; NumVGPRsForWavesPerEU: 129
; Occupancy: 7
; WaveLimiterHint : 1
; COMPUTE_PGM_RSRC2:SCRATCH_EN: 0
; COMPUTE_PGM_RSRC2:USER_SGPR: 6
; COMPUTE_PGM_RSRC2:TRAP_HANDLER: 0
; COMPUTE_PGM_RSRC2:TGID_X_EN: 1
; COMPUTE_PGM_RSRC2:TGID_Y_EN: 1
; COMPUTE_PGM_RSRC2:TGID_Z_EN: 1
; COMPUTE_PGM_RSRC2:TIDIG_COMP_CNT: 1
	.section	.text._ZL25flash_attn_mask_to_KV_maxILi4EEvPK7__half2Piiii,"axG",@progbits,_ZL25flash_attn_mask_to_KV_maxILi4EEvPK7__half2Piiii,comdat
	.globl	_ZL25flash_attn_mask_to_KV_maxILi4EEvPK7__half2Piiii ; -- Begin function _ZL25flash_attn_mask_to_KV_maxILi4EEvPK7__half2Piiii
	.p2align	8
	.type	_ZL25flash_attn_mask_to_KV_maxILi4EEvPK7__half2Piiii,@function
_ZL25flash_attn_mask_to_KV_maxILi4EEvPK7__half2Piiii: ; @_ZL25flash_attn_mask_to_KV_maxILi4EEvPK7__half2Piiii
; %bb.0:
	s_load_dwordx4 s[8:11], s[4:5], 0x0
	s_mov_b32 s0, exec_lo
	v_cmpx_gt_u32_e32 32, v0
; %bb.1:
	v_lshlrev_b32_e32 v1, 2, v0
	v_mov_b32_e32 v2, 1
	ds_write_b32 v1, v2
; %bb.2:
	s_or_b32 exec_lo, exec_lo, s0
	s_clause 0x1
	s_load_dwordx4 s[12:15], s[4:5], 0x10
	s_load_dword s1, s[4:5], 0x20
	v_and_b32_e32 v1, 31, v0
	v_lshrrev_b32_e32 v5, 3, v0
	v_mov_b32_e32 v2, 0
	v_mov_b32_e32 v6, 0x204
	s_waitcnt lgkmcnt(0)
	v_lshlrev_b32_e32 v7, 2, v1
	s_barrier
	buffer_gl0_inv
	s_mul_i32 s0, s6, s13
	s_mul_i32 s2, s14, s7
	s_lshl_b32 s0, s0, 2
	s_add_i32 s2, s2, s0
	v_cmp_eq_u32_e64 s0, 0, v1
	s_ashr_i32 s3, s2, 31
	s_lshl_b64 s[4:5], s[2:3], 2
	s_add_u32 s3, s8, s4
	s_addc_u32 s4, s9, s5
	s_lshl_b32 s5, s12, 8
	s_branch .LBB6_4
.LBB6_3:                                ;   in Loop: Header=BB6_4 Depth=1
	s_or_b32 exec_lo, exec_lo, s8
	s_waitcnt lgkmcnt(0)
	s_barrier
	buffer_gl0_inv
	ds_read_b32 v1, v7
	s_waitcnt lgkmcnt(0)
	s_barrier
	buffer_gl0_inv
	v_cmp_ne_u32_e32 vcc_lo, 0, v1
	s_cmp_lg_u32 vcc_lo, exec_lo
	s_cselect_b32 s8, -1, 0
	s_and_b32 vcc_lo, exec_lo, s8
	s_cbranch_vccnz .LBB6_20
.LBB6_4:                                ; =>This Inner Loop Header: Depth=1
	s_mov_b32 s2, s5
	s_addk_i32 s5, 0xff00
	s_cmp_lt_i32 s5, 0
	s_cbranch_scc1 .LBB6_19
; %bb.5:                                ;   in Loop: Header=BB6_4 Depth=1
	s_lshr_b32 s8, s5, 1
	v_add_nc_u32_e32 v1, s8, v0
	v_lshlrev_b64 v[3:4], 2, v[1:2]
	v_add_co_u32 v3, vcc_lo, s3, v3
	v_add_co_ci_u32_e64 v4, null, s4, v4, vcc_lo
	global_load_dword v3, v[3:4], off
	s_waitcnt vmcnt(0)
	v_cmp_class_f16_e64 s8, v3, 0x204
	v_cmp_class_f16_sdwa s9, v3, v6 src0_sel:WORD_1 src1_sel:DWORD
	s_and_b32 s12, s8, s9
	s_mov_b32 s9, 0
	s_and_saveexec_b32 s8, s12
	s_cbranch_execz .LBB6_17
; %bb.6:                                ;   in Loop: Header=BB6_4 Depth=1
	v_add_nc_u32_e32 v3, s13, v1
	s_mov_b32 s12, 0
	v_ashrrev_i32_e32 v4, 31, v3
	v_lshlrev_b64 v[8:9], 2, v[3:4]
	v_add_co_u32 v8, vcc_lo, s3, v8
	v_add_co_ci_u32_e64 v9, null, s4, v9, vcc_lo
	global_load_dword v1, v[8:9], off
	s_waitcnt vmcnt(0)
	v_cmp_class_f16_e64 s14, v1, 0x204
	s_and_saveexec_b32 s9, s14
	s_cbranch_execz .LBB6_16
; %bb.7:                                ;   in Loop: Header=BB6_4 Depth=1
	v_cmp_class_f16_sdwa s15, v1, v6 src0_sel:WORD_1 src1_sel:DWORD
	s_mov_b32 s14, 0
	s_and_saveexec_b32 s12, s15
	s_cbranch_execz .LBB6_15
; %bb.8:                                ;   in Loop: Header=BB6_4 Depth=1
	v_add_nc_u32_e32 v3, s13, v3
	s_mov_b32 s15, 0
	v_ashrrev_i32_e32 v4, 31, v3
	v_lshlrev_b64 v[8:9], 2, v[3:4]
	v_add_co_u32 v8, vcc_lo, s3, v8
	v_add_co_ci_u32_e64 v9, null, s4, v9, vcc_lo
	global_load_dword v1, v[8:9], off
	s_waitcnt vmcnt(0)
	v_cmp_class_f16_e64 s16, v1, 0x204
	s_and_saveexec_b32 s14, s16
	s_cbranch_execz .LBB6_14
; %bb.9:                                ;   in Loop: Header=BB6_4 Depth=1
	v_cmp_class_f16_sdwa s17, v1, v6 src0_sel:WORD_1 src1_sel:DWORD
	s_mov_b32 s16, 0
	s_and_saveexec_b32 s15, s17
	s_cbranch_execz .LBB6_13
; %bb.10:                               ;   in Loop: Header=BB6_4 Depth=1
	v_add_nc_u32_e32 v3, s13, v3
	v_ashrrev_i32_e32 v4, 31, v3
	v_lshlrev_b64 v[3:4], 2, v[3:4]
	v_add_co_u32 v3, vcc_lo, s3, v3
	v_add_co_ci_u32_e64 v4, null, s4, v4, vcc_lo
	global_load_dword v1, v[3:4], off
	s_waitcnt vmcnt(0)
	v_cmp_class_f16_e64 s18, v1, 0x204
	s_and_saveexec_b32 s17, s18
; %bb.11:                               ;   in Loop: Header=BB6_4 Depth=1
	v_cmp_class_f16_sdwa s16, v1, v6 src0_sel:WORD_1 src1_sel:DWORD
	s_and_b32 s16, s16, exec_lo
; %bb.12:                               ;   in Loop: Header=BB6_4 Depth=1
	s_or_b32 exec_lo, exec_lo, s17
	s_and_b32 s16, s16, exec_lo
.LBB6_13:                               ;   in Loop: Header=BB6_4 Depth=1
	s_or_b32 exec_lo, exec_lo, s15
	s_and_b32 s15, s16, exec_lo
.LBB6_14:                               ;   in Loop: Header=BB6_4 Depth=1
	s_or_b32 exec_lo, exec_lo, s14
	s_and_b32 s14, s15, exec_lo
.LBB6_15:                               ;   in Loop: Header=BB6_4 Depth=1
	s_or_b32 exec_lo, exec_lo, s12
	s_and_b32 s12, s14, exec_lo
.LBB6_16:                               ;   in Loop: Header=BB6_4 Depth=1
	s_or_b32 exec_lo, exec_lo, s9
	s_and_b32 s9, s12, exec_lo
.LBB6_17:                               ;   in Loop: Header=BB6_4 Depth=1
	s_or_b32 exec_lo, exec_lo, s8
	v_cndmask_b32_e64 v1, 0, 1, s9
	s_mov_b32 s12, exec_lo
	v_cmp_ne_u32_e32 vcc_lo, 0, v1
	s_and_saveexec_b32 s8, s0
	s_cbranch_execz .LBB6_3
; %bb.18:                               ;   in Loop: Header=BB6_4 Depth=1
	s_cmp_eq_u32 vcc_lo, s12
	s_cselect_b32 s9, -1, 0
	v_cndmask_b32_e64 v1, 0, 1, s9
	ds_write_b32 v5, v1
	s_branch .LBB6_3
.LBB6_19:                               ;   in Loop: Header=BB6_4 Depth=1
	s_cbranch_execz .LBB6_4
.LBB6_20:
	s_mov_b32 s0, exec_lo
	v_cmpx_eq_u32_e32 0, v0
	s_cbranch_execz .LBB6_22
; %bb.21:
	s_mul_i32 s0, s1, s7
	v_mov_b32_e32 v0, 0
	s_add_i32 s0, s0, s6
	v_mov_b32_e32 v1, s2
	s_ashr_i32 s1, s0, 31
	s_lshl_b64 s[0:1], s[0:1], 2
	s_add_u32 s0, s10, s0
	s_addc_u32 s1, s11, s1
	global_store_dword v0, v1, s[0:1]
.LBB6_22:
	s_endpgm
	.section	.rodata,"a",@progbits
	.p2align	6, 0x0
	.amdhsa_kernel _ZL25flash_attn_mask_to_KV_maxILi4EEvPK7__half2Piiii
		.amdhsa_group_segment_fixed_size 128
		.amdhsa_private_segment_fixed_size 0
		.amdhsa_kernarg_size 288
		.amdhsa_user_sgpr_count 6
		.amdhsa_user_sgpr_private_segment_buffer 1
		.amdhsa_user_sgpr_dispatch_ptr 0
		.amdhsa_user_sgpr_queue_ptr 0
		.amdhsa_user_sgpr_kernarg_segment_ptr 1
		.amdhsa_user_sgpr_dispatch_id 0
		.amdhsa_user_sgpr_flat_scratch_init 0
		.amdhsa_user_sgpr_private_segment_size 0
		.amdhsa_wavefront_size32 1
		.amdhsa_uses_dynamic_stack 0
		.amdhsa_system_sgpr_private_segment_wavefront_offset 0
		.amdhsa_system_sgpr_workgroup_id_x 1
		.amdhsa_system_sgpr_workgroup_id_y 1
		.amdhsa_system_sgpr_workgroup_id_z 0
		.amdhsa_system_sgpr_workgroup_info 0
		.amdhsa_system_vgpr_workitem_id 0
		.amdhsa_next_free_vgpr 10
		.amdhsa_next_free_sgpr 19
		.amdhsa_reserve_vcc 1
		.amdhsa_reserve_flat_scratch 0
		.amdhsa_float_round_mode_32 0
		.amdhsa_float_round_mode_16_64 0
		.amdhsa_float_denorm_mode_32 3
		.amdhsa_float_denorm_mode_16_64 3
		.amdhsa_dx10_clamp 1
		.amdhsa_ieee_mode 1
		.amdhsa_fp16_overflow 0
		.amdhsa_workgroup_processor_mode 1
		.amdhsa_memory_ordered 1
		.amdhsa_forward_progress 1
		.amdhsa_shared_vgpr_count 0
		.amdhsa_exception_fp_ieee_invalid_op 0
		.amdhsa_exception_fp_denorm_src 0
		.amdhsa_exception_fp_ieee_div_zero 0
		.amdhsa_exception_fp_ieee_overflow 0
		.amdhsa_exception_fp_ieee_underflow 0
		.amdhsa_exception_fp_ieee_inexact 0
		.amdhsa_exception_int_div_zero 0
	.end_amdhsa_kernel
	.section	.text._ZL25flash_attn_mask_to_KV_maxILi4EEvPK7__half2Piiii,"axG",@progbits,_ZL25flash_attn_mask_to_KV_maxILi4EEvPK7__half2Piiii,comdat
.Lfunc_end6:
	.size	_ZL25flash_attn_mask_to_KV_maxILi4EEvPK7__half2Piiii, .Lfunc_end6-_ZL25flash_attn_mask_to_KV_maxILi4EEvPK7__half2Piiii
                                        ; -- End function
	.set _ZL25flash_attn_mask_to_KV_maxILi4EEvPK7__half2Piiii.num_vgpr, 10
	.set _ZL25flash_attn_mask_to_KV_maxILi4EEvPK7__half2Piiii.num_agpr, 0
	.set _ZL25flash_attn_mask_to_KV_maxILi4EEvPK7__half2Piiii.numbered_sgpr, 19
	.set _ZL25flash_attn_mask_to_KV_maxILi4EEvPK7__half2Piiii.num_named_barrier, 0
	.set _ZL25flash_attn_mask_to_KV_maxILi4EEvPK7__half2Piiii.private_seg_size, 0
	.set _ZL25flash_attn_mask_to_KV_maxILi4EEvPK7__half2Piiii.uses_vcc, 1
	.set _ZL25flash_attn_mask_to_KV_maxILi4EEvPK7__half2Piiii.uses_flat_scratch, 0
	.set _ZL25flash_attn_mask_to_KV_maxILi4EEvPK7__half2Piiii.has_dyn_sized_stack, 0
	.set _ZL25flash_attn_mask_to_KV_maxILi4EEvPK7__half2Piiii.has_recursion, 0
	.set _ZL25flash_attn_mask_to_KV_maxILi4EEvPK7__half2Piiii.has_indirect_call, 0
	.section	.AMDGPU.csdata,"",@progbits
; Kernel info:
; codeLenInByte = 708
; TotalNumSgprs: 21
; NumVgprs: 10
; ScratchSize: 0
; MemoryBound: 0
; FloatMode: 240
; IeeeMode: 1
; LDSByteSize: 128 bytes/workgroup (compile time only)
; SGPRBlocks: 0
; VGPRBlocks: 1
; NumSGPRsForWavesPerEU: 21
; NumVGPRsForWavesPerEU: 10
; Occupancy: 16
; WaveLimiterHint : 0
; COMPUTE_PGM_RSRC2:SCRATCH_EN: 0
; COMPUTE_PGM_RSRC2:USER_SGPR: 6
; COMPUTE_PGM_RSRC2:TRAP_HANDLER: 0
; COMPUTE_PGM_RSRC2:TGID_X_EN: 1
; COMPUTE_PGM_RSRC2:TGID_Y_EN: 1
; COMPUTE_PGM_RSRC2:TGID_Z_EN: 0
; COMPUTE_PGM_RSRC2:TIDIG_COMP_CNT: 0
	.section	.text._ZL33flash_attn_stream_k_fixup_uniformILi64ELi4ELi8EEvPfPK15HIP_vector_typeIfLj2EEiiiiiiS1_IjLj3EES5_S5_,"axG",@progbits,_ZL33flash_attn_stream_k_fixup_uniformILi64ELi4ELi8EEvPfPK15HIP_vector_typeIfLj2EEiiiiiiS1_IjLj3EES5_S5_,comdat
	.globl	_ZL33flash_attn_stream_k_fixup_uniformILi64ELi4ELi8EEvPfPK15HIP_vector_typeIfLj2EEiiiiiiS1_IjLj3EES5_S5_ ; -- Begin function _ZL33flash_attn_stream_k_fixup_uniformILi64ELi4ELi8EEvPfPK15HIP_vector_typeIfLj2EEiiiiiiS1_IjLj3EES5_S5_
	.p2align	8
	.type	_ZL33flash_attn_stream_k_fixup_uniformILi64ELi4ELi8EEvPfPK15HIP_vector_typeIfLj2EEiiiiiiS1_IjLj3EES5_S5_,@function
_ZL33flash_attn_stream_k_fixup_uniformILi64ELi4ELi8EEvPfPK15HIP_vector_typeIfLj2EEiiiiiiS1_IjLj3EES5_S5_: ; @_ZL33flash_attn_stream_k_fixup_uniformILi64ELi4ELi8EEvPfPK15HIP_vector_typeIfLj2EEiiiiiiS1_IjLj3EES5_S5_
; %bb.0:
	s_clause 0x2
	s_load_dwordx8 s[12:19], s[4:5], 0x1c
	s_load_dwordx4 s[20:23], s[4:5], 0x3c
	s_load_dwordx2 s[10:11], s[4:5], 0x10
	s_waitcnt lgkmcnt(0)
	s_mul_hi_u32 s0, s15, s6
	s_add_i32 s0, s6, s0
	s_lshr_b32 s0, s0, s16
	s_mul_i32 s1, s0, s17
	s_sub_i32 s2, s6, s1
	s_mul_hi_u32 s1, s2, s18
	s_add_i32 s1, s2, s1
	s_lshr_b32 s1, s1, s19
	s_mul_i32 s3, s1, s20
	s_sub_i32 s2, s2, s3
	s_mul_hi_u32 s3, s2, s21
	s_add_i32 s3, s2, s3
	s_lshr_b32 s3, s3, s22
	s_mul_i32 s9, s3, s23
	s_lshl_b32 s15, s3, 3
	s_sub_i32 s9, s2, s9
	s_lshl_b32 s2, s9, 2
	s_add_i32 s2, s2, s7
	s_cmp_lt_i32 s2, s10
	s_cselect_b32 s2, -1, 0
	s_add_i32 s3, s15, s8
	s_cmp_lt_i32 s3, s13
	s_cselect_b32 s3, -1, 0
	s_and_b32 s2, s2, s3
	s_andn2_b32 vcc_lo, exec_lo, s2
	s_cbranch_vccnz .LBB7_6
; %bb.1:
	s_mul_i32 s0, s0, s10
	s_mul_i32 s10, s1, s13
	s_add_i32 s0, s0, s7
	s_mul_i32 s0, s0, s11
	s_add_i32 s13, s0, s8
	s_load_dwordx4 s[0:3], s[4:5], 0x0
	s_add_i32 s4, s13, s10
	s_mul_i32 s5, s11, s9
	s_add_i32 s4, s4, s15
	s_lshl_b32 s5, s5, 8
	s_lshl_b32 s4, s4, 6
	;; [unrolled: 1-line block ×3, first 2 shown]
	s_add_i32 s5, s5, s4
	s_mul_i32 s4, s14, s6
	v_or_b32_e32 v1, s5, v0
	s_add_i32 s11, s4, s14
	v_ashrrev_i32_e32 v2, 31, v1
	v_lshlrev_b64 v[1:2], 2, v[1:2]
	s_waitcnt lgkmcnt(0)
	v_add_co_u32 v1, vcc_lo, s0, v1
	v_add_co_ci_u32_e64 v2, null, s1, v2, vcc_lo
	s_add_i32 s0, s10, s8
	s_lshl_b32 s1, s11, 5
	s_add_i32 s0, s0, s1
	global_load_dword v5, v[1:2], off
	s_sub_i32 s0, s0, 32
	s_ashr_i32 s1, s0, 31
	s_lshl_b64 s[0:1], s[0:1], 3
	s_add_u32 s0, s2, s0
	s_addc_u32 s1, s3, s1
	s_add_i32 s5, s11, -2
	s_load_dword s13, s[0:1], 0x4
	s_cmp_lt_i32 s5, s4
	s_cbranch_scc1 .LBB7_4
; %bb.2:
	s_lshl_b32 s16, s12, 7
	s_load_dword s15, s[0:1], 0x0
	s_ashr_i32 s17, s16, 31
	s_waitcnt lgkmcnt(0)
	v_mov_b32_e32 v6, s13
	s_lshl_b64 s[0:1], s[16:17], 2
	s_add_u32 s5, s2, s0
	s_addc_u32 s9, s3, s1
	s_add_i32 s6, s6, 1
	s_lshl_b32 s0, s7, 9
	s_lshl_b32 s1, s8, 6
	s_mul_i32 s6, s14, s6
	s_add_i32 s0, s1, s0
	s_lshl_b32 s1, s6, 11
	s_add_i32 s0, s0, s1
	s_lshl_b32 s1, s6, 5
	v_or_b32_e32 v0, s0, v0
	s_lshl_b32 s0, s12, 5
	s_add_i32 s1, s8, s1
	s_add_i32 s6, s11, -1
	s_add_i32 s0, s1, s0
	v_add_nc_u32_e32 v3, 0xfffff000, v0
	v_mov_b32_e32 v0, s15
	s_add_i32 s0, s0, s10
	s_sub_i32 s0, s0, 64
.LBB7_3:                                ; =>This Inner Loop Header: Depth=1
	v_ashrrev_i32_e32 v4, 31, v3
	s_ashr_i32 s1, s0, 31
	s_lshl_b64 s[10:11], s[0:1], 3
	s_add_u32 s10, s2, s10
	v_lshlrev_b64 v[7:8], 2, v[3:4]
	s_addc_u32 s11, s3, s11
	v_add_nc_u32_e32 v3, 0xfffff800, v3
	s_add_i32 s6, s6, -1
	s_sub_i32 s0, s0, 32
	s_cmp_le_i32 s6, s4
	v_add_co_u32 v7, vcc_lo, s5, v7
	v_add_co_ci_u32_e64 v8, null, s9, v8, vcc_lo
	s_load_dwordx2 s[10:11], s[10:11], 0x0
	global_load_dword v4, v[7:8], off
	v_max_f32_e32 v7, v0, v0
	s_waitcnt lgkmcnt(0)
	v_max_f32_e64 v8, s10, s10
	v_max_f32_e32 v7, v7, v8
	v_sub_f32_e32 v8, s10, v7
	v_sub_f32_e32 v0, v0, v7
	v_mul_f32_e32 v9, 0x3fb8aa3b, v8
	v_mul_f32_e32 v12, 0x3fb8aa3b, v0
	v_cmp_ngt_f32_e32 vcc_lo, 0xc2ce8ed0, v8
	v_fma_f32 v10, 0x3fb8aa3b, v8, -v9
	v_rndne_f32_e32 v11, v9
	v_fma_f32 v13, 0x3fb8aa3b, v0, -v12
	v_rndne_f32_e32 v14, v12
	v_fmac_f32_e32 v10, 0x32a5705f, v8
	v_sub_f32_e32 v9, v9, v11
	v_fmac_f32_e32 v13, 0x32a5705f, v0
	v_cvt_i32_f32_e32 v11, v11
	v_add_f32_e32 v9, v9, v10
	v_sub_f32_e32 v10, v12, v14
	v_exp_f32_e32 v9, v9
	v_add_f32_e32 v10, v10, v13
	v_exp_f32_e32 v10, v10
	v_ldexp_f32 v9, v9, v11
	v_cvt_i32_f32_e32 v11, v14
	v_cndmask_b32_e32 v9, 0, v9, vcc_lo
	v_cmp_nlt_f32_e32 vcc_lo, 0x42b17218, v8
	v_ldexp_f32 v10, v10, v11
	v_mov_b32_e32 v11, v6
	v_cndmask_b32_e32 v9, 0x7f800000, v9, vcc_lo
	v_cmp_ngt_f32_e32 vcc_lo, 0xc2ce8ed0, v0
	v_cndmask_b32_e32 v10, 0, v10, vcc_lo
	v_cmp_le_f32_e32 vcc_lo, 0xc1a00000, v8
	v_cndmask_b32_e32 v8, 0, v9, vcc_lo
	v_cmp_nlt_f32_e32 vcc_lo, 0x42b17218, v0
	s_waitcnt vmcnt(1)
	v_mov_b32_e32 v9, v5
	v_cndmask_b32_e32 v5, 0x7f800000, v10, vcc_lo
	v_mul_f32_e32 v10, s11, v8
	v_cmp_le_f32_e32 vcc_lo, 0xc1a00000, v0
	v_mov_b32_e32 v0, v7
	v_mov_b32_e32 v6, v10
	v_cndmask_b32_e32 v12, 0, v5, vcc_lo
	v_fmac_f32_e32 v6, v11, v12
	s_waitcnt vmcnt(0)
	v_mul_f32_e32 v5, v4, v8
	v_fmac_f32_e32 v5, v9, v12
	s_cbranch_scc0 .LBB7_3
	s_branch .LBB7_5
.LBB7_4:
	s_waitcnt lgkmcnt(0)
	v_mov_b32_e32 v6, s13
.LBB7_5:
	s_waitcnt vmcnt(0)
	v_div_scale_f32 v0, null, v6, v6, v5
	v_rcp_f32_e32 v3, v0
	v_fma_f32 v4, -v0, v3, 1.0
	v_fmac_f32_e32 v3, v4, v3
	v_div_scale_f32 v4, vcc_lo, v5, v6, v5
	v_mul_f32_e32 v7, v4, v3
	v_fma_f32 v8, -v0, v7, v4
	v_fmac_f32_e32 v7, v8, v3
	v_fma_f32 v0, -v0, v7, v4
	v_div_fmas_f32 v0, v0, v3, v7
	v_div_fixup_f32 v0, v0, v6, v5
	global_store_dword v[1:2], v0, off
.LBB7_6:
	s_endpgm
	.section	.rodata,"a",@progbits
	.p2align	6, 0x0
	.amdhsa_kernel _ZL33flash_attn_stream_k_fixup_uniformILi64ELi4ELi8EEvPfPK15HIP_vector_typeIfLj2EEiiiiiiS1_IjLj3EES5_S5_
		.amdhsa_group_segment_fixed_size 0
		.amdhsa_private_segment_fixed_size 0
		.amdhsa_kernarg_size 76
		.amdhsa_user_sgpr_count 6
		.amdhsa_user_sgpr_private_segment_buffer 1
		.amdhsa_user_sgpr_dispatch_ptr 0
		.amdhsa_user_sgpr_queue_ptr 0
		.amdhsa_user_sgpr_kernarg_segment_ptr 1
		.amdhsa_user_sgpr_dispatch_id 0
		.amdhsa_user_sgpr_flat_scratch_init 0
		.amdhsa_user_sgpr_private_segment_size 0
		.amdhsa_wavefront_size32 1
		.amdhsa_uses_dynamic_stack 0
		.amdhsa_system_sgpr_private_segment_wavefront_offset 0
		.amdhsa_system_sgpr_workgroup_id_x 1
		.amdhsa_system_sgpr_workgroup_id_y 1
		.amdhsa_system_sgpr_workgroup_id_z 1
		.amdhsa_system_sgpr_workgroup_info 0
		.amdhsa_system_vgpr_workitem_id 0
		.amdhsa_next_free_vgpr 15
		.amdhsa_next_free_sgpr 24
		.amdhsa_reserve_vcc 1
		.amdhsa_reserve_flat_scratch 0
		.amdhsa_float_round_mode_32 0
		.amdhsa_float_round_mode_16_64 0
		.amdhsa_float_denorm_mode_32 3
		.amdhsa_float_denorm_mode_16_64 3
		.amdhsa_dx10_clamp 1
		.amdhsa_ieee_mode 1
		.amdhsa_fp16_overflow 0
		.amdhsa_workgroup_processor_mode 1
		.amdhsa_memory_ordered 1
		.amdhsa_forward_progress 1
		.amdhsa_shared_vgpr_count 0
		.amdhsa_exception_fp_ieee_invalid_op 0
		.amdhsa_exception_fp_denorm_src 0
		.amdhsa_exception_fp_ieee_div_zero 0
		.amdhsa_exception_fp_ieee_overflow 0
		.amdhsa_exception_fp_ieee_underflow 0
		.amdhsa_exception_fp_ieee_inexact 0
		.amdhsa_exception_int_div_zero 0
	.end_amdhsa_kernel
	.section	.text._ZL33flash_attn_stream_k_fixup_uniformILi64ELi4ELi8EEvPfPK15HIP_vector_typeIfLj2EEiiiiiiS1_IjLj3EES5_S5_,"axG",@progbits,_ZL33flash_attn_stream_k_fixup_uniformILi64ELi4ELi8EEvPfPK15HIP_vector_typeIfLj2EEiiiiiiS1_IjLj3EES5_S5_,comdat
.Lfunc_end7:
	.size	_ZL33flash_attn_stream_k_fixup_uniformILi64ELi4ELi8EEvPfPK15HIP_vector_typeIfLj2EEiiiiiiS1_IjLj3EES5_S5_, .Lfunc_end7-_ZL33flash_attn_stream_k_fixup_uniformILi64ELi4ELi8EEvPfPK15HIP_vector_typeIfLj2EEiiiiiiS1_IjLj3EES5_S5_
                                        ; -- End function
	.set _ZL33flash_attn_stream_k_fixup_uniformILi64ELi4ELi8EEvPfPK15HIP_vector_typeIfLj2EEiiiiiiS1_IjLj3EES5_S5_.num_vgpr, 15
	.set _ZL33flash_attn_stream_k_fixup_uniformILi64ELi4ELi8EEvPfPK15HIP_vector_typeIfLj2EEiiiiiiS1_IjLj3EES5_S5_.num_agpr, 0
	.set _ZL33flash_attn_stream_k_fixup_uniformILi64ELi4ELi8EEvPfPK15HIP_vector_typeIfLj2EEiiiiiiS1_IjLj3EES5_S5_.numbered_sgpr, 24
	.set _ZL33flash_attn_stream_k_fixup_uniformILi64ELi4ELi8EEvPfPK15HIP_vector_typeIfLj2EEiiiiiiS1_IjLj3EES5_S5_.num_named_barrier, 0
	.set _ZL33flash_attn_stream_k_fixup_uniformILi64ELi4ELi8EEvPfPK15HIP_vector_typeIfLj2EEiiiiiiS1_IjLj3EES5_S5_.private_seg_size, 0
	.set _ZL33flash_attn_stream_k_fixup_uniformILi64ELi4ELi8EEvPfPK15HIP_vector_typeIfLj2EEiiiiiiS1_IjLj3EES5_S5_.uses_vcc, 1
	.set _ZL33flash_attn_stream_k_fixup_uniformILi64ELi4ELi8EEvPfPK15HIP_vector_typeIfLj2EEiiiiiiS1_IjLj3EES5_S5_.uses_flat_scratch, 0
	.set _ZL33flash_attn_stream_k_fixup_uniformILi64ELi4ELi8EEvPfPK15HIP_vector_typeIfLj2EEiiiiiiS1_IjLj3EES5_S5_.has_dyn_sized_stack, 0
	.set _ZL33flash_attn_stream_k_fixup_uniformILi64ELi4ELi8EEvPfPK15HIP_vector_typeIfLj2EEiiiiiiS1_IjLj3EES5_S5_.has_recursion, 0
	.set _ZL33flash_attn_stream_k_fixup_uniformILi64ELi4ELi8EEvPfPK15HIP_vector_typeIfLj2EEiiiiiiS1_IjLj3EES5_S5_.has_indirect_call, 0
	.section	.AMDGPU.csdata,"",@progbits
; Kernel info:
; codeLenInByte = 848
; TotalNumSgprs: 26
; NumVgprs: 15
; ScratchSize: 0
; MemoryBound: 0
; FloatMode: 240
; IeeeMode: 1
; LDSByteSize: 0 bytes/workgroup (compile time only)
; SGPRBlocks: 0
; VGPRBlocks: 1
; NumSGPRsForWavesPerEU: 26
; NumVGPRsForWavesPerEU: 15
; Occupancy: 16
; WaveLimiterHint : 0
; COMPUTE_PGM_RSRC2:SCRATCH_EN: 0
; COMPUTE_PGM_RSRC2:USER_SGPR: 6
; COMPUTE_PGM_RSRC2:TRAP_HANDLER: 0
; COMPUTE_PGM_RSRC2:TGID_X_EN: 1
; COMPUTE_PGM_RSRC2:TGID_Y_EN: 1
; COMPUTE_PGM_RSRC2:TGID_Z_EN: 1
; COMPUTE_PGM_RSRC2:TIDIG_COMP_CNT: 0
	.section	.text._ZL33flash_attn_stream_k_fixup_generalILi64ELi4ELi8EEvPfPK15HIP_vector_typeIfLj2EEiiiiS1_IjLj3EES5_S5_S5_,"axG",@progbits,_ZL33flash_attn_stream_k_fixup_generalILi64ELi4ELi8EEvPfPK15HIP_vector_typeIfLj2EEiiiiS1_IjLj3EES5_S5_S5_,comdat
	.globl	_ZL33flash_attn_stream_k_fixup_generalILi64ELi4ELi8EEvPfPK15HIP_vector_typeIfLj2EEiiiiS1_IjLj3EES5_S5_S5_ ; -- Begin function _ZL33flash_attn_stream_k_fixup_generalILi64ELi4ELi8EEvPfPK15HIP_vector_typeIfLj2EEiiiiS1_IjLj3EES5_S5_S5_
	.p2align	8
	.type	_ZL33flash_attn_stream_k_fixup_generalILi64ELi4ELi8EEvPfPK15HIP_vector_typeIfLj2EEiiiiS1_IjLj3EES5_S5_S5_,@function
_ZL33flash_attn_stream_k_fixup_generalILi64ELi4ELi8EEvPfPK15HIP_vector_typeIfLj2EEiiiiS1_IjLj3EES5_S5_S5_: ; @_ZL33flash_attn_stream_k_fixup_generalILi64ELi4ELi8EEvPfPK15HIP_vector_typeIfLj2EEiiiiS1_IjLj3EES5_S5_S5_
; %bb.0:
	s_clause 0x1
	s_load_dwordx4 s[0:3], s[4:5], 0x10
	s_load_dword s9, s[4:5], 0x50
	s_mov_b32 s16, 0
	s_waitcnt lgkmcnt(0)
	s_mul_hi_i32 s17, s3, s6
	s_mul_i32 s18, s3, s6
	s_cmp_lg_u64 s[16:17], 0
	s_cbranch_scc0 .LBB8_21
; %bb.1:
	s_add_u32 s10, s9, 0
	s_addc_u32 s11, 0, 0
	s_xor_b64 s[10:11], s[10:11], 0
	v_cvt_f32_u32_e32 v1, s10
	v_cvt_f32_u32_e32 v2, s11
	s_sub_u32 s14, 0, s10
	s_subb_u32 s15, 0, s11
	v_fmamk_f32 v1, v2, 0x4f800000, v1
	v_rcp_f32_e32 v1, v1
	v_mul_f32_e32 v1, 0x5f7ffffc, v1
	v_mul_f32_e32 v2, 0x2f800000, v1
	v_trunc_f32_e32 v2, v2
	v_fmamk_f32 v1, v2, 0xcf800000, v1
	v_cvt_u32_f32_e32 v2, v2
	v_cvt_u32_f32_e32 v1, v1
	v_readfirstlane_b32 s12, v2
	v_readfirstlane_b32 s13, v1
	s_mul_i32 s19, s14, s12
	s_mul_hi_u32 s21, s14, s13
	s_mul_i32 s20, s15, s13
	s_add_i32 s19, s21, s19
	s_mul_i32 s22, s14, s13
	s_add_i32 s19, s19, s20
	s_mul_hi_u32 s21, s13, s22
	s_mul_i32 s24, s13, s19
	s_mul_hi_u32 s23, s12, s22
	s_mul_i32 s20, s12, s22
	s_mul_hi_u32 s22, s13, s19
	s_add_u32 s21, s21, s24
	s_addc_u32 s22, 0, s22
	s_mul_hi_u32 s25, s12, s19
	s_add_u32 s20, s21, s20
	s_mul_i32 s19, s12, s19
	s_addc_u32 s20, s22, s23
	s_addc_u32 s21, s25, 0
	s_add_u32 s19, s20, s19
	s_addc_u32 s20, 0, s21
	s_add_u32 s13, s13, s19
	s_cselect_b32 s19, -1, 0
	s_mul_hi_u32 s21, s14, s13
	s_cmp_lg_u32 s19, 0
	s_mul_i32 s19, s14, s13
	s_addc_u32 s12, s12, s20
	s_mul_i32 s15, s15, s13
	s_mul_i32 s14, s14, s12
	s_mul_hi_u32 s20, s13, s19
	s_add_i32 s14, s21, s14
	s_mul_hi_u32 s21, s12, s19
	s_add_i32 s14, s14, s15
	s_mul_i32 s15, s12, s19
	s_mul_i32 s23, s13, s14
	s_mul_hi_u32 s22, s13, s14
	s_add_u32 s20, s20, s23
	s_addc_u32 s22, 0, s22
	s_mul_hi_u32 s19, s12, s14
	s_add_u32 s15, s20, s15
	s_mul_i32 s14, s12, s14
	s_addc_u32 s15, s22, s21
	s_addc_u32 s19, s19, 0
	s_add_u32 s14, s15, s14
	s_addc_u32 s15, 0, s19
	s_add_u32 s19, s13, s14
	s_cselect_b32 s13, -1, 0
	s_cmp_lg_u32 s13, 0
	s_addc_u32 s20, s12, s15
	s_ashr_i32 s12, s17, 31
	s_add_u32 s14, s18, s12
	s_mov_b32 s13, s12
	s_addc_u32 s15, s17, s12
	s_xor_b64 s[14:15], s[14:15], s[12:13]
	s_mul_i32 s21, s14, s20
	s_mul_hi_u32 s22, s14, s19
	s_mul_hi_u32 s17, s14, s20
	;; [unrolled: 1-line block ×3, first 2 shown]
	s_mul_i32 s19, s15, s19
	s_add_u32 s21, s22, s21
	s_addc_u32 s17, 0, s17
	s_mul_hi_u32 s23, s15, s20
	s_add_u32 s19, s21, s19
	s_mul_i32 s20, s15, s20
	s_addc_u32 s17, s17, s24
	s_addc_u32 s19, s23, 0
	s_add_u32 s17, s17, s20
	s_addc_u32 s19, 0, s19
	s_mul_hi_u32 s20, s10, s17
	s_mul_i32 s21, s10, s19
	s_mul_i32 s22, s11, s17
	s_add_i32 s20, s20, s21
	s_mul_i32 s21, s10, s17
	s_add_i32 s20, s20, s22
	s_sub_i32 s22, s15, s20
	s_sub_u32 s14, s14, s21
	s_cselect_b32 s21, -1, 0
	s_cmp_lg_u32 s21, 0
	s_subb_u32 s22, s22, s11
	s_sub_u32 s23, s14, s10
	s_cselect_b32 s24, -1, 0
	s_cmp_lg_u32 s24, 0
	s_subb_u32 s22, s22, 0
	s_cmp_ge_u32 s22, s11
	s_cselect_b32 s24, -1, 0
	s_cmp_ge_u32 s23, s10
	s_cselect_b32 s23, -1, 0
	s_cmp_eq_u32 s22, s11
	s_cselect_b32 s22, s23, s24
	s_add_u32 s23, s17, 1
	s_addc_u32 s24, s19, 0
	s_add_u32 s25, s17, 2
	s_addc_u32 s26, s19, 0
	s_cmp_lg_u32 s22, 0
	s_cselect_b32 s22, s25, s23
	s_cselect_b32 s23, s26, s24
	s_cmp_lg_u32 s21, 0
	s_subb_u32 s15, s15, s20
	s_cmp_ge_u32 s15, s11
	s_cselect_b32 s20, -1, 0
	s_cmp_ge_u32 s14, s10
	s_cselect_b32 s10, -1, 0
	s_cmp_eq_u32 s15, s11
	s_cselect_b32 s10, s10, s20
	s_cmp_lg_u32 s10, 0
	s_cselect_b32 s11, s23, s19
	s_cselect_b32 s10, s22, s17
	s_xor_b64 s[12:13], s[12:13], 0
	s_xor_b64 s[10:11], s[10:11], s[12:13]
	s_sub_u32 s10, s10, s12
	s_load_dwordx4 s[12:15], s[4:5], 0x44
	s_andn2_b32 vcc_lo, exec_lo, s16
	s_cbranch_vccnz .LBB8_3
.LBB8_2:
	v_cvt_f32_u32_e32 v1, s9
	s_sub_i32 s11, 0, s9
	v_rcp_iflag_f32_e32 v1, v1
	v_mul_f32_e32 v1, 0x4f7ffffe, v1
	v_cvt_u32_f32_e32 v1, v1
	v_readfirstlane_b32 s10, v1
	s_mul_i32 s11, s11, s10
	s_mul_hi_u32 s11, s10, s11
	s_add_i32 s10, s10, s11
	s_mul_hi_u32 s10, s18, s10
	s_mul_i32 s11, s10, s9
	s_waitcnt lgkmcnt(0)
	s_add_i32 s15, s10, 1
	s_sub_i32 s11, s18, s11
	s_sub_i32 s16, s11, s9
	s_cmp_ge_u32 s11, s9
	s_cselect_b32 s10, s15, s10
	s_cselect_b32 s11, s16, s11
	s_add_i32 s15, s10, 1
	s_cmp_ge_u32 s11, s9
	s_cselect_b32 s10, s15, s10
.LBB8_3:
	s_add_i32 s11, s6, 1
	s_mov_b32 s16, 0
	s_mul_hi_i32 s17, s3, s11
	s_mul_i32 s11, s3, s11
	s_cmp_lg_u64 s[16:17], 0
	s_cbranch_scc0 .LBB8_22
; %bb.4:
	s_add_u32 s18, s9, 0
	s_addc_u32 s19, 0, 0
	s_xor_b64 s[18:19], s[18:19], 0
	v_cvt_f32_u32_e32 v1, s18
	v_cvt_f32_u32_e32 v2, s19
	s_sub_u32 s21, 0, s18
	s_subb_u32 s22, 0, s19
	v_fmamk_f32 v1, v2, 0x4f800000, v1
	v_rcp_f32_e32 v1, v1
	v_mul_f32_e32 v1, 0x5f7ffffc, v1
	v_mul_f32_e32 v2, 0x2f800000, v1
	v_trunc_f32_e32 v2, v2
	v_fmamk_f32 v1, v2, 0xcf800000, v1
	v_cvt_u32_f32_e32 v2, v2
	v_cvt_u32_f32_e32 v1, v1
	s_waitcnt lgkmcnt(0)
	v_readfirstlane_b32 s15, v2
	v_readfirstlane_b32 s20, v1
	s_mul_i32 s23, s21, s15
	s_mul_hi_u32 s25, s21, s20
	s_mul_i32 s24, s22, s20
	s_add_i32 s23, s25, s23
	s_mul_i32 s26, s21, s20
	s_add_i32 s23, s23, s24
	s_mul_hi_u32 s25, s20, s26
	s_mul_i32 s28, s20, s23
	s_mul_hi_u32 s27, s15, s26
	s_mul_i32 s24, s15, s26
	s_mul_hi_u32 s26, s20, s23
	s_add_u32 s25, s25, s28
	s_addc_u32 s26, 0, s26
	s_mul_hi_u32 s29, s15, s23
	s_add_u32 s24, s25, s24
	s_mul_i32 s23, s15, s23
	s_addc_u32 s24, s26, s27
	s_addc_u32 s25, s29, 0
	s_add_u32 s23, s24, s23
	s_addc_u32 s24, 0, s25
	s_add_u32 s20, s20, s23
	s_cselect_b32 s23, -1, 0
	s_mul_hi_u32 s25, s21, s20
	s_cmp_lg_u32 s23, 0
	s_mul_i32 s23, s21, s20
	s_addc_u32 s15, s15, s24
	s_mul_i32 s22, s22, s20
	s_mul_i32 s21, s21, s15
	s_mul_hi_u32 s24, s20, s23
	s_add_i32 s21, s25, s21
	s_mul_hi_u32 s25, s15, s23
	s_add_i32 s21, s21, s22
	s_mul_i32 s22, s15, s23
	s_mul_i32 s27, s20, s21
	s_mul_hi_u32 s26, s20, s21
	s_add_u32 s24, s24, s27
	s_addc_u32 s26, 0, s26
	s_mul_hi_u32 s23, s15, s21
	s_add_u32 s22, s24, s22
	s_mul_i32 s21, s15, s21
	s_addc_u32 s22, s26, s25
	s_addc_u32 s23, s23, 0
	s_add_u32 s21, s22, s21
	s_addc_u32 s22, 0, s23
	s_add_u32 s24, s20, s21
	s_cselect_b32 s20, -1, 0
	s_cmp_lg_u32 s20, 0
	s_addc_u32 s15, s15, s22
	s_ashr_i32 s20, s17, 31
	s_add_u32 s22, s11, s20
	s_mov_b32 s21, s20
	s_addc_u32 s23, s17, s20
	s_xor_b64 s[22:23], s[22:23], s[20:21]
	s_mul_i32 s25, s22, s15
	s_mul_hi_u32 s26, s22, s24
	s_mul_hi_u32 s17, s22, s15
	;; [unrolled: 1-line block ×3, first 2 shown]
	s_mul_i32 s24, s23, s24
	s_add_u32 s25, s26, s25
	s_addc_u32 s17, 0, s17
	s_mul_hi_u32 s27, s23, s15
	s_add_u32 s24, s25, s24
	s_mul_i32 s15, s23, s15
	s_addc_u32 s17, s17, s28
	s_addc_u32 s24, s27, 0
	s_add_u32 s15, s17, s15
	s_addc_u32 s17, 0, s24
	s_mul_hi_u32 s24, s18, s15
	s_mul_i32 s25, s18, s17
	s_mul_i32 s26, s19, s15
	s_add_i32 s24, s24, s25
	s_mul_i32 s25, s18, s15
	s_add_i32 s24, s24, s26
	s_sub_i32 s26, s23, s24
	s_sub_u32 s22, s22, s25
	s_cselect_b32 s25, -1, 0
	s_cmp_lg_u32 s25, 0
	s_subb_u32 s26, s26, s19
	s_sub_u32 s27, s22, s18
	s_cselect_b32 s28, -1, 0
	s_cmp_lg_u32 s28, 0
	s_subb_u32 s26, s26, 0
	s_cmp_ge_u32 s26, s19
	s_cselect_b32 s28, -1, 0
	s_cmp_ge_u32 s27, s18
	s_cselect_b32 s27, -1, 0
	s_cmp_eq_u32 s26, s19
	s_cselect_b32 s26, s27, s28
	s_add_u32 s27, s15, 1
	s_addc_u32 s28, s17, 0
	s_add_u32 s29, s15, 2
	s_addc_u32 s30, s17, 0
	s_cmp_lg_u32 s26, 0
	s_cselect_b32 s26, s29, s27
	s_cselect_b32 s27, s30, s28
	s_cmp_lg_u32 s25, 0
	s_subb_u32 s23, s23, s24
	s_cmp_ge_u32 s23, s19
	s_cselect_b32 s24, -1, 0
	s_cmp_ge_u32 s22, s18
	s_cselect_b32 s18, -1, 0
	s_cmp_eq_u32 s23, s19
	s_cselect_b32 s18, s18, s24
	s_cmp_lg_u32 s18, 0
	s_cselect_b32 s19, s27, s17
	s_cselect_b32 s18, s26, s15
	s_xor_b64 s[20:21], s[20:21], 0
	s_xor_b64 s[18:19], s[18:19], s[20:21]
	s_sub_u32 s18, s18, s20
	s_andn2_b32 vcc_lo, exec_lo, s16
	s_cbranch_vccnz .LBB8_6
.LBB8_5:
	v_cvt_f32_u32_e32 v1, s9
	s_sub_i32 s16, 0, s9
	v_rcp_iflag_f32_e32 v1, v1
	v_mul_f32_e32 v1, 0x4f7ffffe, v1
	v_cvt_u32_f32_e32 v1, v1
	s_waitcnt lgkmcnt(0)
	v_readfirstlane_b32 s15, v1
	s_mul_i32 s16, s16, s15
	s_mul_hi_u32 s16, s15, s16
	s_add_i32 s15, s15, s16
	s_mul_hi_u32 s15, s11, s15
	s_mul_i32 s16, s15, s9
	s_sub_i32 s11, s11, s16
	s_add_i32 s16, s15, 1
	s_sub_i32 s17, s11, s9
	s_cmp_ge_u32 s11, s9
	s_cselect_b32 s15, s16, s15
	s_cselect_b32 s11, s17, s11
	s_add_i32 s16, s15, 1
	s_cmp_ge_u32 s11, s9
	s_cselect_b32 s18, s16, s15
.LBB8_6:
	s_cmp_eq_u32 s10, s18
	s_waitcnt lgkmcnt(0)
	s_mul_hi_u32 s11, s10, s12
	s_cselect_b32 s15, -1, 0
	s_add_i32 s11, s11, s10
	s_lshr_b32 s11, s11, s13
	s_mul_i32 s16, s11, s14
	s_cmp_eq_u32 s16, s10
	s_mul_hi_u32 s16, s18, s12
	s_cselect_b32 s17, -1, 0
	s_add_i32 s16, s16, s18
	s_lshr_b32 s16, s16, s13
	s_cmp_eq_u32 s11, s16
	s_mul_i32 s16, s16, s14
	s_cselect_b32 s19, -1, 0
	s_cmp_lg_u32 s16, s18
	s_cselect_b32 s16, -1, 0
	s_or_b32 s15, s15, s17
	s_and_b32 s16, s19, s16
	s_or_b32 s15, s15, s16
	s_and_b32 vcc_lo, exec_lo, s15
	s_cbranch_vccnz .LBB8_24
; %bb.7:
	s_clause 0x1
	s_load_dwordx8 s[20:27], s[4:5], 0x20
	s_load_dword s16, s[4:5], 0x40
	s_waitcnt lgkmcnt(0)
	s_mul_hi_u32 s15, s10, s20
	s_add_i32 s15, s15, s10
	s_lshr_b32 s15, s15, s21
	s_mul_i32 s17, s15, s22
	s_sub_i32 s17, s10, s17
	s_mul_hi_u32 s18, s17, s23
	s_add_i32 s18, s17, s18
	s_lshr_b32 s22, s18, s24
	s_mul_i32 s18, s22, s25
	s_sub_i32 s17, s17, s18
	s_mul_hi_u32 s18, s17, s26
	s_add_i32 s18, s17, s18
	s_lshr_b32 s18, s18, s27
	s_mul_i32 s16, s18, s16
	s_lshl_b32 s24, s18, 3
	s_sub_i32 s16, s17, s16
	s_mul_hi_u32 s17, s16, s12
	s_add_i32 s16, s16, s17
	s_lshr_b32 s23, s16, s13
	s_lshl_b32 s16, s23, 2
	s_add_i32 s16, s16, s7
	s_cmp_lt_i32 s16, s0
	s_cselect_b32 s16, -1, 0
	s_add_i32 s17, s24, s8
	s_cmp_lt_i32 s17, s2
	s_cselect_b32 s17, -1, 0
	s_and_b32 s16, s16, s17
	s_andn2_b32 vcc_lo, exec_lo, s16
	s_cbranch_vccnz .LBB8_24
; %bb.8:
	s_load_dwordx4 s[16:19], s[4:5], 0x0
	s_mov_b32 s4, 0
	s_lshl_b32 s20, s9, 7
	s_mov_b32 s21, s4
	s_lshl_b32 s5, s7, 3
	s_lshl_b64 s[20:21], s[20:21], 2
	s_mul_i32 s0, s15, s0
	s_add_i32 s15, s5, s8
	s_mul_i32 s22, s22, s2
	v_cvt_f32_u32_e32 v4, s9
	v_rcp_iflag_f32_e32 v4, v4
	s_waitcnt lgkmcnt(0)
	s_add_u32 s20, s18, s20
	s_addc_u32 s21, s19, s21
	s_add_i32 s0, s0, s7
	s_mul_i32 s0, s0, s1
	s_mul_i32 s1, s1, s23
	s_add_i32 s0, s0, s8
	s_lshl_b32 s1, s1, 8
	s_add_i32 s0, s0, s22
	v_mul_f32_e32 v4, 0x4f7ffffe, v4
	s_add_i32 s0, s0, s24
	s_lshl_b32 s0, s0, 6
	s_add_i32 s1, s1, s0
	s_lshl_b32 s0, s6, 5
	v_or_b32_e32 v1, s1, v0
	s_add_i32 s0, s15, s0
	v_lshl_or_b32 v0, s15, 6, v0
	s_ashr_i32 s1, s0, 31
	v_cvt_u32_f32_e32 v4, v4
	v_ashrrev_i32_e32 v2, 31, v1
	s_lshl_b64 s[0:1], s[0:1], 3
	s_add_u32 s0, s18, s0
	s_addc_u32 s1, s19, s1
	v_lshlrev_b64 v[1:2], 2, v[1:2]
	s_load_dwordx2 s[0:1], s[0:1], 0x0
	s_add_i32 s8, s6, -1
	s_sub_i32 s2, 0, s9
	v_add_co_u32 v1, vcc_lo, s16, v1
	v_add_co_ci_u32_e64 v2, null, s17, v2, vcc_lo
	global_load_dword v3, v[1:2], off
	s_waitcnt lgkmcnt(0)
	v_mov_b32_e32 v5, s1
	v_mov_b32_e32 v6, s0
.LBB8_9:                                ; =>This Inner Loop Header: Depth=1
	s_mul_hi_i32 s5, s8, s3
	s_mul_i32 s6, s8, s3
	s_cmp_lg_u64 s[4:5], 0
	s_mov_b32 s7, -1
                                        ; implicit-def: $sgpr0_sgpr1
	s_cbranch_scc0 .LBB8_11
; %bb.10:                               ;   in Loop: Header=BB8_9 Depth=1
	s_add_u32 s0, s9, 0
	s_addc_u32 s1, 0, 0
	s_xor_b64 s[0:1], s[0:1], 0
	v_cvt_f32_u32_e32 v7, s0
	v_cvt_f32_u32_e32 v8, s1
	s_sub_u32 s17, 0, s0
	s_subb_u32 s22, 0, s1
	v_fmac_f32_e32 v7, 0x4f800000, v8
	v_rcp_f32_e32 v7, v7
	v_mul_f32_e32 v7, 0x5f7ffffc, v7
	v_mul_f32_e32 v8, 0x2f800000, v7
	v_trunc_f32_e32 v8, v8
	v_fmac_f32_e32 v7, 0xcf800000, v8
	v_cvt_u32_f32_e32 v8, v8
	v_cvt_u32_f32_e32 v7, v7
	v_readfirstlane_b32 s7, v8
	v_readfirstlane_b32 s16, v7
	s_mul_i32 s23, s17, s7
	s_mul_hi_u32 s25, s17, s16
	s_mul_i32 s24, s22, s16
	s_add_i32 s23, s25, s23
	s_mul_i32 s26, s17, s16
	s_add_i32 s23, s23, s24
	s_mul_hi_u32 s25, s16, s26
	s_mul_i32 s28, s16, s23
	s_mul_hi_u32 s27, s7, s26
	s_mul_i32 s24, s7, s26
	s_mul_hi_u32 s26, s16, s23
	s_add_u32 s25, s25, s28
	s_addc_u32 s26, 0, s26
	s_mul_hi_u32 s29, s7, s23
	s_add_u32 s24, s25, s24
	s_mul_i32 s23, s7, s23
	s_addc_u32 s24, s26, s27
	s_addc_u32 s25, s29, 0
	s_add_u32 s23, s24, s23
	s_addc_u32 s24, 0, s25
	s_add_u32 s16, s16, s23
	s_cselect_b32 s23, -1, 0
	s_mul_hi_u32 s25, s17, s16
	s_cmp_lg_u32 s23, 0
	s_mul_i32 s23, s17, s16
	s_addc_u32 s7, s7, s24
	s_mul_i32 s22, s22, s16
	s_mul_i32 s17, s17, s7
	s_mul_hi_u32 s24, s16, s23
	s_add_i32 s17, s25, s17
	s_mul_hi_u32 s25, s7, s23
	s_add_i32 s17, s17, s22
	s_mul_i32 s22, s7, s23
	s_mul_i32 s27, s16, s17
	s_mul_hi_u32 s26, s16, s17
	s_add_u32 s24, s24, s27
	s_addc_u32 s26, 0, s26
	s_mul_hi_u32 s23, s7, s17
	s_add_u32 s22, s24, s22
	s_mul_i32 s17, s7, s17
	s_addc_u32 s22, s26, s25
	s_addc_u32 s23, s23, 0
	s_add_u32 s17, s22, s17
	s_addc_u32 s22, 0, s23
	s_add_u32 s24, s16, s17
	s_cselect_b32 s16, -1, 0
	s_cmp_lg_u32 s16, 0
	s_addc_u32 s7, s7, s22
	s_ashr_i32 s16, s5, 31
	s_add_u32 s22, s6, s16
	s_mov_b32 s17, s16
	s_addc_u32 s23, s5, s16
	s_xor_b64 s[22:23], s[22:23], s[16:17]
	s_mul_i32 s25, s22, s7
	s_mul_hi_u32 s26, s22, s24
	s_mul_hi_u32 s5, s22, s7
	;; [unrolled: 1-line block ×3, first 2 shown]
	s_mul_i32 s24, s23, s24
	s_add_u32 s25, s26, s25
	s_addc_u32 s5, 0, s5
	s_mul_hi_u32 s27, s23, s7
	s_add_u32 s24, s25, s24
	s_mul_i32 s7, s23, s7
	s_addc_u32 s5, s5, s28
	s_addc_u32 s24, s27, 0
	s_add_u32 s5, s5, s7
	s_addc_u32 s7, 0, s24
	s_mul_hi_u32 s24, s0, s5
	s_mul_i32 s25, s0, s7
	s_mul_i32 s26, s1, s5
	s_add_i32 s24, s24, s25
	s_mul_i32 s25, s0, s5
	s_add_i32 s24, s24, s26
	s_sub_i32 s26, s23, s24
	s_sub_u32 s22, s22, s25
	s_cselect_b32 s25, -1, 0
	s_cmp_lg_u32 s25, 0
	s_subb_u32 s26, s26, s1
	s_sub_u32 s27, s22, s0
	s_cselect_b32 s28, -1, 0
	s_cmp_lg_u32 s28, 0
	s_subb_u32 s26, s26, 0
	s_cmp_ge_u32 s26, s1
	s_cselect_b32 s28, -1, 0
	s_cmp_ge_u32 s27, s0
	s_cselect_b32 s27, -1, 0
	s_cmp_eq_u32 s26, s1
	s_cselect_b32 s26, s27, s28
	s_add_u32 s27, s5, 1
	s_addc_u32 s28, s7, 0
	s_add_u32 s29, s5, 2
	s_addc_u32 s30, s7, 0
	s_cmp_lg_u32 s26, 0
	s_cselect_b32 s26, s29, s27
	s_cselect_b32 s27, s30, s28
	s_cmp_lg_u32 s25, 0
	s_subb_u32 s23, s23, s24
	s_cmp_ge_u32 s23, s1
	s_cselect_b32 s24, -1, 0
	s_cmp_ge_u32 s22, s0
	s_cselect_b32 s0, -1, 0
	s_cmp_eq_u32 s23, s1
	s_cselect_b32 s0, s0, s24
	s_cmp_lg_u32 s0, 0
	s_cselect_b32 s1, s27, s7
	s_cselect_b32 s0, s26, s5
	s_xor_b64 s[16:17], s[16:17], 0
	s_mov_b32 s7, 0
	s_xor_b64 s[0:1], s[0:1], s[16:17]
	s_sub_u32 s0, s0, s16
.LBB8_11:                               ;   in Loop: Header=BB8_9 Depth=1
	s_andn2_b32 vcc_lo, exec_lo, s7
	s_cbranch_vccnz .LBB8_13
; %bb.12:                               ;   in Loop: Header=BB8_9 Depth=1
	v_readfirstlane_b32 s0, v4
	s_mul_i32 s1, s2, s0
	s_mul_hi_u32 s1, s0, s1
	s_add_i32 s0, s0, s1
	s_mul_hi_u32 s0, s6, s0
	s_mul_i32 s1, s0, s9
	s_add_i32 s5, s0, 1
	s_sub_i32 s1, s6, s1
	s_sub_i32 s6, s1, s9
	s_cmp_ge_u32 s1, s9
	s_cselect_b32 s0, s5, s0
	s_cselect_b32 s1, s6, s1
	s_add_i32 s5, s0, 1
	s_cmp_ge_u32 s1, s9
	s_cselect_b32 s0, s5, s0
.LBB8_13:                               ;   in Loop: Header=BB8_9 Depth=1
	s_cmp_lg_u32 s10, s0
	s_mov_b32 s6, -1
                                        ; implicit-def: $sgpr5
                                        ; implicit-def: $vgpr8
                                        ; implicit-def: $vgpr7
                                        ; implicit-def: $vgpr9
                                        ; implicit-def: $sgpr1
                                        ; implicit-def: $sgpr16
	s_cbranch_scc0 .LBB8_18
; %bb.14:                               ;   in Loop: Header=BB8_9 Depth=1
	s_add_i32 s1, s8, s9
	s_mov_b32 s7, s4
	s_lshl_b32 s1, s1, 5
	s_mov_b32 s16, s10
	s_add_i32 s6, s1, s15
	s_mul_hi_u32 s1, s0, s12
	s_lshl_b64 s[6:7], s[6:7], 3
	s_add_u32 s6, s18, s6
	s_addc_u32 s7, s19, s7
	s_add_i32 s1, s1, s0
	s_lshr_b32 s1, s1, s13
	s_mul_i32 s5, s1, s14
	s_cmp_eq_u32 s5, s0
	s_cselect_b32 s5, -1, 0
	s_cmp_lt_u32 s1, s11
	s_cselect_b32 s1, -1, 0
	s_or_b32 s1, s1, s5
	s_mov_b32 s5, -1
	s_and_b32 vcc_lo, exec_lo, s1
	s_mov_b32 s1, s8
	s_cbranch_vccnz .LBB8_16
; %bb.15:                               ;   in Loop: Header=BB8_9 Depth=1
	s_add_i32 s1, s8, -1
	s_mov_b32 s5, 0
	s_mov_b32 s16, s0
.LBB8_16:                               ;   in Loop: Header=BB8_9 Depth=1
	v_lshl_add_u32 v7, s8, 11, v0
	s_load_dwordx2 s[6:7], s[6:7], 0x0
	v_ashrrev_i32_e32 v8, 31, v7
	v_lshlrev_b64 v[7:8], 2, v[7:8]
	v_add_co_u32 v7, vcc_lo, s20, v7
	v_add_co_ci_u32_e64 v8, null, s21, v8, vcc_lo
	s_waitcnt lgkmcnt(0)
	v_max_f32_e64 v9, s6, s6
	global_load_dword v8, v[7:8], off
	v_max_f32_e32 v7, v6, v6
	v_max_f32_e32 v7, v7, v9
	v_sub_f32_e32 v9, s6, v7
	v_sub_f32_e32 v10, v6, v7
	v_mul_f32_e32 v11, 0x3fb8aa3b, v9
	v_mul_f32_e32 v12, 0x3fb8aa3b, v10
	v_cmp_ngt_f32_e32 vcc_lo, 0xc2ce8ed0, v9
	v_fma_f32 v13, 0x3fb8aa3b, v9, -v11
	v_rndne_f32_e32 v14, v11
	v_fma_f32 v15, 0x3fb8aa3b, v10, -v12
	v_rndne_f32_e32 v16, v12
	v_fmac_f32_e32 v13, 0x32a5705f, v9
	v_sub_f32_e32 v11, v11, v14
	v_fmac_f32_e32 v15, 0x32a5705f, v10
	v_sub_f32_e32 v12, v12, v16
	v_add_f32_e32 v11, v11, v13
	v_cvt_i32_f32_e32 v13, v14
	v_add_f32_e32 v12, v12, v15
	v_cvt_i32_f32_e32 v14, v16
	v_exp_f32_e32 v11, v11
	v_exp_f32_e32 v12, v12
	v_ldexp_f32 v11, v11, v13
	v_ldexp_f32 v12, v12, v14
	v_cndmask_b32_e32 v11, 0, v11, vcc_lo
	v_cmp_ngt_f32_e32 vcc_lo, 0xc2ce8ed0, v10
	v_cndmask_b32_e32 v12, 0, v12, vcc_lo
	v_cmp_nlt_f32_e32 vcc_lo, 0x42b17218, v9
	v_cndmask_b32_e32 v11, 0x7f800000, v11, vcc_lo
	v_cmp_nlt_f32_e32 vcc_lo, 0x42b17218, v10
	v_cndmask_b32_e32 v12, 0x7f800000, v12, vcc_lo
	v_cmp_le_f32_e32 vcc_lo, 0xc1a00000, v9
	v_cndmask_b32_e32 v9, 0, v11, vcc_lo
	v_cmp_le_f32_e32 vcc_lo, 0xc1a00000, v10
	v_cndmask_b32_e32 v10, 0, v12, vcc_lo
	s_waitcnt vmcnt(0)
	v_mul_f32_e32 v8, v8, v9
	v_mul_f32_e32 v9, s7, v9
	v_fmac_f32_e32 v8, v3, v10
	v_fmac_f32_e32 v9, v5, v10
	s_cbranch_execz .LBB8_19
.LBB8_17:                               ;   in Loop: Header=BB8_9 Depth=1
	s_andn2_b32 vcc_lo, exec_lo, s5
	s_cbranch_vccnz .LBB8_20
	s_branch .LBB8_23
.LBB8_18:                               ;   in Loop: Header=BB8_9 Depth=1
	s_andn2_b32 vcc_lo, exec_lo, s6
	s_cbranch_vccnz .LBB8_17
.LBB8_19:                               ;   in Loop: Header=BB8_9 Depth=1
	v_mov_b32_e32 v9, v5
	v_mov_b32_e32 v7, v6
	s_waitcnt vmcnt(0)
	v_mov_b32_e32 v8, v3
	s_add_i32 s1, s8, -1
	s_mov_b32 s16, s10
	s_cbranch_execz .LBB8_23
.LBB8_20:                               ;   in Loop: Header=BB8_9 Depth=1
	v_mov_b32_e32 v5, v9
	v_mov_b32_e32 v6, v7
	s_waitcnt vmcnt(0)
	v_mov_b32_e32 v3, v8
	s_mov_b32 s10, s16
	s_mov_b32 s8, s1
	s_branch .LBB8_9
.LBB8_21:
                                        ; implicit-def: $sgpr10_sgpr11
	s_load_dwordx4 s[12:15], s[4:5], 0x44
	s_branch .LBB8_2
.LBB8_22:
                                        ; implicit-def: $sgpr18_sgpr19
	s_branch .LBB8_5
.LBB8_23:
	v_div_scale_f32 v0, null, v9, v9, v8
	s_waitcnt vmcnt(0)
	v_rcp_f32_e32 v3, v0
	v_fma_f32 v4, -v0, v3, 1.0
	v_fmac_f32_e32 v3, v4, v3
	v_div_scale_f32 v4, vcc_lo, v8, v9, v8
	v_mul_f32_e32 v5, v4, v3
	v_fma_f32 v6, -v0, v5, v4
	v_fmac_f32_e32 v5, v6, v3
	v_fma_f32 v0, -v0, v5, v4
	v_div_fmas_f32 v0, v0, v3, v5
	v_div_fixup_f32 v0, v0, v9, v8
	global_store_dword v[1:2], v0, off
.LBB8_24:
	s_endpgm
	.section	.rodata,"a",@progbits
	.p2align	6, 0x0
	.amdhsa_kernel _ZL33flash_attn_stream_k_fixup_generalILi64ELi4ELi8EEvPfPK15HIP_vector_typeIfLj2EEiiiiS1_IjLj3EES5_S5_S5_
		.amdhsa_group_segment_fixed_size 0
		.amdhsa_private_segment_fixed_size 0
		.amdhsa_kernarg_size 336
		.amdhsa_user_sgpr_count 6
		.amdhsa_user_sgpr_private_segment_buffer 1
		.amdhsa_user_sgpr_dispatch_ptr 0
		.amdhsa_user_sgpr_queue_ptr 0
		.amdhsa_user_sgpr_kernarg_segment_ptr 1
		.amdhsa_user_sgpr_dispatch_id 0
		.amdhsa_user_sgpr_flat_scratch_init 0
		.amdhsa_user_sgpr_private_segment_size 0
		.amdhsa_wavefront_size32 1
		.amdhsa_uses_dynamic_stack 0
		.amdhsa_system_sgpr_private_segment_wavefront_offset 0
		.amdhsa_system_sgpr_workgroup_id_x 1
		.amdhsa_system_sgpr_workgroup_id_y 1
		.amdhsa_system_sgpr_workgroup_id_z 1
		.amdhsa_system_sgpr_workgroup_info 0
		.amdhsa_system_vgpr_workitem_id 0
		.amdhsa_next_free_vgpr 17
		.amdhsa_next_free_sgpr 31
		.amdhsa_reserve_vcc 1
		.amdhsa_reserve_flat_scratch 0
		.amdhsa_float_round_mode_32 0
		.amdhsa_float_round_mode_16_64 0
		.amdhsa_float_denorm_mode_32 3
		.amdhsa_float_denorm_mode_16_64 3
		.amdhsa_dx10_clamp 1
		.amdhsa_ieee_mode 1
		.amdhsa_fp16_overflow 0
		.amdhsa_workgroup_processor_mode 1
		.amdhsa_memory_ordered 1
		.amdhsa_forward_progress 1
		.amdhsa_shared_vgpr_count 0
		.amdhsa_exception_fp_ieee_invalid_op 0
		.amdhsa_exception_fp_denorm_src 0
		.amdhsa_exception_fp_ieee_div_zero 0
		.amdhsa_exception_fp_ieee_overflow 0
		.amdhsa_exception_fp_ieee_underflow 0
		.amdhsa_exception_fp_ieee_inexact 0
		.amdhsa_exception_int_div_zero 0
	.end_amdhsa_kernel
	.section	.text._ZL33flash_attn_stream_k_fixup_generalILi64ELi4ELi8EEvPfPK15HIP_vector_typeIfLj2EEiiiiS1_IjLj3EES5_S5_S5_,"axG",@progbits,_ZL33flash_attn_stream_k_fixup_generalILi64ELi4ELi8EEvPfPK15HIP_vector_typeIfLj2EEiiiiS1_IjLj3EES5_S5_S5_,comdat
.Lfunc_end8:
	.size	_ZL33flash_attn_stream_k_fixup_generalILi64ELi4ELi8EEvPfPK15HIP_vector_typeIfLj2EEiiiiS1_IjLj3EES5_S5_S5_, .Lfunc_end8-_ZL33flash_attn_stream_k_fixup_generalILi64ELi4ELi8EEvPfPK15HIP_vector_typeIfLj2EEiiiiS1_IjLj3EES5_S5_S5_
                                        ; -- End function
	.set _ZL33flash_attn_stream_k_fixup_generalILi64ELi4ELi8EEvPfPK15HIP_vector_typeIfLj2EEiiiiS1_IjLj3EES5_S5_S5_.num_vgpr, 17
	.set _ZL33flash_attn_stream_k_fixup_generalILi64ELi4ELi8EEvPfPK15HIP_vector_typeIfLj2EEiiiiS1_IjLj3EES5_S5_S5_.num_agpr, 0
	.set _ZL33flash_attn_stream_k_fixup_generalILi64ELi4ELi8EEvPfPK15HIP_vector_typeIfLj2EEiiiiS1_IjLj3EES5_S5_S5_.numbered_sgpr, 31
	.set _ZL33flash_attn_stream_k_fixup_generalILi64ELi4ELi8EEvPfPK15HIP_vector_typeIfLj2EEiiiiS1_IjLj3EES5_S5_S5_.num_named_barrier, 0
	.set _ZL33flash_attn_stream_k_fixup_generalILi64ELi4ELi8EEvPfPK15HIP_vector_typeIfLj2EEiiiiS1_IjLj3EES5_S5_S5_.private_seg_size, 0
	.set _ZL33flash_attn_stream_k_fixup_generalILi64ELi4ELi8EEvPfPK15HIP_vector_typeIfLj2EEiiiiS1_IjLj3EES5_S5_S5_.uses_vcc, 1
	.set _ZL33flash_attn_stream_k_fixup_generalILi64ELi4ELi8EEvPfPK15HIP_vector_typeIfLj2EEiiiiS1_IjLj3EES5_S5_S5_.uses_flat_scratch, 0
	.set _ZL33flash_attn_stream_k_fixup_generalILi64ELi4ELi8EEvPfPK15HIP_vector_typeIfLj2EEiiiiS1_IjLj3EES5_S5_S5_.has_dyn_sized_stack, 0
	.set _ZL33flash_attn_stream_k_fixup_generalILi64ELi4ELi8EEvPfPK15HIP_vector_typeIfLj2EEiiiiS1_IjLj3EES5_S5_S5_.has_recursion, 0
	.set _ZL33flash_attn_stream_k_fixup_generalILi64ELi4ELi8EEvPfPK15HIP_vector_typeIfLj2EEiiiiS1_IjLj3EES5_S5_S5_.has_indirect_call, 0
	.section	.AMDGPU.csdata,"",@progbits
; Kernel info:
; codeLenInByte = 2944
; TotalNumSgprs: 33
; NumVgprs: 17
; ScratchSize: 0
; MemoryBound: 0
; FloatMode: 240
; IeeeMode: 1
; LDSByteSize: 0 bytes/workgroup (compile time only)
; SGPRBlocks: 0
; VGPRBlocks: 2
; NumSGPRsForWavesPerEU: 33
; NumVGPRsForWavesPerEU: 17
; Occupancy: 16
; WaveLimiterHint : 0
; COMPUTE_PGM_RSRC2:SCRATCH_EN: 0
; COMPUTE_PGM_RSRC2:USER_SGPR: 6
; COMPUTE_PGM_RSRC2:TRAP_HANDLER: 0
; COMPUTE_PGM_RSRC2:TGID_X_EN: 1
; COMPUTE_PGM_RSRC2:TGID_Y_EN: 1
; COMPUTE_PGM_RSRC2:TGID_Z_EN: 1
; COMPUTE_PGM_RSRC2:TIDIG_COMP_CNT: 0
	.section	.text._ZL15flash_attn_tileILi64ELi64ELi2ELi8ELb0EEvPKcS1_S1_S1_S1_PKiPfP15HIP_vector_typeIfLj2EEffffjfiS5_IjLj3EEiiiiiiiiiiiliiliiiiil,"axG",@progbits,_ZL15flash_attn_tileILi64ELi64ELi2ELi8ELb0EEvPKcS1_S1_S1_S1_PKiPfP15HIP_vector_typeIfLj2EEffffjfiS5_IjLj3EEiiiiiiiiiiiliiliiiiil,comdat
	.globl	_ZL15flash_attn_tileILi64ELi64ELi2ELi8ELb0EEvPKcS1_S1_S1_S1_PKiPfP15HIP_vector_typeIfLj2EEffffjfiS5_IjLj3EEiiiiiiiiiiiliiliiiiil ; -- Begin function _ZL15flash_attn_tileILi64ELi64ELi2ELi8ELb0EEvPKcS1_S1_S1_S1_PKiPfP15HIP_vector_typeIfLj2EEffffjfiS5_IjLj3EEiiiiiiiiiiiliiliiiiil
	.p2align	8
	.type	_ZL15flash_attn_tileILi64ELi64ELi2ELi8ELb0EEvPKcS1_S1_S1_S1_PKiPfP15HIP_vector_typeIfLj2EEffffjfiS5_IjLj3EEiiiiiiiiiiiliiliiiiil,@function
_ZL15flash_attn_tileILi64ELi64ELi2ELi8ELb0EEvPKcS1_S1_S1_S1_PKiPfP15HIP_vector_typeIfLj2EEffffjfiS5_IjLj3EEiiiiiiiiiiiliiliiiiil: ; @_ZL15flash_attn_tileILi64ELi64ELi2ELi8ELb0EEvPKcS1_S1_S1_S1_PKiPfP15HIP_vector_typeIfLj2EEffffjfiS5_IjLj3EEiiiiiiiiiiiliiliiiiil
; %bb.0:
	s_clause 0x1
	s_load_dwordx4 s[0:3], s[4:5], 0x5c
	s_load_dwordx2 s[30:31], s[4:5], 0x80
	s_mov_b32 s28, s7
	s_mov_b64 s[34:35], 0
	s_waitcnt lgkmcnt(0)
	s_ashr_i32 s7, s3, 31
	s_lshr_b32 s7, s7, 29
	s_add_i32 s7, s3, s7
	s_ashr_i32 s7, s7, 3
	v_cvt_f32_u32_e32 v2, s7
	s_sub_i32 s10, 0, s7
	v_rcp_iflag_f32_e32 v2, v2
	v_mul_f32_e32 v2, 0x4f7ffffe, v2
	v_cvt_u32_f32_e32 v2, v2
	v_readfirstlane_b32 s9, v2
	s_mul_i32 s10, s10, s9
	s_mul_hi_u32 s10, s9, s10
	s_add_i32 s9, s9, s10
	s_mul_hi_u32 s9, s8, s9
	s_mul_i32 s10, s9, s7
	s_add_i32 s11, s9, 1
	s_sub_i32 s10, s8, s10
	s_sub_i32 s12, s10, s7
	s_cmp_ge_u32 s10, s7
	s_cselect_b32 s9, s11, s9
	s_cselect_b32 s10, s12, s10
	s_add_i32 s11, s9, 1
	s_cmp_ge_u32 s10, s7
	s_cselect_b32 s7, s11, s9
	s_abs_i32 s9, s31
	s_lshl_b32 s8, s8, 3
	v_cvt_f32_u32_e32 v2, s9
	s_sub_i32 s11, 0, s9
	s_mul_i32 s12, s7, s3
	s_abs_i32 s13, s3
	s_sub_i32 s29, s8, s12
	v_rcp_iflag_f32_e32 v2, v2
	v_mul_f32_e32 v2, 0x4f7ffffe, v2
	v_cvt_u32_f32_e32 v2, v2
	v_readfirstlane_b32 s10, v2
	s_mul_i32 s11, s11, s10
	s_mul_hi_u32 s11, s10, s11
	s_add_i32 s10, s10, s11
	s_mul_hi_u32 s8, s13, s10
	s_xor_b32 s10, s3, s31
	s_mul_i32 s11, s8, s9
	s_ashr_i32 s10, s10, 31
	s_sub_i32 s11, s13, s11
	s_add_i32 s12, s8, 1
	s_sub_i32 s13, s11, s9
	s_cmp_ge_u32 s11, s9
	s_cselect_b32 s8, s12, s8
	s_cselect_b32 s11, s13, s11
	s_add_i32 s12, s8, 1
	s_cmp_ge_u32 s11, s9
	s_cselect_b32 s8, s12, s8
	s_xor_b32 s8, s8, s10
	s_sub_i32 s33, s8, s10
	s_clause 0x1
	s_load_dwordx16 s[8:23], s[4:5], 0x0
	s_load_dwordx2 s[36:37], s[4:5], 0xb8
	s_abs_i32 s31, s33
	v_cvt_f32_u32_e32 v2, s31
	v_rcp_iflag_f32_e32 v2, v2
	v_mul_f32_e32 v2, 0x4f7ffffe, v2
	s_waitcnt lgkmcnt(0)
	s_cmp_eq_u64 s[14:15], 0
	v_cvt_u32_f32_e32 v2, v2
	v_readfirstlane_b32 s38, v2
	s_cbranch_scc1 .LBB9_2
; %bb.1:
	s_abs_i32 s26, s36
	s_abs_i32 s27, s7
	v_cvt_f32_u32_e32 v2, s26
	s_sub_i32 s25, 0, s26
	v_rcp_iflag_f32_e32 v2, v2
	v_mul_f32_e32 v2, 0x4f7ffffe, v2
	v_cvt_u32_f32_e32 v2, v2
	v_readfirstlane_b32 s24, v2
	s_mul_i32 s25, s25, s24
	s_mul_hi_u32 s25, s24, s25
	s_add_i32 s24, s24, s25
	s_mul_hi_u32 s34, s27, s24
	s_load_dwordx2 s[24:25], s[4:5], 0xc8
	s_mul_i32 s34, s34, s26
	s_sub_i32 s27, s27, s34
	s_ashr_i32 s34, s7, 31
	s_sub_i32 s35, s27, s26
	s_cmp_ge_u32 s27, s26
	s_cselect_b32 s27, s35, s27
	s_sub_i32 s35, s27, s26
	s_cmp_ge_u32 s27, s26
	s_cselect_b32 s26, s35, s27
	s_xor_b32 s26, s26, s34
	s_sub_i32 s26, s26, s34
	s_ashr_i32 s27, s26, 31
	s_waitcnt lgkmcnt(0)
	s_mul_hi_u32 s34, s24, s26
	s_mul_i32 s27, s24, s27
	s_mul_i32 s25, s25, s26
	s_add_i32 s27, s34, s27
	s_mul_i32 s24, s24, s26
	s_add_i32 s27, s27, s25
	s_add_u32 s34, s14, s24
	s_addc_u32 s35, s15, s27
.LBB9_2:
	v_lshrrev_b32_e32 v2, 1, v1
	s_load_dwordx4 s[24:27], s[4:5], 0x70
	v_lshlrev_b32_e32 v4, 2, v1
	v_lshl_add_u32 v17, s6, 1, v2
	v_or_b32_e32 v22, 1, v4
	v_or_b32_e32 v23, 2, v4
	;; [unrolled: 1-line block ×3, first 2 shown]
	v_mul_hi_u32 v2, s0, v17
	v_and_b32_e32 v55, 4, v4
	v_and_b32_e32 v18, 5, v22
	;; [unrolled: 1-line block ×4, first 2 shown]
	v_add_nc_u32_e32 v2, v17, v2
	s_waitcnt lgkmcnt(0)
	s_mul_i32 s14, s7, s26
	s_mov_b32 s0, s25
	v_lshrrev_b32_e32 v2, s1, v2
	s_mul_i32 s1, s29, s25
	s_ashr_i32 s15, s14, 31
	s_add_u32 s8, s8, s14
	s_addc_u32 s9, s9, s15
	v_mul_lo_u32 v2, v2, s2
	s_ashr_i32 s14, s1, 31
	s_add_u32 s26, s8, s1
	s_addc_u32 s27, s9, s14
	s_ashr_i32 s1, s25, 31
	s_ashr_i32 s25, s24, 31
	s_lshr_b64 s[8:9], s[0:1], 2
	s_lshr_b64 s[14:15], s[24:25], 2
	v_sub_nc_u32_e32 v3, v17, v2
	v_mad_u64_u32 v[7:8], null, s8, v18, 0
	s_lshr_b32 s0, s25, 2
	v_mad_u64_u32 v[9:10], null, s8, v20, 0
	v_mad_u64_u32 v[5:6], null, s14, v3, 0
	;; [unrolled: 1-line block ×3, first 2 shown]
	s_lshr_b32 s1, s1, 2
	v_mad_u64_u32 v[13:14], null, s8, v55, 0
	v_mul_lo_u32 v25, s1, v55
	v_mov_b32_e32 v2, v6
	v_mov_b32_e32 v6, v8
	;; [unrolled: 1-line block ×3, first 2 shown]
	s_cmp_eq_u64 s[18:19], 0
	v_mad_u64_u32 v[15:16], null, s0, v3, v[2:3]
	v_mad_u64_u32 v[18:19], null, s1, v18, v[6:7]
	v_mov_b32_e32 v2, v12
	v_mad_u64_u32 v[19:20], null, s1, v20, v[8:9]
	v_or_b32_e32 v14, v14, v25
	v_mov_b32_e32 v6, v15
	v_mad_u64_u32 v[20:21], null, s1, v21, v[2:3]
	v_lshlrev_b32_e32 v2, 3, v0
	v_mov_b32_e32 v8, v18
	v_lshlrev_b64 v[5:6], 2, v[5:6]
	v_mov_b32_e32 v10, v19
	v_lshlrev_b64 v[13:14], 2, v[13:14]
	s_load_dword s0, s[4:5], 0x40
	v_mov_b32_e32 v12, v20
	v_lshlrev_b64 v[7:8], 2, v[7:8]
	v_add_co_u32 v15, vcc_lo, s26, v5
	v_add_co_ci_u32_e64 v16, null, s27, v6, vcc_lo
	v_lshlrev_b64 v[5:6], 2, v[9:10]
	v_add_co_u32 v15, vcc_lo, v15, v2
	v_add_co_ci_u32_e64 v16, null, 0, v16, vcc_lo
	;; [unrolled: 3-line block ×3, first 2 shown]
	v_add_co_u32 v7, vcc_lo, v15, v7
	v_add_co_ci_u32_e64 v8, null, v16, v8, vcc_lo
	v_add_co_u32 v5, vcc_lo, v15, v5
	v_add_co_ci_u32_e64 v6, null, v16, v6, vcc_lo
	v_add_co_u32 v9, vcc_lo, v15, v9
	global_load_dwordx2 v[11:12], v[11:12], off
	v_add_co_ci_u32_e64 v10, null, v16, v10, vcc_lo
	s_clause 0x2
	global_load_dwordx2 v[7:8], v[7:8], off
	global_load_dwordx2 v[13:14], v[5:6], off
	;; [unrolled: 1-line block ×3, first 2 shown]
	v_lshl_or_b32 v6, v0, 2, 0x5800
	v_lshlrev_b32_e32 v5, 9, v1
	v_lshl_add_u32 v16, v22, 7, v6
	v_add_nc_u32_e32 v15, v6, v5
	v_lshl_add_u32 v18, v23, 7, v6
	v_lshl_add_u32 v6, v24, 7, v6
	s_waitcnt vmcnt(3) lgkmcnt(0)
	v_fma_mixlo_f16 v12, s0, v12, 0
	v_fma_mixlo_f16 v11, s0, v11, 0
	s_waitcnt vmcnt(2)
	v_fma_mixlo_f16 v8, s0, v8, 0
	s_waitcnt vmcnt(1)
	;; [unrolled: 2-line block ×3, first 2 shown]
	v_fma_mixlo_f16 v10, s0, v10, 0
	v_lshlrev_b32_e32 v12, 16, v12
	v_fma_mixlo_f16 v7, s0, v7, 0
	v_lshlrev_b32_e32 v8, 16, v8
	;; [unrolled: 2-line block ×4, first 2 shown]
	v_or_b32_sdwa v11, v12, v11 dst_sel:DWORD dst_unused:UNUSED_PAD src0_sel:DWORD src1_sel:WORD_0
	v_or_b32_sdwa v7, v8, v7 dst_sel:DWORD dst_unused:UNUSED_PAD src0_sel:DWORD src1_sel:WORD_0
	;; [unrolled: 1-line block ×4, first 2 shown]
	ds_write_b32 v15, v11
	ds_write_b32 v16, v7
	;; [unrolled: 1-line block ×4, first 2 shown]
	s_waitcnt lgkmcnt(0)
	s_barrier
	buffer_gl0_inv
	s_cbranch_scc1 .LBB9_4
; %bb.3:
	s_load_dword s0, s[4:5], 0xd0
	s_mov_b32 s1, 0
	s_waitcnt lgkmcnt(0)
	s_mul_i32 s0, s0, s7
	s_add_i32 s0, s0, s6
	s_lshl_b64 s[0:1], s[0:1], 2
	s_add_u32 s0, s18, s0
	s_addc_u32 s1, s19, s1
	s_load_dword s30, s[0:1], 0x0
.LBB9_4:
	v_mbcnt_lo_u32_b32 v56, -1, 0
	s_lshl_b32 s6, s28, 7
	s_waitcnt lgkmcnt(0)
	s_cmp_lt_i32 s6, s30
	s_cbranch_scc1 .LBB9_7
; %bb.5:
	v_mbcnt_lo_u32_b32 v6, -1, 0
	v_mov_b32_e32 v57, 32
	v_xor_b32_e32 v64, 16, v6
	v_xor_b32_e32 v62, 8, v6
	;; [unrolled: 1-line block ×5, first 2 shown]
	s_cbranch_execz .LBB9_8
; %bb.6:
	v_mov_b32_e32 v104, 0
	v_mov_b32_e32 v73, 0
	;; [unrolled: 1-line block ×12, first 2 shown]
	s_branch .LBB9_11
.LBB9_7:
                                        ; implicit-def: $vgpr6
                                        ; implicit-def: $vgpr57
                                        ; implicit-def: $vgpr64
                                        ; implicit-def: $vgpr62
                                        ; implicit-def: $vgpr60
                                        ; implicit-def: $vgpr59
                                        ; implicit-def: $vgpr58
.LBB9_8:
	s_clause 0x1
	s_load_dwordx4 s[24:27], s[4:5], 0x98
	s_load_dwordx2 s[0:1], s[4:5], 0x8c
	s_sub_i32 s8, 0, s31
	s_abs_i32 s18, s29
	s_mul_i32 s8, s8, s38
	s_ashr_i32 s36, s37, 1
	s_mul_hi_u32 s8, s38, s8
	s_ashr_i32 s19, s29, 31
	s_add_i32 s38, s38, s8
	s_ashr_i32 s33, s33, 31
	s_mul_hi_u32 s37, s18, s38
	s_ashr_i32 s38, s7, 31
	s_load_dwordx2 s[14:15], s[4:5], 0xa8
	s_mul_i32 s39, s37, s31
	v_lshrrev_b32_e32 v6, 3, v0
	v_lshlrev_b32_e32 v61, 2, v0
	v_add_nc_u32_e32 v65, 0x5800, v5
	v_lshl_add_u32 v76, v1, 10, 0x4800
	v_mov_b32_e32 v51, 0
	v_add_nc_u32_e32 v13, v6, v4
	s_waitcnt lgkmcnt(0)
	s_ashr_i32 s8, s26, 2
	s_ashr_i32 s9, s0, 2
	s_mul_hi_u32 s0, s24, s7
	s_mul_i32 s26, s24, s38
	s_mul_i32 s25, s25, s7
	s_add_i32 s0, s0, s26
	s_mul_i32 s24, s24, s7
	s_add_i32 s0, s0, s25
	s_add_u32 s10, s10, s24
	s_addc_u32 s0, s11, s0
	s_sub_i32 s18, s18, s39
	s_xor_b32 s11, s19, s33
	s_add_i32 s19, s37, 1
	s_sub_i32 s24, s18, s31
	s_cmp_ge_u32 s18, s31
	s_mul_i32 s15, s15, s7
	s_cselect_b32 s19, s19, s37
	s_cselect_b32 s18, s24, s18
	s_add_i32 s24, s19, 1
	s_cmp_ge_u32 s18, s31
	v_mul_lo_u32 v4, s9, v13
	s_cselect_b32 s18, s24, s19
	s_mul_hi_u32 s19, s14, s7
	s_xor_b32 s18, s18, s11
	s_mul_i32 s24, s14, s38
	s_sub_i32 s18, s18, s11
	v_mul_lo_u32 v12, s8, v13
	s_mul_i32 s1, s18, s1
	s_mul_i32 s14, s14, s7
	s_ashr_i32 s11, s1, 31
	s_add_u32 s10, s10, s1
	s_addc_u32 s11, s0, s11
	s_add_i32 s0, s19, s24
	s_mul_i32 s18, s18, s27
	s_add_i32 s0, s0, s15
	s_add_u32 s1, s12, s14
	s_addc_u32 s0, s13, s0
	s_ashr_i32 s13, s18, 31
	s_add_u32 s12, s1, s18
	s_addc_u32 s13, s0, s13
	s_lshl_b32 s0, s9, 4
	s_lshl_b32 s1, s8, 4
	v_add_nc_u32_e32 v6, s0, v4
	v_add_nc_u32_e32 v37, s1, v12
	v_and_b32_e32 v16, 28, v61
	v_ashrrev_i32_e32 v5, 31, v4
	v_mul_u32_u24_e32 v66, 0x90, v0
	v_add_nc_u32_e32 v8, s0, v6
	v_add_nc_u32_e32 v39, s1, v37
	v_lshlrev_b32_e32 v18, 2, v16
	v_ashrrev_i32_e32 v7, 31, v6
	v_ashrrev_i32_e32 v38, 31, v37
	v_add_nc_u32_e32 v10, s0, v8
	v_add_nc_u32_e32 v41, s1, v39
	v_mad_u32_u24 v63, 0x90, v13, v18
	v_ashrrev_i32_e32 v9, 31, v8
	v_lshl_or_b32 v75, v13, 7, v18
	v_add_nc_u32_e32 v14, s0, v10
	v_add_nc_u32_e32 v43, s1, v41
	v_ashrrev_i32_e32 v11, 31, v10
	v_ashrrev_i32_e32 v13, 31, v12
	;; [unrolled: 1-line block ×3, first 2 shown]
	v_add_nc_u32_e32 v29, s0, v14
	v_add_nc_u32_e32 v45, s1, v43
	v_ashrrev_i32_e32 v15, 31, v14
	v_ashrrev_i32_e32 v42, 31, v41
	v_ashrrev_i32_e32 v44, 31, v43
	v_add_nc_u32_e32 v31, s0, v29
	v_add_nc_u32_e32 v47, s1, v45
	v_ashrrev_i32_e32 v30, 31, v29
	v_ashrrev_i32_e32 v46, 31, v45
	v_mad_u64_u32 v[18:19], null, v3, s36, v[0:1]
	v_add_nc_u32_e32 v33, s0, v31
	v_add_nc_u32_e32 v49, s1, v47
	v_ashrrev_i32_e32 v32, 31, v31
	v_ashrrev_i32_e32 v48, 31, v47
	v_lshlrev_b64 v[19:20], 2, v[4:5]
	v_ashrrev_i32_e32 v34, 31, v33
	v_ashrrev_i32_e32 v50, 31, v49
	v_lshlrev_b64 v[21:22], 2, v[6:7]
	v_lshlrev_b64 v[23:24], 2, v[8:9]
	;; [unrolled: 1-line block ×15, first 2 shown]
	v_add_nc_u32_e32 v67, 0x900, v63
	v_add_nc_u32_e32 v68, 0x1200, v63
	;; [unrolled: 1-line block ×14, first 2 shown]
	v_mov_b32_e32 v1, 0xfeffffff
	v_lshlrev_b32_e32 v84, 2, v16
	v_mov_b32_e32 v57, 32
	v_xor_b32_e32 v64, 16, v56
	v_xor_b32_e32 v62, 8, v56
	v_xor_b32_e32 v60, 4, v56
	v_xor_b32_e32 v59, 2, v56
	v_xor_b32_e32 v58, 1, v56
	v_add_nc_u32_e32 v85, v76, v2
	v_mov_b32_e32 v86, 0x10001
	v_add_nc_u32_e32 v87, 0x400, v61
	v_add_nc_u32_e32 v88, 0x800, v61
	;; [unrolled: 1-line block ×15, first 2 shown]
	v_mov_b32_e32 v102, 0
	v_mov_b32_e32 v103, 0
	;; [unrolled: 1-line block ×10, first 2 shown]
	s_add_u32 s0, s4, 0xd0
	s_addc_u32 s1, s5, 0
.LBB9_9:                                ; =>This Inner Loop Header: Depth=1
	s_mul_hi_i32 s15, s6, s9
	s_mul_i32 s14, s6, s9
	v_mov_b32_e32 v108, v105
	s_lshl_b64 s[14:15], s[14:15], 2
	v_mov_b32_e32 v105, v1
	s_add_u32 s14, s10, s14
	s_addc_u32 s15, s11, s15
	v_add_co_u32 v1, vcc_lo, s14, v19
	v_mov_b32_e32 v53, v107
	v_mov_b32_e32 v107, v106
	;; [unrolled: 1-line block ×3, first 2 shown]
	v_add_co_ci_u32_e64 v2, null, s15, v20, vcc_lo
	v_add_co_u32 v1, vcc_lo, v1, v84
	v_mov_b32_e32 v52, v4
	v_add_co_ci_u32_e64 v2, null, 0, v2, vcc_lo
	v_mov_b32_e32 v54, v3
	v_mov_b32_e32 v113, 0
	;; [unrolled: 1-line block ×3, first 2 shown]
	global_load_dwordx4 v[1:4], v[1:2], off
	v_mov_b32_e32 v110, 0
	v_mov_b32_e32 v109, 0
	;; [unrolled: 1-line block ×3, first 2 shown]
	s_waitcnt vmcnt(0)
	ds_write_b128 v63, v[1:4]
	v_add_co_u32 v1, vcc_lo, s14, v21
	v_add_co_ci_u32_e64 v2, null, s15, v22, vcc_lo
	v_add_co_u32 v1, vcc_lo, v1, v84
	v_add_co_ci_u32_e64 v2, null, 0, v2, vcc_lo
	global_load_dwordx4 v[1:4], v[1:2], off
	s_waitcnt vmcnt(0)
	ds_write_b128 v67, v[1:4]
	v_add_co_u32 v1, vcc_lo, s14, v23
	v_add_co_ci_u32_e64 v2, null, s15, v24, vcc_lo
	v_add_co_u32 v1, vcc_lo, v1, v84
	v_add_co_ci_u32_e64 v2, null, 0, v2, vcc_lo
	global_load_dwordx4 v[1:4], v[1:2], off
	;; [unrolled: 7-line block ×6, first 2 shown]
	s_waitcnt vmcnt(0)
	ds_write_b128 v72, v[1:4]
	v_add_co_u32 v1, vcc_lo, s14, v33
	v_add_co_ci_u32_e64 v2, null, s15, v34, vcc_lo
	s_mul_hi_i32 s15, s6, s8
	v_add_co_u32 v1, vcc_lo, v1, v84
	v_add_co_ci_u32_e64 v2, null, 0, v2, vcc_lo
	v_cmp_gt_i32_e32 vcc_lo, 32, v64
	s_mul_i32 s14, s6, s8
	global_load_dwordx4 v[1:4], v[1:2], off
	s_lshl_b64 s[14:15], s[14:15], 2
	s_add_u32 s14, s12, s14
	s_addc_u32 s15, s13, s15
	s_waitcnt vmcnt(0)
	ds_write_b128 v74, v[1:4]
	s_waitcnt lgkmcnt(0)
	s_barrier
	buffer_gl0_inv
	ds_read_b128 v[114:117], v66
	ds_read_b128 v[118:121], v66 offset:4608
	ds_read_b128 v[122:125], v66 offset:9216
	;; [unrolled: 1-line block ×3, first 2 shown]
	ds_read_b128 v[126:129], v65
	ds_read_b128 v[13:16], v65 offset:128
	ds_read_b128 v[9:12], v65 offset:256
	;; [unrolled: 1-line block ×3, first 2 shown]
	s_waitcnt lgkmcnt(3)
	;;#ASMSTART
	v_dot2_f32_f16 v113, v114, v126, v113
	;;#ASMEND
	;;#ASMSTART
	v_dot2_f32_f16 v113, v115, v127, v113
	;;#ASMEND
	;;#ASMSTART
	v_dot2_f32_f16 v113, v116, v128, v113
	;;#ASMEND
	;;#ASMSTART
	v_dot2_f32_f16 v113, v117, v129, v113
	;;#ASMEND
	s_waitcnt lgkmcnt(2)
	;;#ASMSTART
	v_dot2_f32_f16 v111, v114, v13, v111
	;;#ASMEND
	;;#ASMSTART
	v_dot2_f32_f16 v111, v115, v14, v111
	;;#ASMEND
	;;#ASMSTART
	v_dot2_f32_f16 v111, v116, v15, v111
	;;#ASMEND
	;;#ASMSTART
	v_dot2_f32_f16 v111, v117, v16, v111
	;;#ASMEND
	;; [unrolled: 13-line block ×4, first 2 shown]
	v_mov_b32_e32 v117, 0
	;;#ASMSTART
	v_dot2_f32_f16 v117, v118, v126, v117
	;;#ASMEND
	;;#ASMSTART
	v_dot2_f32_f16 v117, v119, v127, v117
	;;#ASMEND
	;; [unrolled: 3-line block ×3, first 2 shown]
	v_mov_b32_e32 v115, 0
	;;#ASMSTART
	v_dot2_f32_f16 v117, v121, v129, v117
	;;#ASMEND
	;;#ASMSTART
	v_dot2_f32_f16 v115, v118, v13, v115
	;;#ASMEND
	;; [unrolled: 3-line block ×4, first 2 shown]
	v_mov_b32_e32 v114, 0
	;;#ASMSTART
	v_dot2_f32_f16 v115, v121, v16, v115
	;;#ASMEND
	;;#ASMSTART
	v_dot2_f32_f16 v114, v118, v9, v114
	;;#ASMEND
	;; [unrolled: 3-line block ×8, first 2 shown]
	v_mov_b32_e32 v120, 0
	;;#ASMSTART
	v_dot2_f32_f16 v112, v121, v8, v112
	;;#ASMEND
	;;#ASMSTART
	v_dot2_f32_f16 v120, v122, v126, v120
	;;#ASMEND
	;;#ASMSTART
	v_dot2_f32_f16 v120, v123, v127, v120
	;;#ASMEND
	;;#ASMSTART
	v_dot2_f32_f16 v120, v124, v128, v120
	;;#ASMEND
	v_mov_b32_e32 v119, 0
	;;#ASMSTART
	v_dot2_f32_f16 v120, v125, v129, v120
	;;#ASMEND
	;;#ASMSTART
	v_dot2_f32_f16 v119, v122, v13, v119
	;;#ASMEND
	;;#ASMSTART
	v_dot2_f32_f16 v119, v123, v14, v119
	;;#ASMEND
	;;#ASMSTART
	v_dot2_f32_f16 v119, v124, v15, v119
	;;#ASMEND
	;; [unrolled: 13-line block ×8, first 2 shown]
	;;#ASMSTART
	v_dot2_f32_f16 v9, v4, v8, v9
	;;#ASMEND
	ds_read_b128 v[1:4], v66 offset:16
	ds_read_b128 v[5:8], v66 offset:4624
	;; [unrolled: 1-line block ×8, first 2 shown]
	s_waitcnt lgkmcnt(3)
	;;#ASMSTART
	v_dot2_f32_f16 v113, v1, v131, v113
	;;#ASMEND
	;;#ASMSTART
	v_dot2_f32_f16 v113, v2, v132, v113
	;;#ASMEND
	;;#ASMSTART
	v_dot2_f32_f16 v113, v3, v133, v113
	;;#ASMEND
	;;#ASMSTART
	v_dot2_f32_f16 v113, v4, v134, v113
	;;#ASMEND
	s_waitcnt lgkmcnt(2)
	;;#ASMSTART
	v_dot2_f32_f16 v111, v1, v135, v111
	;;#ASMEND
	;;#ASMSTART
	v_dot2_f32_f16 v111, v2, v136, v111
	;;#ASMEND
	;;#ASMSTART
	v_dot2_f32_f16 v111, v3, v137, v111
	;;#ASMEND
	;;#ASMSTART
	v_dot2_f32_f16 v111, v4, v138, v111
	;;#ASMEND
	;; [unrolled: 13-line block ×4, first 2 shown]
	;;#ASMSTART
	v_dot2_f32_f16 v117, v5, v131, v117
	;;#ASMEND
	;;#ASMSTART
	v_dot2_f32_f16 v117, v6, v132, v117
	;;#ASMEND
	;;#ASMSTART
	v_dot2_f32_f16 v117, v7, v133, v117
	;;#ASMEND
	;;#ASMSTART
	v_dot2_f32_f16 v117, v8, v134, v117
	;;#ASMEND
	;;#ASMSTART
	v_dot2_f32_f16 v115, v5, v135, v115
	;;#ASMEND
	;;#ASMSTART
	v_dot2_f32_f16 v115, v6, v136, v115
	;;#ASMEND
	;;#ASMSTART
	v_dot2_f32_f16 v115, v7, v137, v115
	;;#ASMEND
	;;#ASMSTART
	v_dot2_f32_f16 v115, v8, v138, v115
	;;#ASMEND
	;;#ASMSTART
	v_dot2_f32_f16 v114, v5, v139, v114
	;;#ASMEND
	;;#ASMSTART
	v_dot2_f32_f16 v114, v6, v140, v114
	;;#ASMEND
	;;#ASMSTART
	v_dot2_f32_f16 v114, v7, v141, v114
	;;#ASMEND
	;;#ASMSTART
	v_dot2_f32_f16 v114, v8, v142, v114
	;;#ASMEND
	;;#ASMSTART
	v_dot2_f32_f16 v112, v5, v143, v112
	;;#ASMEND
	;;#ASMSTART
	v_dot2_f32_f16 v112, v6, v144, v112
	;;#ASMEND
	;;#ASMSTART
	v_dot2_f32_f16 v112, v7, v145, v112
	;;#ASMEND
	;;#ASMSTART
	v_dot2_f32_f16 v112, v8, v146, v112
	;;#ASMEND
	;;#ASMSTART
	v_dot2_f32_f16 v120, v123, v131, v120
	;;#ASMEND
	;;#ASMSTART
	v_dot2_f32_f16 v120, v124, v132, v120
	;;#ASMEND
	;;#ASMSTART
	v_dot2_f32_f16 v120, v125, v133, v120
	;;#ASMEND
	;;#ASMSTART
	v_dot2_f32_f16 v120, v126, v134, v120
	;;#ASMEND
	;;#ASMSTART
	v_dot2_f32_f16 v119, v123, v135, v119
	;;#ASMEND
	;;#ASMSTART
	v_dot2_f32_f16 v119, v124, v136, v119
	;;#ASMEND
	;;#ASMSTART
	v_dot2_f32_f16 v119, v125, v137, v119
	;;#ASMEND
	;;#ASMSTART
	v_dot2_f32_f16 v119, v126, v138, v119
	;;#ASMEND
	;;#ASMSTART
	v_dot2_f32_f16 v118, v123, v139, v118
	;;#ASMEND
	;;#ASMSTART
	v_dot2_f32_f16 v118, v124, v140, v118
	;;#ASMEND
	;;#ASMSTART
	v_dot2_f32_f16 v118, v125, v141, v118
	;;#ASMEND
	;;#ASMSTART
	v_dot2_f32_f16 v118, v126, v142, v118
	;;#ASMEND
	;;#ASMSTART
	v_dot2_f32_f16 v116, v123, v143, v116
	;;#ASMEND
	;;#ASMSTART
	v_dot2_f32_f16 v116, v124, v144, v116
	;;#ASMEND
	;;#ASMSTART
	v_dot2_f32_f16 v116, v125, v145, v116
	;;#ASMEND
	;;#ASMSTART
	v_dot2_f32_f16 v116, v126, v146, v116
	;;#ASMEND
	;;#ASMSTART
	v_dot2_f32_f16 v122, v127, v131, v122
	;;#ASMEND
	;;#ASMSTART
	v_dot2_f32_f16 v122, v128, v132, v122
	;;#ASMEND
	;;#ASMSTART
	v_dot2_f32_f16 v122, v129, v133, v122
	;;#ASMEND
	;;#ASMSTART
	v_dot2_f32_f16 v122, v130, v134, v122
	;;#ASMEND
	;;#ASMSTART
	v_dot2_f32_f16 v121, v127, v135, v121
	;;#ASMEND
	;;#ASMSTART
	v_dot2_f32_f16 v121, v128, v136, v121
	;;#ASMEND
	;;#ASMSTART
	v_dot2_f32_f16 v121, v129, v137, v121
	;;#ASMEND
	;;#ASMSTART
	v_dot2_f32_f16 v121, v130, v138, v121
	;;#ASMEND
	;;#ASMSTART
	v_dot2_f32_f16 v13, v127, v139, v13
	;;#ASMEND
	;;#ASMSTART
	v_dot2_f32_f16 v13, v128, v140, v13
	;;#ASMEND
	;;#ASMSTART
	v_dot2_f32_f16 v13, v129, v141, v13
	;;#ASMEND
	;;#ASMSTART
	v_dot2_f32_f16 v13, v130, v142, v13
	;;#ASMEND
	;;#ASMSTART
	v_dot2_f32_f16 v9, v127, v143, v9
	;;#ASMEND
	;;#ASMSTART
	v_dot2_f32_f16 v9, v128, v144, v9
	;;#ASMEND
	;;#ASMSTART
	v_dot2_f32_f16 v9, v129, v145, v9
	;;#ASMEND
	;;#ASMSTART
	v_dot2_f32_f16 v9, v130, v146, v9
	;;#ASMEND
	ds_read_b128 v[1:4], v66 offset:32
	ds_read_b128 v[5:8], v66 offset:4640
	;; [unrolled: 1-line block ×8, first 2 shown]
	s_waitcnt lgkmcnt(3)
	;;#ASMSTART
	v_dot2_f32_f16 v113, v1, v131, v113
	;;#ASMEND
	;;#ASMSTART
	v_dot2_f32_f16 v113, v2, v132, v113
	;;#ASMEND
	;;#ASMSTART
	v_dot2_f32_f16 v113, v3, v133, v113
	;;#ASMEND
	;;#ASMSTART
	v_dot2_f32_f16 v113, v4, v134, v113
	;;#ASMEND
	s_waitcnt lgkmcnt(2)
	;;#ASMSTART
	v_dot2_f32_f16 v111, v1, v135, v111
	;;#ASMEND
	;;#ASMSTART
	v_dot2_f32_f16 v111, v2, v136, v111
	;;#ASMEND
	;;#ASMSTART
	v_dot2_f32_f16 v111, v3, v137, v111
	;;#ASMEND
	;;#ASMSTART
	v_dot2_f32_f16 v111, v4, v138, v111
	;;#ASMEND
	;; [unrolled: 13-line block ×4, first 2 shown]
	;;#ASMSTART
	v_dot2_f32_f16 v117, v5, v131, v117
	;;#ASMEND
	;;#ASMSTART
	v_dot2_f32_f16 v117, v6, v132, v117
	;;#ASMEND
	;; [unrolled: 3-line block ×48, first 2 shown]
	ds_read_b128 v[1:4], v66 offset:48
	ds_read_b128 v[5:8], v66 offset:4656
	;; [unrolled: 1-line block ×8, first 2 shown]
	s_waitcnt lgkmcnt(3)
	;;#ASMSTART
	v_dot2_f32_f16 v113, v1, v131, v113
	;;#ASMEND
	;;#ASMSTART
	v_dot2_f32_f16 v113, v2, v132, v113
	;;#ASMEND
	;;#ASMSTART
	v_dot2_f32_f16 v113, v3, v133, v113
	;;#ASMEND
	;;#ASMSTART
	v_dot2_f32_f16 v113, v4, v134, v113
	;;#ASMEND
	s_waitcnt lgkmcnt(2)
	;;#ASMSTART
	v_dot2_f32_f16 v111, v1, v135, v111
	;;#ASMEND
	;;#ASMSTART
	v_dot2_f32_f16 v111, v2, v136, v111
	;;#ASMEND
	;;#ASMSTART
	v_dot2_f32_f16 v111, v3, v137, v111
	;;#ASMEND
	;;#ASMSTART
	v_dot2_f32_f16 v111, v4, v138, v111
	;;#ASMEND
	;; [unrolled: 13-line block ×4, first 2 shown]
	;;#ASMSTART
	v_dot2_f32_f16 v117, v5, v131, v117
	;;#ASMEND
	;;#ASMSTART
	v_dot2_f32_f16 v117, v6, v132, v117
	;;#ASMEND
	;;#ASMSTART
	v_dot2_f32_f16 v117, v7, v133, v117
	;;#ASMEND
	;;#ASMSTART
	v_dot2_f32_f16 v117, v8, v134, v117
	;;#ASMEND
	;;#ASMSTART
	v_dot2_f32_f16 v115, v5, v135, v115
	;;#ASMEND
	;;#ASMSTART
	v_dot2_f32_f16 v115, v6, v136, v115
	;;#ASMEND
	;;#ASMSTART
	v_dot2_f32_f16 v115, v7, v137, v115
	;;#ASMEND
	;;#ASMSTART
	v_dot2_f32_f16 v115, v8, v138, v115
	;;#ASMEND
	;;#ASMSTART
	v_dot2_f32_f16 v114, v5, v139, v114
	;;#ASMEND
	;;#ASMSTART
	v_dot2_f32_f16 v114, v6, v140, v114
	;;#ASMEND
	;;#ASMSTART
	v_dot2_f32_f16 v114, v7, v141, v114
	;;#ASMEND
	;;#ASMSTART
	v_dot2_f32_f16 v114, v8, v142, v114
	;;#ASMEND
	;;#ASMSTART
	v_dot2_f32_f16 v112, v5, v143, v112
	;;#ASMEND
	;;#ASMSTART
	v_dot2_f32_f16 v112, v6, v144, v112
	;;#ASMEND
	;;#ASMSTART
	v_dot2_f32_f16 v112, v7, v145, v112
	;;#ASMEND
	;;#ASMSTART
	v_dot2_f32_f16 v112, v8, v146, v112
	;;#ASMEND
	;;#ASMSTART
	v_dot2_f32_f16 v120, v123, v131, v120
	;;#ASMEND
	;;#ASMSTART
	v_dot2_f32_f16 v120, v124, v132, v120
	;;#ASMEND
	;;#ASMSTART
	v_dot2_f32_f16 v120, v125, v133, v120
	;;#ASMEND
	;;#ASMSTART
	v_dot2_f32_f16 v120, v126, v134, v120
	;;#ASMEND
	;;#ASMSTART
	v_dot2_f32_f16 v119, v123, v135, v119
	;;#ASMEND
	;;#ASMSTART
	v_dot2_f32_f16 v119, v124, v136, v119
	;;#ASMEND
	;;#ASMSTART
	v_dot2_f32_f16 v119, v125, v137, v119
	;;#ASMEND
	;;#ASMSTART
	v_dot2_f32_f16 v119, v126, v138, v119
	;;#ASMEND
	;;#ASMSTART
	v_dot2_f32_f16 v118, v123, v139, v118
	;;#ASMEND
	;;#ASMSTART
	v_dot2_f32_f16 v118, v124, v140, v118
	;;#ASMEND
	;;#ASMSTART
	v_dot2_f32_f16 v118, v125, v141, v118
	;;#ASMEND
	;;#ASMSTART
	v_dot2_f32_f16 v118, v126, v142, v118
	;;#ASMEND
	;;#ASMSTART
	v_dot2_f32_f16 v116, v123, v143, v116
	;;#ASMEND
	;;#ASMSTART
	v_dot2_f32_f16 v116, v124, v144, v116
	;;#ASMEND
	;;#ASMSTART
	v_dot2_f32_f16 v116, v125, v145, v116
	;;#ASMEND
	;;#ASMSTART
	v_dot2_f32_f16 v116, v126, v146, v116
	;;#ASMEND
	;;#ASMSTART
	v_dot2_f32_f16 v122, v127, v131, v122
	;;#ASMEND
	;;#ASMSTART
	v_dot2_f32_f16 v122, v128, v132, v122
	;;#ASMEND
	;;#ASMSTART
	v_dot2_f32_f16 v122, v129, v133, v122
	;;#ASMEND
	;;#ASMSTART
	v_dot2_f32_f16 v122, v130, v134, v122
	;;#ASMEND
	;;#ASMSTART
	v_dot2_f32_f16 v121, v127, v135, v121
	;;#ASMEND
	;;#ASMSTART
	v_dot2_f32_f16 v121, v128, v136, v121
	;;#ASMEND
	;;#ASMSTART
	v_dot2_f32_f16 v121, v129, v137, v121
	;;#ASMEND
	;;#ASMSTART
	v_dot2_f32_f16 v121, v130, v138, v121
	;;#ASMEND
	;;#ASMSTART
	v_dot2_f32_f16 v13, v127, v139, v13
	;;#ASMEND
	;;#ASMSTART
	v_dot2_f32_f16 v13, v128, v140, v13
	;;#ASMEND
	;;#ASMSTART
	v_dot2_f32_f16 v13, v129, v141, v13
	;;#ASMEND
	;;#ASMSTART
	v_dot2_f32_f16 v13, v130, v142, v13
	;;#ASMEND
	;;#ASMSTART
	v_dot2_f32_f16 v9, v127, v143, v9
	;;#ASMEND
	;;#ASMSTART
	v_dot2_f32_f16 v9, v128, v144, v9
	;;#ASMEND
	;;#ASMSTART
	v_dot2_f32_f16 v9, v129, v145, v9
	;;#ASMEND
	;;#ASMSTART
	v_dot2_f32_f16 v9, v130, v146, v9
	;;#ASMEND
	ds_read_b128 v[1:4], v66 offset:64
	ds_read_b128 v[5:8], v66 offset:4672
	;; [unrolled: 1-line block ×8, first 2 shown]
	s_waitcnt lgkmcnt(3)
	;;#ASMSTART
	v_dot2_f32_f16 v113, v1, v131, v113
	;;#ASMEND
	;;#ASMSTART
	v_dot2_f32_f16 v113, v2, v132, v113
	;;#ASMEND
	;;#ASMSTART
	v_dot2_f32_f16 v113, v3, v133, v113
	;;#ASMEND
	;;#ASMSTART
	v_dot2_f32_f16 v113, v4, v134, v113
	;;#ASMEND
	s_waitcnt lgkmcnt(2)
	;;#ASMSTART
	v_dot2_f32_f16 v111, v1, v135, v111
	;;#ASMEND
	;;#ASMSTART
	v_dot2_f32_f16 v111, v2, v136, v111
	;;#ASMEND
	;;#ASMSTART
	v_dot2_f32_f16 v111, v3, v137, v111
	;;#ASMEND
	;;#ASMSTART
	v_dot2_f32_f16 v111, v4, v138, v111
	;;#ASMEND
	;; [unrolled: 13-line block ×4, first 2 shown]
	;;#ASMSTART
	v_dot2_f32_f16 v117, v5, v131, v117
	;;#ASMEND
	;;#ASMSTART
	v_dot2_f32_f16 v117, v6, v132, v117
	;;#ASMEND
	;; [unrolled: 3-line block ×48, first 2 shown]
	ds_read_b128 v[1:4], v66 offset:80
	ds_read_b128 v[5:8], v66 offset:4688
	;; [unrolled: 1-line block ×8, first 2 shown]
	s_waitcnt lgkmcnt(3)
	;;#ASMSTART
	v_dot2_f32_f16 v113, v1, v131, v113
	;;#ASMEND
	;;#ASMSTART
	v_dot2_f32_f16 v113, v2, v132, v113
	;;#ASMEND
	;;#ASMSTART
	v_dot2_f32_f16 v113, v3, v133, v113
	;;#ASMEND
	;;#ASMSTART
	v_dot2_f32_f16 v113, v4, v134, v113
	;;#ASMEND
	s_waitcnt lgkmcnt(2)
	;;#ASMSTART
	v_dot2_f32_f16 v111, v1, v135, v111
	;;#ASMEND
	;;#ASMSTART
	v_dot2_f32_f16 v111, v2, v136, v111
	;;#ASMEND
	;;#ASMSTART
	v_dot2_f32_f16 v111, v3, v137, v111
	;;#ASMEND
	;;#ASMSTART
	v_dot2_f32_f16 v111, v4, v138, v111
	;;#ASMEND
	;; [unrolled: 13-line block ×4, first 2 shown]
	;;#ASMSTART
	v_dot2_f32_f16 v117, v5, v131, v117
	;;#ASMEND
	;;#ASMSTART
	v_dot2_f32_f16 v117, v6, v132, v117
	;;#ASMEND
	;; [unrolled: 3-line block ×48, first 2 shown]
	ds_read_b128 v[1:4], v66 offset:96
	ds_read_b128 v[5:8], v66 offset:4704
	;; [unrolled: 1-line block ×8, first 2 shown]
	s_waitcnt lgkmcnt(3)
	;;#ASMSTART
	v_dot2_f32_f16 v113, v1, v131, v113
	;;#ASMEND
	;;#ASMSTART
	v_dot2_f32_f16 v113, v2, v132, v113
	;;#ASMEND
	;;#ASMSTART
	v_dot2_f32_f16 v113, v3, v133, v113
	;;#ASMEND
	;;#ASMSTART
	v_dot2_f32_f16 v113, v4, v134, v113
	;;#ASMEND
	s_waitcnt lgkmcnt(2)
	;;#ASMSTART
	v_dot2_f32_f16 v111, v1, v135, v111
	;;#ASMEND
	;;#ASMSTART
	v_dot2_f32_f16 v111, v2, v136, v111
	;;#ASMEND
	;;#ASMSTART
	v_dot2_f32_f16 v111, v3, v137, v111
	;;#ASMEND
	;;#ASMSTART
	v_dot2_f32_f16 v111, v4, v138, v111
	;;#ASMEND
	;; [unrolled: 13-line block ×4, first 2 shown]
	;;#ASMSTART
	v_dot2_f32_f16 v117, v5, v131, v117
	;;#ASMEND
	;;#ASMSTART
	v_dot2_f32_f16 v117, v6, v132, v117
	;;#ASMEND
	;; [unrolled: 3-line block ×48, first 2 shown]
	ds_read_b128 v[1:4], v66 offset:112
	ds_read_b128 v[5:8], v66 offset:4720
	;; [unrolled: 1-line block ×8, first 2 shown]
	s_waitcnt lgkmcnt(3)
	;;#ASMSTART
	v_dot2_f32_f16 v113, v1, v131, v113
	;;#ASMEND
	;;#ASMSTART
	v_dot2_f32_f16 v113, v2, v132, v113
	;;#ASMEND
	;;#ASMSTART
	v_dot2_f32_f16 v113, v3, v133, v113
	;;#ASMEND
	;;#ASMSTART
	v_dot2_f32_f16 v113, v4, v134, v113
	;;#ASMEND
	s_waitcnt lgkmcnt(2)
	;;#ASMSTART
	v_dot2_f32_f16 v111, v1, v135, v111
	;;#ASMEND
	;;#ASMSTART
	v_dot2_f32_f16 v111, v2, v136, v111
	;;#ASMEND
	;;#ASMSTART
	v_dot2_f32_f16 v111, v3, v137, v111
	;;#ASMEND
	;;#ASMSTART
	v_dot2_f32_f16 v111, v4, v138, v111
	;;#ASMEND
	;; [unrolled: 13-line block ×3, first 2 shown]
	s_waitcnt lgkmcnt(0)
	;;#ASMSTART
	v_dot2_f32_f16 v109, v1, v143, v109
	;;#ASMEND
	;;#ASMSTART
	v_dot2_f32_f16 v109, v2, v144, v109
	;;#ASMEND
	;; [unrolled: 3-line block ×3, first 2 shown]
	v_cndmask_b32_e32 v2, v56, v64, vcc_lo
	v_cmp_gt_i32_e32 vcc_lo, 32, v62
	;;#ASMSTART
	v_dot2_f32_f16 v109, v4, v146, v109
	;;#ASMEND
	;;#ASMSTART
	v_dot2_f32_f16 v117, v5, v131, v117
	;;#ASMEND
	;; [unrolled: 3-line block ×7, first 2 shown]
	v_lshlrev_b32_e32 v4, 2, v2
	v_cndmask_b32_e32 v2, v56, v62, vcc_lo
	v_cmp_gt_i32_e32 vcc_lo, 32, v60
	;;#ASMSTART
	v_dot2_f32_f16 v115, v7, v137, v115
	;;#ASMEND
	;;#ASMSTART
	v_dot2_f32_f16 v115, v8, v138, v115
	;;#ASMEND
	;; [unrolled: 3-line block ×7, first 2 shown]
	v_lshlrev_b32_e32 v5, 2, v2
	v_cndmask_b32_e32 v2, v56, v60, vcc_lo
	v_cmp_gt_i32_e32 vcc_lo, 32, v59
	;;#ASMSTART
	v_dot2_f32_f16 v112, v6, v144, v112
	;;#ASMEND
	;;#ASMSTART
	v_dot2_f32_f16 v112, v7, v145, v112
	;;#ASMEND
	;; [unrolled: 3-line block ×3, first 2 shown]
	v_lshlrev_b32_e32 v6, 2, v2
	v_cndmask_b32_e32 v2, v56, v59, vcc_lo
	v_cmp_gt_i32_e32 vcc_lo, 32, v58
	;;#ASMSTART
	v_dot2_f32_f16 v120, v123, v131, v120
	;;#ASMEND
	;;#ASMSTART
	v_dot2_f32_f16 v120, v124, v132, v120
	;;#ASMEND
	v_add_nc_u32_e32 v1, s6, v18
	v_lshlrev_b32_e32 v7, 2, v2
	v_cndmask_b32_e32 v2, v56, v58, vcc_lo
	;;#ASMSTART
	v_dot2_f32_f16 v120, v125, v133, v120
	;;#ASMEND
	;;#ASMSTART
	v_dot2_f32_f16 v120, v126, v134, v120
	;;#ASMEND
	;; [unrolled: 3-line block ×7, first 2 shown]
	v_lshlrev_b32_e32 v15, 2, v2
	v_ashrrev_i32_e32 v2, 31, v1
	;;#ASMSTART
	v_dot2_f32_f16 v118, v124, v140, v118
	;;#ASMEND
	;;#ASMSTART
	v_dot2_f32_f16 v118, v125, v141, v118
	;;#ASMEND
	;; [unrolled: 3-line block ×6, first 2 shown]
	v_lshlrev_b64 v[1:2], 1, v[1:2]
	;;#ASMSTART
	v_dot2_f32_f16 v116, v126, v146, v116
	;;#ASMEND
	;;#ASMSTART
	v_dot2_f32_f16 v122, v127, v131, v122
	;;#ASMEND
	;; [unrolled: 3-line block ×8, first 2 shown]
	v_add_co_u32 v1, vcc_lo, s34, v1
	;;#ASMSTART
	v_dot2_f32_f16 v121, v130, v138, v121
	;;#ASMEND
	;;#ASMSTART
	v_dot2_f32_f16 v13, v127, v139, v13
	;;#ASMEND
	;; [unrolled: 3-line block ×3, first 2 shown]
	v_add_co_ci_u32_e64 v2, null, s35, v2, vcc_lo
	;;#ASMSTART
	v_dot2_f32_f16 v13, v129, v141, v13
	;;#ASMEND
	;;#ASMSTART
	v_dot2_f32_f16 v13, v130, v142, v13
	;;#ASMEND
	;; [unrolled: 3-line block ×6, first 2 shown]
	s_clause 0x1
	global_load_ushort v3, v[1:2], off
	global_load_ushort v10, v[1:2], off offset:64
	s_waitcnt vmcnt(1)
	v_cvt_f32_f16_e32 v8, v3
	s_waitcnt vmcnt(0)
	v_cvt_f32_f16_e32 v10, v10
	v_add_f32_e32 v123, v113, v8
	v_add_f32_e32 v117, v117, v10
	;; [unrolled: 1-line block ×9, first 2 shown]
	v_max3_f32 v3, v105, v3, v11
	s_clause 0x1
	global_load_ushort v11, v[1:2], off offset:128
	global_load_ushort v1, v[1:2], off offset:192
	v_add_f32_e32 v8, 0x40051340, v14
	s_waitcnt vmcnt(0)
	s_barrier
	buffer_gl0_inv
	v_cvt_f32_f16_e32 v124, v11
	v_cvt_f32_f16_e32 v125, v1
	v_add_f32_e32 v120, v120, v124
	v_add_f32_e32 v122, v122, v125
	;; [unrolled: 1-line block ×8, first 2 shown]
	v_max3_f32 v1, v3, v11, v1
	v_add_f32_e32 v3, 0x40051340, v115
	v_add_f32_e32 v11, 0x40051340, v12
	;; [unrolled: 1-line block ×3, first 2 shown]
	ds_bpermute_b32 v2, v4, v1
	s_waitcnt lgkmcnt(0)
	v_max_f32_e32 v2, v2, v2
	v_max_f32_e32 v1, v1, v2
	ds_bpermute_b32 v2, v5, v1
	s_waitcnt lgkmcnt(0)
	v_max_f32_e32 v2, v2, v2
	v_max_f32_e32 v1, v1, v2
	;; [unrolled: 4-line block ×5, first 2 shown]
	v_add_f32_e32 v2, 0x40051340, v126
	v_max3_f32 v2, v106, v2, v3
	v_add_f32_e32 v3, 0x40051340, v119
	v_max3_f32 v2, v2, v3, v11
	v_add_f32_e32 v11, 0x40051340, v111
	ds_bpermute_b32 v3, v4, v2
	s_waitcnt lgkmcnt(0)
	v_max_f32_e32 v3, v3, v3
	v_max_f32_e32 v2, v2, v3
	ds_bpermute_b32 v3, v5, v2
	s_waitcnt lgkmcnt(0)
	v_max_f32_e32 v3, v3, v3
	v_max_f32_e32 v2, v2, v3
	ds_bpermute_b32 v3, v6, v2
	s_waitcnt lgkmcnt(0)
	v_max_f32_e32 v3, v3, v3
	v_max_f32_e32 v2, v2, v3
	ds_bpermute_b32 v3, v7, v2
	s_waitcnt lgkmcnt(0)
	v_max_f32_e32 v3, v3, v3
	v_max_f32_e32 v2, v2, v3
	ds_bpermute_b32 v3, v15, v2
	s_waitcnt lgkmcnt(0)
	v_max_f32_e32 v3, v3, v3
	v_max_f32_e32 v2, v2, v3
	v_add_f32_e32 v3, 0x40051340, v113
	v_sub_f32_e32 v12, v12, v2
	v_max3_f32 v3, v54, v3, v11
	v_add_f32_e32 v11, 0x40051340, v110
	v_max3_f32 v3, v3, v11, v13
	ds_bpermute_b32 v11, v4, v3
	s_waitcnt lgkmcnt(0)
	v_max_f32_e32 v11, v11, v11
	v_max_f32_e32 v3, v3, v11
	ds_bpermute_b32 v11, v5, v3
	s_waitcnt lgkmcnt(0)
	v_max_f32_e32 v11, v11, v11
	v_max_f32_e32 v3, v3, v11
	;; [unrolled: 4-line block ×5, first 2 shown]
	v_add_f32_e32 v11, v112, v10
	v_sub_f32_e32 v16, v16, v3
	v_add_f32_e32 v10, 0x40051340, v11
	v_max3_f32 v13, v52, v8, v10
	v_add_f32_e32 v10, v116, v124
	v_add_f32_e32 v8, v9, v125
	;; [unrolled: 1-line block ×4, first 2 shown]
	v_max3_f32 v9, v13, v109, v9
	v_sub_f32_e32 v13, v105, v1
	ds_bpermute_b32 v4, v4, v9
	s_waitcnt lgkmcnt(0)
	v_max_f32_e32 v4, v4, v4
	v_max_f32_e32 v4, v9, v4
	ds_bpermute_b32 v5, v5, v4
	s_waitcnt lgkmcnt(0)
	v_max_f32_e32 v5, v5, v5
	v_max_f32_e32 v4, v4, v5
	;; [unrolled: 4-line block ×5, first 2 shown]
	v_sub_f32_e32 v5, v123, v1
	v_sub_f32_e32 v14, v14, v4
	v_mul_f32_e32 v6, 0x3fb8aa3b, v5
	v_cmp_ngt_f32_e32 vcc_lo, 0xc2ce8ed0, v5
	v_sub_f32_e32 v11, v11, v4
	v_sub_f32_e32 v10, v10, v4
	;; [unrolled: 1-line block ×3, first 2 shown]
	v_fma_f32 v7, 0x3fb8aa3b, v5, -v6
	v_rndne_f32_e32 v9, v6
	v_sub_f32_e32 v52, v52, v4
	v_fmac_f32_e32 v7, 0x32a5705f, v5
	v_sub_f32_e32 v6, v6, v9
	v_add_f32_e32 v6, v6, v7
	v_cvt_i32_f32_e32 v7, v9
	v_exp_f32_e32 v6, v6
	v_ldexp_f32 v6, v6, v7
	v_cndmask_b32_e32 v6, 0, v6, vcc_lo
	v_cmp_nlt_f32_e32 vcc_lo, 0x42b17218, v5
	v_cndmask_b32_e32 v5, 0x7f800000, v6, vcc_lo
	v_sub_f32_e32 v6, v117, v1
	v_cvt_f16_f32_e32 v9, v5
	v_mul_f32_e32 v7, 0x3fb8aa3b, v6
	v_cmp_ngt_f32_e32 vcc_lo, 0xc2ce8ed0, v6
	v_fma_f32 v15, 0x3fb8aa3b, v6, -v7
	v_rndne_f32_e32 v105, v7
	v_fmac_f32_e32 v15, 0x32a5705f, v6
	v_sub_f32_e32 v7, v7, v105
	v_add_f32_e32 v7, v7, v15
	v_cvt_i32_f32_e32 v15, v105
	v_exp_f32_e32 v7, v7
	v_ldexp_f32 v7, v7, v15
	v_cndmask_b32_e32 v7, 0, v7, vcc_lo
	v_cmp_nlt_f32_e32 vcc_lo, 0x42b17218, v6
	v_cndmask_b32_e32 v6, 0x7f800000, v7, vcc_lo
	v_add_f32_e32 v5, v5, v6
	v_cvt_f16_f32_e32 v7, v6
	v_sub_f32_e32 v6, v120, v1
	v_mul_f32_e32 v15, 0x3fb8aa3b, v6
	v_cmp_ngt_f32_e32 vcc_lo, 0xc2ce8ed0, v6
	v_fma_f32 v105, 0x3fb8aa3b, v6, -v15
	v_rndne_f32_e32 v109, v15
	v_fmac_f32_e32 v105, 0x32a5705f, v6
	v_sub_f32_e32 v15, v15, v109
	v_add_f32_e32 v15, v15, v105
	v_cvt_i32_f32_e32 v105, v109
	v_exp_f32_e32 v15, v15
	v_ldexp_f32 v15, v15, v105
	v_cndmask_b32_e32 v15, 0, v15, vcc_lo
	v_cmp_nlt_f32_e32 vcc_lo, 0x42b17218, v6
	v_cndmask_b32_e32 v6, 0x7f800000, v15, vcc_lo
	v_sub_f32_e32 v15, v122, v1
	v_add_f32_e32 v5, v6, v5
	v_mul_f32_e32 v105, 0x3fb8aa3b, v15
	v_cmp_ngt_f32_e32 vcc_lo, 0xc2ce8ed0, v15
	v_cvt_f16_f32_e32 v6, v6
	v_fma_f32 v109, 0x3fb8aa3b, v15, -v105
	v_rndne_f32_e32 v112, v105
	v_fmac_f32_e32 v109, 0x32a5705f, v15
	v_sub_f32_e32 v105, v105, v112
	v_add_f32_e32 v105, v105, v109
	v_cvt_i32_f32_e32 v109, v112
	v_exp_f32_e32 v105, v105
	v_ldexp_f32 v105, v105, v109
	v_cndmask_b32_e32 v105, 0, v105, vcc_lo
	v_cmp_nlt_f32_e32 vcc_lo, 0x42b17218, v15
	v_cndmask_b32_e32 v15, 0x7f800000, v105, vcc_lo
	v_cmp_ngt_f32_e32 vcc_lo, 0xc2ce8ed0, v13
	v_add_f32_e32 v105, v15, v5
	v_cvt_f16_f32_e32 v5, v15
	v_mul_f32_e32 v15, 0x3fb8aa3b, v13
	v_fma_f32 v109, 0x3fb8aa3b, v13, -v15
	v_rndne_f32_e32 v112, v15
	v_fmac_f32_e32 v109, 0x32a5705f, v13
	v_sub_f32_e32 v15, v15, v112
	v_add_f32_e32 v15, v15, v109
	v_cvt_i32_f32_e32 v109, v112
	v_exp_f32_e32 v15, v15
	v_ldexp_f32 v15, v15, v109
	v_sub_f32_e32 v109, v106, v2
	v_cndmask_b32_e32 v15, 0, v15, vcc_lo
	v_cmp_nlt_f32_e32 vcc_lo, 0x42b17218, v13
	v_cndmask_b32_e32 v13, 0x7f800000, v15, vcc_lo
	v_fmac_f32_e32 v105, v108, v13
	v_cvt_f16_f32_e32 v13, v13
	v_mul_u32_u24_sdwa v108, v13, v86 dst_sel:DWORD dst_unused:UNUSED_PAD src0_sel:WORD_0 src1_sel:DWORD
	v_sub_f32_e32 v13, v126, v2
	v_mul_f32_e32 v15, 0x3fb8aa3b, v13
	v_cmp_ngt_f32_e32 vcc_lo, 0xc2ce8ed0, v13
	v_fma_f32 v106, 0x3fb8aa3b, v13, -v15
	v_rndne_f32_e32 v112, v15
	v_fmac_f32_e32 v106, 0x32a5705f, v13
	v_sub_f32_e32 v15, v15, v112
	v_add_f32_e32 v15, v15, v106
	v_cvt_i32_f32_e32 v106, v112
	v_exp_f32_e32 v15, v15
	v_ldexp_f32 v15, v15, v106
	v_cndmask_b32_e32 v15, 0, v15, vcc_lo
	v_cmp_nlt_f32_e32 vcc_lo, 0x42b17218, v13
	v_cndmask_b32_e32 v13, 0x7f800000, v15, vcc_lo
	v_sub_f32_e32 v15, v115, v2
	v_cvt_f16_f32_e32 v112, v13
	v_mul_f32_e32 v106, 0x3fb8aa3b, v15
	v_cmp_ngt_f32_e32 vcc_lo, 0xc2ce8ed0, v15
	v_pack_b32_f16 v9, v9, v112
	v_fma_f32 v114, 0x3fb8aa3b, v15, -v106
	v_rndne_f32_e32 v115, v106
	v_fmac_f32_e32 v114, 0x32a5705f, v15
	v_sub_f32_e32 v106, v106, v115
	v_add_f32_e32 v106, v106, v114
	v_cvt_i32_f32_e32 v114, v115
	v_exp_f32_e32 v106, v106
	v_ldexp_f32 v106, v106, v114
	v_cndmask_b32_e32 v106, 0, v106, vcc_lo
	v_cmp_nlt_f32_e32 vcc_lo, 0x42b17218, v15
	v_cndmask_b32_e32 v15, 0x7f800000, v106, vcc_lo
	v_sub_f32_e32 v106, v119, v2
	v_add_f32_e32 v13, v13, v15
	v_mul_f32_e32 v114, 0x3fb8aa3b, v106
	v_cmp_ngt_f32_e32 vcc_lo, 0xc2ce8ed0, v106
	v_cvt_f16_f32_e32 v15, v15
	v_fma_f32 v115, 0x3fb8aa3b, v106, -v114
	v_rndne_f32_e32 v116, v114
	v_pack_b32_f16 v7, v7, v15
	v_fmac_f32_e32 v115, 0x32a5705f, v106
	v_sub_f32_e32 v114, v114, v116
	v_add_f32_e32 v114, v114, v115
	v_cvt_i32_f32_e32 v115, v116
	v_exp_f32_e32 v114, v114
	v_ldexp_f32 v114, v114, v115
	v_cndmask_b32_e32 v114, 0, v114, vcc_lo
	v_cmp_nlt_f32_e32 vcc_lo, 0x42b17218, v106
	v_cndmask_b32_e32 v106, 0x7f800000, v114, vcc_lo
	v_cmp_ngt_f32_e32 vcc_lo, 0xc2ce8ed0, v12
	v_add_f32_e32 v114, v106, v13
	v_cvt_f16_f32_e32 v13, v106
	v_mul_f32_e32 v106, 0x3fb8aa3b, v12
	v_pack_b32_f16 v6, v6, v13
	v_fma_f32 v115, 0x3fb8aa3b, v12, -v106
	v_rndne_f32_e32 v116, v106
	v_fmac_f32_e32 v115, 0x32a5705f, v12
	v_sub_f32_e32 v106, v106, v116
	v_add_f32_e32 v106, v106, v115
	v_cvt_i32_f32_e32 v115, v116
	v_exp_f32_e32 v106, v106
	v_ldexp_f32 v106, v106, v115
	v_cndmask_b32_e32 v106, 0, v106, vcc_lo
	v_cmp_nlt_f32_e32 vcc_lo, 0x42b17218, v12
	v_cndmask_b32_e32 v12, 0x7f800000, v106, vcc_lo
	v_cmp_ngt_f32_e32 vcc_lo, 0xc2ce8ed0, v109
	v_add_f32_e32 v106, v12, v114
	v_mul_f32_e32 v114, 0x3fb8aa3b, v109
	v_cvt_f16_f32_e32 v12, v12
	v_fma_f32 v115, 0x3fb8aa3b, v109, -v114
	v_rndne_f32_e32 v116, v114
	v_fmac_f32_e32 v115, 0x32a5705f, v109
	v_sub_f32_e32 v114, v114, v116
	v_add_f32_e32 v114, v114, v115
	v_cvt_i32_f32_e32 v115, v116
	v_exp_f32_e32 v114, v114
	v_ldexp_f32 v114, v114, v115
	v_cndmask_b32_e32 v114, 0, v114, vcc_lo
	v_cmp_nlt_f32_e32 vcc_lo, 0x42b17218, v109
	v_cndmask_b32_e32 v109, 0x7f800000, v114, vcc_lo
	v_sub_f32_e32 v114, v54, v3
	v_sub_f32_e32 v54, v113, v3
	v_fmac_f32_e32 v106, v107, v109
	v_cvt_f16_f32_e32 v107, v109
	v_cmp_ngt_f32_e32 vcc_lo, 0xc2ce8ed0, v54
	v_mul_u32_u24_sdwa v109, v107, v86 dst_sel:DWORD dst_unused:UNUSED_PAD src0_sel:WORD_0 src1_sel:DWORD
	v_mul_f32_e32 v107, 0x3fb8aa3b, v54
	v_fma_f32 v113, 0x3fb8aa3b, v54, -v107
	v_rndne_f32_e32 v115, v107
	v_fmac_f32_e32 v113, 0x32a5705f, v54
	v_sub_f32_e32 v107, v107, v115
	v_add_f32_e32 v107, v107, v113
	v_cvt_i32_f32_e32 v113, v115
	v_exp_f32_e32 v107, v107
	v_ldexp_f32 v107, v107, v113
	v_cndmask_b32_e32 v107, 0, v107, vcc_lo
	v_cmp_nlt_f32_e32 vcc_lo, 0x42b17218, v54
	v_cndmask_b32_e32 v54, 0x7f800000, v107, vcc_lo
	v_sub_f32_e32 v107, v111, v3
	v_cvt_f16_f32_e32 v113, v54
	v_mul_f32_e32 v111, 0x3fb8aa3b, v107
	v_cmp_ngt_f32_e32 vcc_lo, 0xc2ce8ed0, v107
	v_fma_f32 v115, 0x3fb8aa3b, v107, -v111
	v_rndne_f32_e32 v116, v111
	v_fmac_f32_e32 v115, 0x32a5705f, v107
	v_sub_f32_e32 v111, v111, v116
	v_add_f32_e32 v111, v111, v115
	v_cvt_i32_f32_e32 v115, v116
	v_exp_f32_e32 v111, v111
	v_ldexp_f32 v111, v111, v115
	v_cndmask_b32_e32 v111, 0, v111, vcc_lo
	v_cmp_nlt_f32_e32 vcc_lo, 0x42b17218, v107
	v_cndmask_b32_e32 v107, 0x7f800000, v111, vcc_lo
	v_add_f32_e32 v54, v54, v107
	v_cvt_f16_f32_e32 v115, v107
	v_sub_f32_e32 v107, v110, v3
	v_mul_f32_e32 v110, 0x3fb8aa3b, v107
	v_cmp_ngt_f32_e32 vcc_lo, 0xc2ce8ed0, v107
	v_fma_f32 v111, 0x3fb8aa3b, v107, -v110
	v_rndne_f32_e32 v116, v110
	v_fmac_f32_e32 v111, 0x32a5705f, v107
	v_sub_f32_e32 v110, v110, v116
	v_add_f32_e32 v110, v110, v111
	v_cvt_i32_f32_e32 v111, v116
	v_exp_f32_e32 v110, v110
	v_ldexp_f32 v110, v110, v111
	v_cndmask_b32_e32 v110, 0, v110, vcc_lo
	v_cmp_nlt_f32_e32 vcc_lo, 0x42b17218, v107
	v_cndmask_b32_e32 v107, 0x7f800000, v110, vcc_lo
	v_cmp_ngt_f32_e32 vcc_lo, 0xc2ce8ed0, v16
	v_add_f32_e32 v110, v107, v54
	v_cvt_f16_f32_e32 v54, v107
	v_mul_f32_e32 v107, 0x3fb8aa3b, v16
	v_fma_f32 v111, 0x3fb8aa3b, v16, -v107
	v_rndne_f32_e32 v116, v107
	v_fmac_f32_e32 v111, 0x32a5705f, v16
	v_sub_f32_e32 v107, v107, v116
	v_add_f32_e32 v107, v107, v111
	v_cvt_i32_f32_e32 v111, v116
	v_exp_f32_e32 v107, v107
	v_ldexp_f32 v107, v107, v111
	v_cndmask_b32_e32 v107, 0, v107, vcc_lo
	v_cmp_nlt_f32_e32 vcc_lo, 0x42b17218, v16
	v_cndmask_b32_e32 v16, 0x7f800000, v107, vcc_lo
	v_cmp_ngt_f32_e32 vcc_lo, 0xc2ce8ed0, v114
	v_add_f32_e32 v107, v16, v110
	v_mul_f32_e32 v110, 0x3fb8aa3b, v114
	v_cvt_f16_f32_e32 v16, v16
	v_fma_f32 v111, 0x3fb8aa3b, v114, -v110
	v_rndne_f32_e32 v116, v110
	v_fmac_f32_e32 v111, 0x32a5705f, v114
	v_sub_f32_e32 v110, v110, v116
	v_add_f32_e32 v110, v110, v111
	v_cvt_i32_f32_e32 v111, v116
	v_exp_f32_e32 v110, v110
	v_ldexp_f32 v110, v110, v111
	v_cndmask_b32_e32 v110, 0, v110, vcc_lo
	v_cmp_nlt_f32_e32 vcc_lo, 0x42b17218, v114
	v_cndmask_b32_e32 v110, 0x7f800000, v110, vcc_lo
	v_cmp_ngt_f32_e32 vcc_lo, 0xc2ce8ed0, v14
	v_fmac_f32_e32 v107, v53, v110
	v_cvt_f16_f32_e32 v53, v110
	v_mul_u32_u24_sdwa v110, v53, v86 dst_sel:DWORD dst_unused:UNUSED_PAD src0_sel:WORD_0 src1_sel:DWORD
	v_mul_f32_e32 v53, 0x3fb8aa3b, v14
	v_fma_f32 v111, 0x3fb8aa3b, v14, -v53
	v_rndne_f32_e32 v114, v53
	v_fmac_f32_e32 v111, 0x32a5705f, v14
	v_sub_f32_e32 v53, v53, v114
	v_add_f32_e32 v53, v53, v111
	v_cvt_i32_f32_e32 v111, v114
	v_exp_f32_e32 v53, v53
	v_ldexp_f32 v53, v53, v111
	v_mul_f32_e32 v111, 0x3fb8aa3b, v11
	v_cndmask_b32_e32 v53, 0, v53, vcc_lo
	v_fma_f32 v114, 0x3fb8aa3b, v11, -v111
	v_rndne_f32_e32 v116, v111
	v_cmp_nlt_f32_e32 vcc_lo, 0x42b17218, v14
	v_fmac_f32_e32 v114, 0x32a5705f, v11
	v_sub_f32_e32 v111, v111, v116
	v_cndmask_b32_e32 v14, 0x7f800000, v53, vcc_lo
	v_cmp_ngt_f32_e32 vcc_lo, 0xc2ce8ed0, v11
	v_add_f32_e32 v111, v111, v114
	v_cvt_i32_f32_e32 v114, v116
	v_cvt_f16_f32_e32 v53, v14
	v_exp_f32_e32 v111, v111
	v_ldexp_f32 v111, v111, v114
	v_cndmask_b32_e32 v111, 0, v111, vcc_lo
	v_cmp_nlt_f32_e32 vcc_lo, 0x42b17218, v11
	v_cndmask_b32_e32 v11, 0x7f800000, v111, vcc_lo
	v_mul_f32_e32 v111, 0x3fb8aa3b, v10
	v_cmp_ngt_f32_e32 vcc_lo, 0xc2ce8ed0, v10
	v_add_f32_e32 v14, v14, v11
	v_fma_f32 v114, 0x3fb8aa3b, v10, -v111
	v_rndne_f32_e32 v116, v111
	v_cvt_f16_f32_e32 v11, v11
	v_fmac_f32_e32 v114, 0x32a5705f, v10
	v_sub_f32_e32 v111, v111, v116
	v_add_f32_e32 v111, v111, v114
	v_cvt_i32_f32_e32 v114, v116
	v_exp_f32_e32 v111, v111
	v_ldexp_f32 v111, v111, v114
	v_cndmask_b32_e32 v111, 0, v111, vcc_lo
	v_cmp_nlt_f32_e32 vcc_lo, 0x42b17218, v10
	v_cndmask_b32_e32 v10, 0x7f800000, v111, vcc_lo
	v_cmp_ngt_f32_e32 vcc_lo, 0xc2ce8ed0, v8
	v_add_f32_e32 v14, v10, v14
	v_cvt_f16_f32_e32 v114, v10
	v_mul_f32_e32 v10, 0x3fb8aa3b, v8
	v_fma_f32 v111, 0x3fb8aa3b, v8, -v10
	v_rndne_f32_e32 v116, v10
	v_fmac_f32_e32 v111, 0x32a5705f, v8
	v_sub_f32_e32 v10, v10, v116
	v_add_f32_e32 v10, v10, v111
	v_cvt_i32_f32_e32 v111, v116
	v_exp_f32_e32 v10, v10
	v_ldexp_f32 v10, v10, v111
	v_cndmask_b32_e32 v10, 0, v10, vcc_lo
	v_cmp_nlt_f32_e32 vcc_lo, 0x42b17218, v8
	v_cndmask_b32_e32 v8, 0x7f800000, v10, vcc_lo
	v_cmp_ngt_f32_e32 vcc_lo, 0xc2ce8ed0, v52
	v_add_f32_e32 v10, v8, v14
	v_cvt_f16_f32_e32 v14, v8
	v_mul_f32_e32 v8, 0x3fb8aa3b, v52
	v_fma_f32 v111, 0x3fb8aa3b, v52, -v8
	v_rndne_f32_e32 v116, v8
	v_fmac_f32_e32 v111, 0x32a5705f, v52
	v_sub_f32_e32 v8, v8, v116
	v_add_f32_e32 v8, v8, v111
	v_cvt_i32_f32_e32 v111, v116
	v_exp_f32_e32 v8, v8
	v_ldexp_f32 v8, v8, v111
	v_cndmask_b32_e32 v8, 0, v8, vcc_lo
	v_cmp_nlt_f32_e32 vcc_lo, 0x42b17218, v52
	v_mov_b32_e32 v52, v73
	v_mov_b32_e32 v73, v10
	v_pack_b32_f16 v10, v113, v53
	v_cndmask_b32_e32 v8, 0x7f800000, v8, vcc_lo
	v_fmac_f32_e32 v73, v52, v8
	v_cvt_f16_f32_e32 v8, v8
	v_mul_u32_u24_sdwa v8, v8, v86 dst_sel:DWORD dst_unused:UNUSED_PAD src0_sel:WORD_0 src1_sel:DWORD
	v_pk_mul_f16 v111, v51, v8
	v_pack_b32_f16 v8, v115, v11
	ds_write2_b64 v85, v[9:10], v[7:8] offset1:32
	v_pack_b32_f16 v7, v54, v114
	v_pack_b32_f16 v9, v16, v14
	;; [unrolled: 1-line block ×3, first 2 shown]
	v_add_co_u32 v5, vcc_lo, s14, v35
	ds_write2_b64 v85, v[6:7], v[8:9] offset0:64 offset1:96
	v_add_co_ci_u32_e64 v6, null, s15, v36, vcc_lo
	v_add_co_u32 v53, vcc_lo, v5, v84
	v_add_co_ci_u32_e64 v54, null, 0, v6, vcc_lo
	v_add_co_u32 v5, vcc_lo, s14, v37
	v_add_co_ci_u32_e64 v6, null, s15, v38, vcc_lo
	global_load_dwordx4 v[112:115], v[53:54], off
	v_add_co_u32 v51, vcc_lo, v5, v84
	v_add_co_ci_u32_e64 v52, null, 0, v6, vcc_lo
	v_add_co_u32 v5, vcc_lo, s14, v39
	v_add_co_ci_u32_e64 v6, null, s15, v40, vcc_lo
	global_load_dwordx4 v[51:54], v[51:52], off
	v_add_co_u32 v15, vcc_lo, v5, v84
	v_add_co_ci_u32_e64 v16, null, 0, v6, vcc_lo
	v_add_co_u32 v5, vcc_lo, s14, v41
	v_add_co_ci_u32_e64 v6, null, s15, v42, vcc_lo
	;; [unrolled: 2-line block ×11, first 2 shown]
	s_waitcnt vmcnt(1)
	ds_write_b128 v75, v[112:115]
	s_waitcnt vmcnt(0)
	ds_write_b128 v77, v[51:54]
	s_clause 0x1
	global_load_dwordx4 v[51:54], v[15:16], off
	global_load_dwordx4 v[13:16], v[13:14], off
	s_waitcnt vmcnt(1)
	ds_write_b128 v78, v[51:54]
	s_waitcnt vmcnt(0)
	ds_write_b128 v79, v[13:16]
	global_load_dwordx4 v[11:14], v[11:12], off
	s_waitcnt vmcnt(0)
	ds_write_b128 v80, v[11:14]
	global_load_dwordx4 v[9:12], v[9:10], off
	;; [unrolled: 3-line block ×4, first 2 shown]
	s_waitcnt vmcnt(0)
	ds_write_b128 v83, v[5:8]
	s_waitcnt lgkmcnt(0)
	s_barrier
	buffer_gl0_inv
	ds_read2_b32 v[112:113], v61 offset1:32
	ds_read_b128 v[5:8], v76
	ds_read_b128 v[9:12], v76 offset:16
	ds_read_b128 v[13:16], v76 offset:32
	;; [unrolled: 1-line block ×3, first 2 shown]
	s_waitcnt lgkmcnt(3)
	v_mul_u32_u24_sdwa v114, v5, v86 dst_sel:DWORD dst_unused:UNUSED_PAD src0_sel:WORD_0 src1_sel:DWORD
	v_mul_u32_u24_sdwa v5, v5, v86 dst_sel:DWORD dst_unused:UNUSED_PAD src0_sel:WORD_1 src1_sel:DWORD
	v_mul_u32_u24_sdwa v115, v6, v86 dst_sel:DWORD dst_unused:UNUSED_PAD src0_sel:WORD_0 src1_sel:DWORD
	v_mul_u32_u24_sdwa v6, v6, v86 dst_sel:DWORD dst_unused:UNUSED_PAD src0_sel:WORD_1 src1_sel:DWORD
	v_pk_mul_f16 v114, v112, v114
	v_pk_mul_f16 v5, v112, v5
	v_pk_fma_f16 v6, v112, v6, v111
	v_pk_fma_f16 v104, v104, v108, v114
	;; [unrolled: 1-line block ×3, first 2 shown]
	v_pk_mul_f16 v103, v112, v115
	v_mul_u32_u24_sdwa v108, v8, v86 dst_sel:DWORD dst_unused:UNUSED_PAD src0_sel:WORD_0 src1_sel:DWORD
	v_mul_u32_u24_sdwa v8, v8, v86 dst_sel:DWORD dst_unused:UNUSED_PAD src0_sel:WORD_1 src1_sel:DWORD
	v_pk_fma_f16 v102, v102, v110, v103
	v_mul_u32_u24_sdwa v103, v7, v86 dst_sel:DWORD dst_unused:UNUSED_PAD src0_sel:WORD_0 src1_sel:DWORD
	v_mul_u32_u24_sdwa v7, v7, v86 dst_sel:DWORD dst_unused:UNUSED_PAD src0_sel:WORD_1 src1_sel:DWORD
	v_pk_fma_f16 v8, v113, v8, v6
	v_pk_fma_f16 v102, v113, v108, v102
	v_pk_fma_f16 v103, v113, v103, v104
	v_pk_fma_f16 v7, v113, v7, v5
	ds_read2_b32 v[5:6], v61 offset0:64 offset1:96
	s_waitcnt lgkmcnt(3)
	v_mul_u32_u24_sdwa v104, v9, v86 dst_sel:DWORD dst_unused:UNUSED_PAD src0_sel:WORD_0 src1_sel:DWORD
	v_mul_u32_u24_sdwa v9, v9, v86 dst_sel:DWORD dst_unused:UNUSED_PAD src0_sel:WORD_1 src1_sel:DWORD
	v_mul_u32_u24_sdwa v108, v10, v86 dst_sel:DWORD dst_unused:UNUSED_PAD src0_sel:WORD_0 src1_sel:DWORD
	v_mul_u32_u24_sdwa v10, v10, v86 dst_sel:DWORD dst_unused:UNUSED_PAD src0_sel:WORD_1 src1_sel:DWORD
	s_waitcnt lgkmcnt(0)
	v_pk_fma_f16 v103, v5, v104, v103
	v_pk_fma_f16 v7, v5, v9, v7
	;; [unrolled: 1-line block ×4, first 2 shown]
	v_mul_u32_u24_sdwa v8, v11, v86 dst_sel:DWORD dst_unused:UNUSED_PAD src0_sel:WORD_0 src1_sel:DWORD
	v_mul_u32_u24_sdwa v10, v11, v86 dst_sel:DWORD dst_unused:UNUSED_PAD src0_sel:WORD_1 src1_sel:DWORD
	v_mul_u32_u24_sdwa v11, v12, v86 dst_sel:DWORD dst_unused:UNUSED_PAD src0_sel:WORD_0 src1_sel:DWORD
	v_mul_u32_u24_sdwa v12, v12, v86 dst_sel:DWORD dst_unused:UNUSED_PAD src0_sel:WORD_1 src1_sel:DWORD
	v_pk_fma_f16 v8, v6, v8, v103
	v_pk_fma_f16 v7, v6, v10, v7
	;; [unrolled: 1-line block ×4, first 2 shown]
	ds_read2_b32 v[5:6], v61 offset0:128 offset1:160
	v_mul_u32_u24_sdwa v11, v13, v86 dst_sel:DWORD dst_unused:UNUSED_PAD src0_sel:WORD_0 src1_sel:DWORD
	v_mul_u32_u24_sdwa v12, v13, v86 dst_sel:DWORD dst_unused:UNUSED_PAD src0_sel:WORD_1 src1_sel:DWORD
	v_mul_u32_u24_sdwa v13, v14, v86 dst_sel:DWORD dst_unused:UNUSED_PAD src0_sel:WORD_0 src1_sel:DWORD
	v_mul_u32_u24_sdwa v14, v14, v86 dst_sel:DWORD dst_unused:UNUSED_PAD src0_sel:WORD_1 src1_sel:DWORD
	s_waitcnt lgkmcnt(0)
	v_pk_fma_f16 v8, v5, v11, v8
	v_pk_fma_f16 v7, v5, v12, v7
	;; [unrolled: 1-line block ×4, first 2 shown]
	v_mul_u32_u24_sdwa v10, v15, v86 dst_sel:DWORD dst_unused:UNUSED_PAD src0_sel:WORD_0 src1_sel:DWORD
	v_mul_u32_u24_sdwa v11, v15, v86 dst_sel:DWORD dst_unused:UNUSED_PAD src0_sel:WORD_1 src1_sel:DWORD
	v_mul_u32_u24_sdwa v12, v16, v86 dst_sel:DWORD dst_unused:UNUSED_PAD src0_sel:WORD_0 src1_sel:DWORD
	v_mul_u32_u24_sdwa v13, v16, v86 dst_sel:DWORD dst_unused:UNUSED_PAD src0_sel:WORD_1 src1_sel:DWORD
	v_mul_u32_u24_sdwa v14, v52, v86 dst_sel:DWORD dst_unused:UNUSED_PAD src0_sel:WORD_1 src1_sel:DWORD
	v_pk_fma_f16 v8, v6, v10, v8
	v_pk_fma_f16 v7, v6, v11, v7
	;; [unrolled: 1-line block ×4, first 2 shown]
	ds_read2_b32 v[5:6], v61 offset0:192 offset1:224
	v_mul_u32_u24_sdwa v11, v51, v86 dst_sel:DWORD dst_unused:UNUSED_PAD src0_sel:WORD_0 src1_sel:DWORD
	v_mul_u32_u24_sdwa v12, v51, v86 dst_sel:DWORD dst_unused:UNUSED_PAD src0_sel:WORD_1 src1_sel:DWORD
	v_mul_u32_u24_sdwa v13, v52, v86 dst_sel:DWORD dst_unused:UNUSED_PAD src0_sel:WORD_0 src1_sel:DWORD
	s_waitcnt lgkmcnt(0)
	v_pk_fma_f16 v8, v5, v11, v8
	v_pk_fma_f16 v7, v5, v12, v7
	;; [unrolled: 1-line block ×4, first 2 shown]
	v_mul_u32_u24_sdwa v10, v53, v86 dst_sel:DWORD dst_unused:UNUSED_PAD src0_sel:WORD_0 src1_sel:DWORD
	v_mul_u32_u24_sdwa v11, v53, v86 dst_sel:DWORD dst_unused:UNUSED_PAD src0_sel:WORD_1 src1_sel:DWORD
	v_mul_u32_u24_sdwa v12, v54, v86 dst_sel:DWORD dst_unused:UNUSED_PAD src0_sel:WORD_0 src1_sel:DWORD
	v_mul_u32_u24_sdwa v13, v54, v86 dst_sel:DWORD dst_unused:UNUSED_PAD src0_sel:WORD_1 src1_sel:DWORD
	v_pk_fma_f16 v14, v6, v10, v8
	v_pk_fma_f16 v11, v6, v11, v7
	v_pk_fma_f16 v12, v6, v12, v9
	v_pk_fma_f16 v13, v6, v13, v5
	ds_read2_b32 v[9:10], v87 offset1:32
	ds_read_b128 v[5:8], v76 offset:64
	s_waitcnt lgkmcnt(0)
	v_mul_u32_u24_sdwa v15, v5, v86 dst_sel:DWORD dst_unused:UNUSED_PAD src0_sel:WORD_0 src1_sel:DWORD
	v_mul_u32_u24_sdwa v5, v5, v86 dst_sel:DWORD dst_unused:UNUSED_PAD src0_sel:WORD_1 src1_sel:DWORD
	v_mul_u32_u24_sdwa v16, v6, v86 dst_sel:DWORD dst_unused:UNUSED_PAD src0_sel:WORD_0 src1_sel:DWORD
	v_mul_u32_u24_sdwa v6, v6, v86 dst_sel:DWORD dst_unused:UNUSED_PAD src0_sel:WORD_1 src1_sel:DWORD
	v_pk_fma_f16 v14, v9, v15, v14
	v_pk_fma_f16 v5, v9, v5, v11
	v_pk_fma_f16 v11, v9, v16, v12
	v_pk_fma_f16 v6, v9, v6, v13
	v_mul_u32_u24_sdwa v9, v7, v86 dst_sel:DWORD dst_unused:UNUSED_PAD src0_sel:WORD_0 src1_sel:DWORD
	v_mul_u32_u24_sdwa v7, v7, v86 dst_sel:DWORD dst_unused:UNUSED_PAD src0_sel:WORD_1 src1_sel:DWORD
	v_mul_u32_u24_sdwa v12, v8, v86 dst_sel:DWORD dst_unused:UNUSED_PAD src0_sel:WORD_0 src1_sel:DWORD
	v_mul_u32_u24_sdwa v8, v8, v86 dst_sel:DWORD dst_unused:UNUSED_PAD src0_sel:WORD_1 src1_sel:DWORD
	v_pk_fma_f16 v13, v10, v9, v14
	v_pk_fma_f16 v14, v10, v7, v5
	v_pk_fma_f16 v11, v10, v12, v11
	v_pk_fma_f16 v12, v10, v8, v6
	ds_read2_b32 v[9:10], v87 offset0:64 offset1:96
	ds_read_b128 v[5:8], v76 offset:80
	s_waitcnt lgkmcnt(0)
	v_mul_u32_u24_sdwa v15, v5, v86 dst_sel:DWORD dst_unused:UNUSED_PAD src0_sel:WORD_0 src1_sel:DWORD
	v_mul_u32_u24_sdwa v5, v5, v86 dst_sel:DWORD dst_unused:UNUSED_PAD src0_sel:WORD_1 src1_sel:DWORD
	v_mul_u32_u24_sdwa v16, v6, v86 dst_sel:DWORD dst_unused:UNUSED_PAD src0_sel:WORD_0 src1_sel:DWORD
	v_mul_u32_u24_sdwa v6, v6, v86 dst_sel:DWORD dst_unused:UNUSED_PAD src0_sel:WORD_1 src1_sel:DWORD
	v_pk_fma_f16 v13, v9, v15, v13
	v_pk_fma_f16 v5, v9, v5, v14
	v_pk_fma_f16 v11, v9, v16, v11
	v_pk_fma_f16 v6, v9, v6, v12
	v_mul_u32_u24_sdwa v9, v7, v86 dst_sel:DWORD dst_unused:UNUSED_PAD src0_sel:WORD_0 src1_sel:DWORD
	v_mul_u32_u24_sdwa v7, v7, v86 dst_sel:DWORD dst_unused:UNUSED_PAD src0_sel:WORD_1 src1_sel:DWORD
	v_mul_u32_u24_sdwa v12, v8, v86 dst_sel:DWORD dst_unused:UNUSED_PAD src0_sel:WORD_0 src1_sel:DWORD
	v_mul_u32_u24_sdwa v8, v8, v86 dst_sel:DWORD dst_unused:UNUSED_PAD src0_sel:WORD_1 src1_sel:DWORD
	v_pk_fma_f16 v13, v10, v9, v13
	v_pk_fma_f16 v14, v10, v7, v5
	v_pk_fma_f16 v11, v10, v12, v11
	v_pk_fma_f16 v12, v10, v8, v6
	ds_read2_b32 v[9:10], v87 offset0:128 offset1:160
	;; [unrolled: 19-line block ×3, first 2 shown]
	ds_read_b128 v[5:8], v76 offset:112
	s_waitcnt lgkmcnt(0)
	v_mul_u32_u24_sdwa v15, v5, v86 dst_sel:DWORD dst_unused:UNUSED_PAD src0_sel:WORD_0 src1_sel:DWORD
	v_mul_u32_u24_sdwa v5, v5, v86 dst_sel:DWORD dst_unused:UNUSED_PAD src0_sel:WORD_1 src1_sel:DWORD
	v_mul_u32_u24_sdwa v16, v6, v86 dst_sel:DWORD dst_unused:UNUSED_PAD src0_sel:WORD_0 src1_sel:DWORD
	v_mul_u32_u24_sdwa v6, v6, v86 dst_sel:DWORD dst_unused:UNUSED_PAD src0_sel:WORD_1 src1_sel:DWORD
	v_pk_fma_f16 v13, v9, v15, v13
	v_pk_fma_f16 v5, v9, v5, v14
	;; [unrolled: 1-line block ×4, first 2 shown]
	v_mul_u32_u24_sdwa v9, v7, v86 dst_sel:DWORD dst_unused:UNUSED_PAD src0_sel:WORD_0 src1_sel:DWORD
	v_mul_u32_u24_sdwa v7, v7, v86 dst_sel:DWORD dst_unused:UNUSED_PAD src0_sel:WORD_1 src1_sel:DWORD
	v_mul_u32_u24_sdwa v12, v8, v86 dst_sel:DWORD dst_unused:UNUSED_PAD src0_sel:WORD_0 src1_sel:DWORD
	v_mul_u32_u24_sdwa v8, v8, v86 dst_sel:DWORD dst_unused:UNUSED_PAD src0_sel:WORD_1 src1_sel:DWORD
	v_pk_fma_f16 v13, v10, v9, v13
	v_pk_fma_f16 v14, v10, v7, v5
	v_pk_fma_f16 v11, v10, v12, v11
	v_pk_fma_f16 v12, v10, v8, v6
	ds_read2_b32 v[9:10], v88 offset1:32
	ds_read_b128 v[5:8], v76 offset:128
	s_waitcnt lgkmcnt(0)
	v_mul_u32_u24_sdwa v15, v5, v86 dst_sel:DWORD dst_unused:UNUSED_PAD src0_sel:WORD_0 src1_sel:DWORD
	v_mul_u32_u24_sdwa v5, v5, v86 dst_sel:DWORD dst_unused:UNUSED_PAD src0_sel:WORD_1 src1_sel:DWORD
	v_mul_u32_u24_sdwa v16, v6, v86 dst_sel:DWORD dst_unused:UNUSED_PAD src0_sel:WORD_0 src1_sel:DWORD
	v_mul_u32_u24_sdwa v6, v6, v86 dst_sel:DWORD dst_unused:UNUSED_PAD src0_sel:WORD_1 src1_sel:DWORD
	v_pk_fma_f16 v13, v9, v15, v13
	v_pk_fma_f16 v5, v9, v5, v14
	v_pk_fma_f16 v11, v9, v16, v11
	v_pk_fma_f16 v6, v9, v6, v12
	v_mul_u32_u24_sdwa v9, v7, v86 dst_sel:DWORD dst_unused:UNUSED_PAD src0_sel:WORD_0 src1_sel:DWORD
	v_mul_u32_u24_sdwa v7, v7, v86 dst_sel:DWORD dst_unused:UNUSED_PAD src0_sel:WORD_1 src1_sel:DWORD
	v_mul_u32_u24_sdwa v12, v8, v86 dst_sel:DWORD dst_unused:UNUSED_PAD src0_sel:WORD_0 src1_sel:DWORD
	v_mul_u32_u24_sdwa v8, v8, v86 dst_sel:DWORD dst_unused:UNUSED_PAD src0_sel:WORD_1 src1_sel:DWORD
	v_pk_fma_f16 v13, v10, v9, v13
	v_pk_fma_f16 v14, v10, v7, v5
	v_pk_fma_f16 v11, v10, v12, v11
	v_pk_fma_f16 v12, v10, v8, v6
	ds_read2_b32 v[9:10], v88 offset0:64 offset1:96
	ds_read_b128 v[5:8], v76 offset:144
	s_waitcnt lgkmcnt(0)
	v_mul_u32_u24_sdwa v15, v5, v86 dst_sel:DWORD dst_unused:UNUSED_PAD src0_sel:WORD_0 src1_sel:DWORD
	v_mul_u32_u24_sdwa v5, v5, v86 dst_sel:DWORD dst_unused:UNUSED_PAD src0_sel:WORD_1 src1_sel:DWORD
	v_mul_u32_u24_sdwa v16, v6, v86 dst_sel:DWORD dst_unused:UNUSED_PAD src0_sel:WORD_0 src1_sel:DWORD
	v_mul_u32_u24_sdwa v6, v6, v86 dst_sel:DWORD dst_unused:UNUSED_PAD src0_sel:WORD_1 src1_sel:DWORD
	v_pk_fma_f16 v13, v9, v15, v13
	v_pk_fma_f16 v5, v9, v5, v14
	v_pk_fma_f16 v11, v9, v16, v11
	v_pk_fma_f16 v6, v9, v6, v12
	v_mul_u32_u24_sdwa v9, v7, v86 dst_sel:DWORD dst_unused:UNUSED_PAD src0_sel:WORD_0 src1_sel:DWORD
	v_mul_u32_u24_sdwa v7, v7, v86 dst_sel:DWORD dst_unused:UNUSED_PAD src0_sel:WORD_1 src1_sel:DWORD
	v_mul_u32_u24_sdwa v12, v8, v86 dst_sel:DWORD dst_unused:UNUSED_PAD src0_sel:WORD_0 src1_sel:DWORD
	v_mul_u32_u24_sdwa v8, v8, v86 dst_sel:DWORD dst_unused:UNUSED_PAD src0_sel:WORD_1 src1_sel:DWORD
	v_pk_fma_f16 v13, v10, v9, v13
	v_pk_fma_f16 v14, v10, v7, v5
	v_pk_fma_f16 v11, v10, v12, v11
	v_pk_fma_f16 v12, v10, v8, v6
	ds_read2_b32 v[9:10], v88 offset0:128 offset1:160
	;; [unrolled: 19-line block ×3, first 2 shown]
	ds_read_b128 v[5:8], v76 offset:176
	s_waitcnt lgkmcnt(0)
	v_mul_u32_u24_sdwa v15, v5, v86 dst_sel:DWORD dst_unused:UNUSED_PAD src0_sel:WORD_0 src1_sel:DWORD
	v_mul_u32_u24_sdwa v5, v5, v86 dst_sel:DWORD dst_unused:UNUSED_PAD src0_sel:WORD_1 src1_sel:DWORD
	v_mul_u32_u24_sdwa v16, v6, v86 dst_sel:DWORD dst_unused:UNUSED_PAD src0_sel:WORD_0 src1_sel:DWORD
	v_mul_u32_u24_sdwa v6, v6, v86 dst_sel:DWORD dst_unused:UNUSED_PAD src0_sel:WORD_1 src1_sel:DWORD
	v_pk_fma_f16 v13, v9, v15, v13
	v_pk_fma_f16 v5, v9, v5, v14
	;; [unrolled: 1-line block ×4, first 2 shown]
	v_mul_u32_u24_sdwa v9, v7, v86 dst_sel:DWORD dst_unused:UNUSED_PAD src0_sel:WORD_0 src1_sel:DWORD
	v_mul_u32_u24_sdwa v7, v7, v86 dst_sel:DWORD dst_unused:UNUSED_PAD src0_sel:WORD_1 src1_sel:DWORD
	v_mul_u32_u24_sdwa v12, v8, v86 dst_sel:DWORD dst_unused:UNUSED_PAD src0_sel:WORD_0 src1_sel:DWORD
	v_mul_u32_u24_sdwa v8, v8, v86 dst_sel:DWORD dst_unused:UNUSED_PAD src0_sel:WORD_1 src1_sel:DWORD
	v_pk_fma_f16 v13, v10, v9, v13
	v_pk_fma_f16 v14, v10, v7, v5
	;; [unrolled: 1-line block ×4, first 2 shown]
	ds_read2_b32 v[9:10], v89 offset1:32
	ds_read_b128 v[5:8], v76 offset:192
	s_waitcnt lgkmcnt(0)
	v_mul_u32_u24_sdwa v15, v5, v86 dst_sel:DWORD dst_unused:UNUSED_PAD src0_sel:WORD_0 src1_sel:DWORD
	v_mul_u32_u24_sdwa v5, v5, v86 dst_sel:DWORD dst_unused:UNUSED_PAD src0_sel:WORD_1 src1_sel:DWORD
	v_mul_u32_u24_sdwa v16, v6, v86 dst_sel:DWORD dst_unused:UNUSED_PAD src0_sel:WORD_0 src1_sel:DWORD
	v_mul_u32_u24_sdwa v6, v6, v86 dst_sel:DWORD dst_unused:UNUSED_PAD src0_sel:WORD_1 src1_sel:DWORD
	v_pk_fma_f16 v13, v9, v15, v13
	v_pk_fma_f16 v5, v9, v5, v14
	v_pk_fma_f16 v11, v9, v16, v11
	v_pk_fma_f16 v6, v9, v6, v12
	v_mul_u32_u24_sdwa v9, v7, v86 dst_sel:DWORD dst_unused:UNUSED_PAD src0_sel:WORD_0 src1_sel:DWORD
	v_mul_u32_u24_sdwa v7, v7, v86 dst_sel:DWORD dst_unused:UNUSED_PAD src0_sel:WORD_1 src1_sel:DWORD
	v_mul_u32_u24_sdwa v12, v8, v86 dst_sel:DWORD dst_unused:UNUSED_PAD src0_sel:WORD_0 src1_sel:DWORD
	v_mul_u32_u24_sdwa v8, v8, v86 dst_sel:DWORD dst_unused:UNUSED_PAD src0_sel:WORD_1 src1_sel:DWORD
	v_pk_fma_f16 v13, v10, v9, v13
	v_pk_fma_f16 v14, v10, v7, v5
	v_pk_fma_f16 v11, v10, v12, v11
	v_pk_fma_f16 v12, v10, v8, v6
	ds_read2_b32 v[9:10], v89 offset0:64 offset1:96
	ds_read_b128 v[5:8], v76 offset:208
	s_waitcnt lgkmcnt(0)
	v_mul_u32_u24_sdwa v15, v5, v86 dst_sel:DWORD dst_unused:UNUSED_PAD src0_sel:WORD_0 src1_sel:DWORD
	v_mul_u32_u24_sdwa v5, v5, v86 dst_sel:DWORD dst_unused:UNUSED_PAD src0_sel:WORD_1 src1_sel:DWORD
	v_mul_u32_u24_sdwa v16, v6, v86 dst_sel:DWORD dst_unused:UNUSED_PAD src0_sel:WORD_0 src1_sel:DWORD
	v_mul_u32_u24_sdwa v6, v6, v86 dst_sel:DWORD dst_unused:UNUSED_PAD src0_sel:WORD_1 src1_sel:DWORD
	v_pk_fma_f16 v13, v9, v15, v13
	v_pk_fma_f16 v5, v9, v5, v14
	v_pk_fma_f16 v11, v9, v16, v11
	v_pk_fma_f16 v6, v9, v6, v12
	v_mul_u32_u24_sdwa v9, v7, v86 dst_sel:DWORD dst_unused:UNUSED_PAD src0_sel:WORD_0 src1_sel:DWORD
	v_mul_u32_u24_sdwa v7, v7, v86 dst_sel:DWORD dst_unused:UNUSED_PAD src0_sel:WORD_1 src1_sel:DWORD
	v_mul_u32_u24_sdwa v12, v8, v86 dst_sel:DWORD dst_unused:UNUSED_PAD src0_sel:WORD_0 src1_sel:DWORD
	v_mul_u32_u24_sdwa v8, v8, v86 dst_sel:DWORD dst_unused:UNUSED_PAD src0_sel:WORD_1 src1_sel:DWORD
	v_pk_fma_f16 v13, v10, v9, v13
	v_pk_fma_f16 v14, v10, v7, v5
	v_pk_fma_f16 v11, v10, v12, v11
	v_pk_fma_f16 v12, v10, v8, v6
	ds_read2_b32 v[9:10], v89 offset0:128 offset1:160
	;; [unrolled: 19-line block ×3, first 2 shown]
	ds_read_b128 v[5:8], v76 offset:240
	s_waitcnt lgkmcnt(0)
	v_mul_u32_u24_sdwa v15, v5, v86 dst_sel:DWORD dst_unused:UNUSED_PAD src0_sel:WORD_0 src1_sel:DWORD
	v_mul_u32_u24_sdwa v5, v5, v86 dst_sel:DWORD dst_unused:UNUSED_PAD src0_sel:WORD_1 src1_sel:DWORD
	v_mul_u32_u24_sdwa v16, v6, v86 dst_sel:DWORD dst_unused:UNUSED_PAD src0_sel:WORD_0 src1_sel:DWORD
	v_mul_u32_u24_sdwa v6, v6, v86 dst_sel:DWORD dst_unused:UNUSED_PAD src0_sel:WORD_1 src1_sel:DWORD
	v_pk_fma_f16 v13, v9, v15, v13
	v_pk_fma_f16 v5, v9, v5, v14
	;; [unrolled: 1-line block ×4, first 2 shown]
	v_mul_u32_u24_sdwa v9, v7, v86 dst_sel:DWORD dst_unused:UNUSED_PAD src0_sel:WORD_0 src1_sel:DWORD
	v_mul_u32_u24_sdwa v7, v7, v86 dst_sel:DWORD dst_unused:UNUSED_PAD src0_sel:WORD_1 src1_sel:DWORD
	v_mul_u32_u24_sdwa v12, v8, v86 dst_sel:DWORD dst_unused:UNUSED_PAD src0_sel:WORD_0 src1_sel:DWORD
	v_mul_u32_u24_sdwa v8, v8, v86 dst_sel:DWORD dst_unused:UNUSED_PAD src0_sel:WORD_1 src1_sel:DWORD
	v_pk_fma_f16 v13, v10, v9, v13
	v_pk_fma_f16 v14, v10, v7, v5
	;; [unrolled: 1-line block ×4, first 2 shown]
	ds_read2_b32 v[9:10], v90 offset1:32
	ds_read_b128 v[5:8], v76 offset:256
	s_waitcnt lgkmcnt(0)
	v_mul_u32_u24_sdwa v15, v5, v86 dst_sel:DWORD dst_unused:UNUSED_PAD src0_sel:WORD_0 src1_sel:DWORD
	v_mul_u32_u24_sdwa v5, v5, v86 dst_sel:DWORD dst_unused:UNUSED_PAD src0_sel:WORD_1 src1_sel:DWORD
	v_mul_u32_u24_sdwa v16, v6, v86 dst_sel:DWORD dst_unused:UNUSED_PAD src0_sel:WORD_0 src1_sel:DWORD
	v_mul_u32_u24_sdwa v6, v6, v86 dst_sel:DWORD dst_unused:UNUSED_PAD src0_sel:WORD_1 src1_sel:DWORD
	v_pk_fma_f16 v13, v9, v15, v13
	v_pk_fma_f16 v5, v9, v5, v14
	v_pk_fma_f16 v11, v9, v16, v11
	v_pk_fma_f16 v6, v9, v6, v12
	v_mul_u32_u24_sdwa v9, v7, v86 dst_sel:DWORD dst_unused:UNUSED_PAD src0_sel:WORD_0 src1_sel:DWORD
	v_mul_u32_u24_sdwa v7, v7, v86 dst_sel:DWORD dst_unused:UNUSED_PAD src0_sel:WORD_1 src1_sel:DWORD
	v_mul_u32_u24_sdwa v12, v8, v86 dst_sel:DWORD dst_unused:UNUSED_PAD src0_sel:WORD_0 src1_sel:DWORD
	v_mul_u32_u24_sdwa v8, v8, v86 dst_sel:DWORD dst_unused:UNUSED_PAD src0_sel:WORD_1 src1_sel:DWORD
	v_pk_fma_f16 v13, v10, v9, v13
	v_pk_fma_f16 v14, v10, v7, v5
	v_pk_fma_f16 v11, v10, v12, v11
	v_pk_fma_f16 v12, v10, v8, v6
	ds_read2_b32 v[9:10], v90 offset0:64 offset1:96
	ds_read_b128 v[5:8], v76 offset:272
	s_waitcnt lgkmcnt(0)
	v_mul_u32_u24_sdwa v15, v5, v86 dst_sel:DWORD dst_unused:UNUSED_PAD src0_sel:WORD_0 src1_sel:DWORD
	v_mul_u32_u24_sdwa v5, v5, v86 dst_sel:DWORD dst_unused:UNUSED_PAD src0_sel:WORD_1 src1_sel:DWORD
	v_mul_u32_u24_sdwa v16, v6, v86 dst_sel:DWORD dst_unused:UNUSED_PAD src0_sel:WORD_0 src1_sel:DWORD
	v_mul_u32_u24_sdwa v6, v6, v86 dst_sel:DWORD dst_unused:UNUSED_PAD src0_sel:WORD_1 src1_sel:DWORD
	v_pk_fma_f16 v13, v9, v15, v13
	v_pk_fma_f16 v5, v9, v5, v14
	v_pk_fma_f16 v11, v9, v16, v11
	v_pk_fma_f16 v6, v9, v6, v12
	v_mul_u32_u24_sdwa v9, v7, v86 dst_sel:DWORD dst_unused:UNUSED_PAD src0_sel:WORD_0 src1_sel:DWORD
	v_mul_u32_u24_sdwa v7, v7, v86 dst_sel:DWORD dst_unused:UNUSED_PAD src0_sel:WORD_1 src1_sel:DWORD
	v_mul_u32_u24_sdwa v12, v8, v86 dst_sel:DWORD dst_unused:UNUSED_PAD src0_sel:WORD_0 src1_sel:DWORD
	v_mul_u32_u24_sdwa v8, v8, v86 dst_sel:DWORD dst_unused:UNUSED_PAD src0_sel:WORD_1 src1_sel:DWORD
	v_pk_fma_f16 v13, v10, v9, v13
	v_pk_fma_f16 v14, v10, v7, v5
	v_pk_fma_f16 v11, v10, v12, v11
	v_pk_fma_f16 v12, v10, v8, v6
	ds_read2_b32 v[9:10], v90 offset0:128 offset1:160
	;; [unrolled: 19-line block ×3, first 2 shown]
	ds_read_b128 v[5:8], v76 offset:304
	s_waitcnt lgkmcnt(0)
	v_mul_u32_u24_sdwa v15, v5, v86 dst_sel:DWORD dst_unused:UNUSED_PAD src0_sel:WORD_0 src1_sel:DWORD
	v_mul_u32_u24_sdwa v5, v5, v86 dst_sel:DWORD dst_unused:UNUSED_PAD src0_sel:WORD_1 src1_sel:DWORD
	v_mul_u32_u24_sdwa v16, v6, v86 dst_sel:DWORD dst_unused:UNUSED_PAD src0_sel:WORD_0 src1_sel:DWORD
	v_mul_u32_u24_sdwa v6, v6, v86 dst_sel:DWORD dst_unused:UNUSED_PAD src0_sel:WORD_1 src1_sel:DWORD
	v_pk_fma_f16 v13, v9, v15, v13
	v_pk_fma_f16 v5, v9, v5, v14
	;; [unrolled: 1-line block ×4, first 2 shown]
	v_mul_u32_u24_sdwa v9, v7, v86 dst_sel:DWORD dst_unused:UNUSED_PAD src0_sel:WORD_0 src1_sel:DWORD
	v_mul_u32_u24_sdwa v7, v7, v86 dst_sel:DWORD dst_unused:UNUSED_PAD src0_sel:WORD_1 src1_sel:DWORD
	v_mul_u32_u24_sdwa v12, v8, v86 dst_sel:DWORD dst_unused:UNUSED_PAD src0_sel:WORD_0 src1_sel:DWORD
	v_mul_u32_u24_sdwa v8, v8, v86 dst_sel:DWORD dst_unused:UNUSED_PAD src0_sel:WORD_1 src1_sel:DWORD
	v_pk_fma_f16 v13, v10, v9, v13
	v_pk_fma_f16 v14, v10, v7, v5
	;; [unrolled: 1-line block ×4, first 2 shown]
	ds_read2_b32 v[9:10], v91 offset1:32
	ds_read_b128 v[5:8], v76 offset:320
	s_waitcnt lgkmcnt(0)
	v_mul_u32_u24_sdwa v15, v5, v86 dst_sel:DWORD dst_unused:UNUSED_PAD src0_sel:WORD_0 src1_sel:DWORD
	v_mul_u32_u24_sdwa v5, v5, v86 dst_sel:DWORD dst_unused:UNUSED_PAD src0_sel:WORD_1 src1_sel:DWORD
	v_mul_u32_u24_sdwa v16, v6, v86 dst_sel:DWORD dst_unused:UNUSED_PAD src0_sel:WORD_0 src1_sel:DWORD
	v_mul_u32_u24_sdwa v6, v6, v86 dst_sel:DWORD dst_unused:UNUSED_PAD src0_sel:WORD_1 src1_sel:DWORD
	v_pk_fma_f16 v13, v9, v15, v13
	v_pk_fma_f16 v5, v9, v5, v14
	v_pk_fma_f16 v11, v9, v16, v11
	v_pk_fma_f16 v6, v9, v6, v12
	v_mul_u32_u24_sdwa v9, v7, v86 dst_sel:DWORD dst_unused:UNUSED_PAD src0_sel:WORD_0 src1_sel:DWORD
	v_mul_u32_u24_sdwa v7, v7, v86 dst_sel:DWORD dst_unused:UNUSED_PAD src0_sel:WORD_1 src1_sel:DWORD
	v_mul_u32_u24_sdwa v12, v8, v86 dst_sel:DWORD dst_unused:UNUSED_PAD src0_sel:WORD_0 src1_sel:DWORD
	v_mul_u32_u24_sdwa v8, v8, v86 dst_sel:DWORD dst_unused:UNUSED_PAD src0_sel:WORD_1 src1_sel:DWORD
	v_pk_fma_f16 v13, v10, v9, v13
	v_pk_fma_f16 v14, v10, v7, v5
	v_pk_fma_f16 v11, v10, v12, v11
	v_pk_fma_f16 v12, v10, v8, v6
	ds_read2_b32 v[9:10], v91 offset0:64 offset1:96
	ds_read_b128 v[5:8], v76 offset:336
	s_waitcnt lgkmcnt(0)
	v_mul_u32_u24_sdwa v15, v5, v86 dst_sel:DWORD dst_unused:UNUSED_PAD src0_sel:WORD_0 src1_sel:DWORD
	v_mul_u32_u24_sdwa v5, v5, v86 dst_sel:DWORD dst_unused:UNUSED_PAD src0_sel:WORD_1 src1_sel:DWORD
	v_mul_u32_u24_sdwa v16, v6, v86 dst_sel:DWORD dst_unused:UNUSED_PAD src0_sel:WORD_0 src1_sel:DWORD
	v_mul_u32_u24_sdwa v6, v6, v86 dst_sel:DWORD dst_unused:UNUSED_PAD src0_sel:WORD_1 src1_sel:DWORD
	v_pk_fma_f16 v13, v9, v15, v13
	v_pk_fma_f16 v5, v9, v5, v14
	v_pk_fma_f16 v11, v9, v16, v11
	v_pk_fma_f16 v6, v9, v6, v12
	v_mul_u32_u24_sdwa v9, v7, v86 dst_sel:DWORD dst_unused:UNUSED_PAD src0_sel:WORD_0 src1_sel:DWORD
	v_mul_u32_u24_sdwa v7, v7, v86 dst_sel:DWORD dst_unused:UNUSED_PAD src0_sel:WORD_1 src1_sel:DWORD
	v_mul_u32_u24_sdwa v12, v8, v86 dst_sel:DWORD dst_unused:UNUSED_PAD src0_sel:WORD_0 src1_sel:DWORD
	v_mul_u32_u24_sdwa v8, v8, v86 dst_sel:DWORD dst_unused:UNUSED_PAD src0_sel:WORD_1 src1_sel:DWORD
	v_pk_fma_f16 v13, v10, v9, v13
	v_pk_fma_f16 v14, v10, v7, v5
	v_pk_fma_f16 v11, v10, v12, v11
	v_pk_fma_f16 v12, v10, v8, v6
	ds_read2_b32 v[9:10], v91 offset0:128 offset1:160
	;; [unrolled: 19-line block ×3, first 2 shown]
	ds_read_b128 v[5:8], v76 offset:368
	s_waitcnt lgkmcnt(0)
	v_mul_u32_u24_sdwa v15, v5, v86 dst_sel:DWORD dst_unused:UNUSED_PAD src0_sel:WORD_0 src1_sel:DWORD
	v_mul_u32_u24_sdwa v5, v5, v86 dst_sel:DWORD dst_unused:UNUSED_PAD src0_sel:WORD_1 src1_sel:DWORD
	v_mul_u32_u24_sdwa v16, v6, v86 dst_sel:DWORD dst_unused:UNUSED_PAD src0_sel:WORD_0 src1_sel:DWORD
	v_mul_u32_u24_sdwa v6, v6, v86 dst_sel:DWORD dst_unused:UNUSED_PAD src0_sel:WORD_1 src1_sel:DWORD
	v_pk_fma_f16 v13, v9, v15, v13
	v_pk_fma_f16 v5, v9, v5, v14
	;; [unrolled: 1-line block ×4, first 2 shown]
	v_mul_u32_u24_sdwa v9, v7, v86 dst_sel:DWORD dst_unused:UNUSED_PAD src0_sel:WORD_0 src1_sel:DWORD
	v_mul_u32_u24_sdwa v7, v7, v86 dst_sel:DWORD dst_unused:UNUSED_PAD src0_sel:WORD_1 src1_sel:DWORD
	v_mul_u32_u24_sdwa v12, v8, v86 dst_sel:DWORD dst_unused:UNUSED_PAD src0_sel:WORD_0 src1_sel:DWORD
	v_mul_u32_u24_sdwa v8, v8, v86 dst_sel:DWORD dst_unused:UNUSED_PAD src0_sel:WORD_1 src1_sel:DWORD
	v_pk_fma_f16 v13, v10, v9, v13
	v_pk_fma_f16 v14, v10, v7, v5
	;; [unrolled: 1-line block ×4, first 2 shown]
	ds_read2_b32 v[9:10], v92 offset1:32
	ds_read_b128 v[5:8], v76 offset:384
	s_waitcnt lgkmcnt(0)
	v_mul_u32_u24_sdwa v15, v5, v86 dst_sel:DWORD dst_unused:UNUSED_PAD src0_sel:WORD_0 src1_sel:DWORD
	v_mul_u32_u24_sdwa v5, v5, v86 dst_sel:DWORD dst_unused:UNUSED_PAD src0_sel:WORD_1 src1_sel:DWORD
	v_mul_u32_u24_sdwa v16, v6, v86 dst_sel:DWORD dst_unused:UNUSED_PAD src0_sel:WORD_0 src1_sel:DWORD
	v_mul_u32_u24_sdwa v6, v6, v86 dst_sel:DWORD dst_unused:UNUSED_PAD src0_sel:WORD_1 src1_sel:DWORD
	v_pk_fma_f16 v13, v9, v15, v13
	v_pk_fma_f16 v5, v9, v5, v14
	v_pk_fma_f16 v11, v9, v16, v11
	v_pk_fma_f16 v6, v9, v6, v12
	v_mul_u32_u24_sdwa v9, v7, v86 dst_sel:DWORD dst_unused:UNUSED_PAD src0_sel:WORD_0 src1_sel:DWORD
	v_mul_u32_u24_sdwa v7, v7, v86 dst_sel:DWORD dst_unused:UNUSED_PAD src0_sel:WORD_1 src1_sel:DWORD
	v_mul_u32_u24_sdwa v12, v8, v86 dst_sel:DWORD dst_unused:UNUSED_PAD src0_sel:WORD_0 src1_sel:DWORD
	v_mul_u32_u24_sdwa v8, v8, v86 dst_sel:DWORD dst_unused:UNUSED_PAD src0_sel:WORD_1 src1_sel:DWORD
	v_pk_fma_f16 v13, v10, v9, v13
	v_pk_fma_f16 v14, v10, v7, v5
	v_pk_fma_f16 v11, v10, v12, v11
	v_pk_fma_f16 v12, v10, v8, v6
	ds_read2_b32 v[9:10], v92 offset0:64 offset1:96
	ds_read_b128 v[5:8], v76 offset:400
	s_waitcnt lgkmcnt(0)
	v_mul_u32_u24_sdwa v15, v5, v86 dst_sel:DWORD dst_unused:UNUSED_PAD src0_sel:WORD_0 src1_sel:DWORD
	v_mul_u32_u24_sdwa v5, v5, v86 dst_sel:DWORD dst_unused:UNUSED_PAD src0_sel:WORD_1 src1_sel:DWORD
	v_mul_u32_u24_sdwa v16, v6, v86 dst_sel:DWORD dst_unused:UNUSED_PAD src0_sel:WORD_0 src1_sel:DWORD
	v_mul_u32_u24_sdwa v6, v6, v86 dst_sel:DWORD dst_unused:UNUSED_PAD src0_sel:WORD_1 src1_sel:DWORD
	v_pk_fma_f16 v13, v9, v15, v13
	v_pk_fma_f16 v5, v9, v5, v14
	v_pk_fma_f16 v11, v9, v16, v11
	v_pk_fma_f16 v6, v9, v6, v12
	v_mul_u32_u24_sdwa v9, v7, v86 dst_sel:DWORD dst_unused:UNUSED_PAD src0_sel:WORD_0 src1_sel:DWORD
	v_mul_u32_u24_sdwa v7, v7, v86 dst_sel:DWORD dst_unused:UNUSED_PAD src0_sel:WORD_1 src1_sel:DWORD
	v_mul_u32_u24_sdwa v12, v8, v86 dst_sel:DWORD dst_unused:UNUSED_PAD src0_sel:WORD_0 src1_sel:DWORD
	v_mul_u32_u24_sdwa v8, v8, v86 dst_sel:DWORD dst_unused:UNUSED_PAD src0_sel:WORD_1 src1_sel:DWORD
	v_pk_fma_f16 v13, v10, v9, v13
	v_pk_fma_f16 v14, v10, v7, v5
	v_pk_fma_f16 v11, v10, v12, v11
	v_pk_fma_f16 v12, v10, v8, v6
	ds_read2_b32 v[9:10], v92 offset0:128 offset1:160
	;; [unrolled: 19-line block ×3, first 2 shown]
	ds_read_b128 v[5:8], v76 offset:432
	s_waitcnt lgkmcnt(0)
	v_mul_u32_u24_sdwa v15, v5, v86 dst_sel:DWORD dst_unused:UNUSED_PAD src0_sel:WORD_0 src1_sel:DWORD
	v_mul_u32_u24_sdwa v5, v5, v86 dst_sel:DWORD dst_unused:UNUSED_PAD src0_sel:WORD_1 src1_sel:DWORD
	v_mul_u32_u24_sdwa v16, v6, v86 dst_sel:DWORD dst_unused:UNUSED_PAD src0_sel:WORD_0 src1_sel:DWORD
	v_mul_u32_u24_sdwa v6, v6, v86 dst_sel:DWORD dst_unused:UNUSED_PAD src0_sel:WORD_1 src1_sel:DWORD
	v_pk_fma_f16 v13, v9, v15, v13
	v_pk_fma_f16 v5, v9, v5, v14
	;; [unrolled: 1-line block ×4, first 2 shown]
	v_mul_u32_u24_sdwa v9, v7, v86 dst_sel:DWORD dst_unused:UNUSED_PAD src0_sel:WORD_0 src1_sel:DWORD
	v_mul_u32_u24_sdwa v7, v7, v86 dst_sel:DWORD dst_unused:UNUSED_PAD src0_sel:WORD_1 src1_sel:DWORD
	v_mul_u32_u24_sdwa v12, v8, v86 dst_sel:DWORD dst_unused:UNUSED_PAD src0_sel:WORD_0 src1_sel:DWORD
	v_mul_u32_u24_sdwa v8, v8, v86 dst_sel:DWORD dst_unused:UNUSED_PAD src0_sel:WORD_1 src1_sel:DWORD
	v_pk_fma_f16 v13, v10, v9, v13
	v_pk_fma_f16 v14, v10, v7, v5
	;; [unrolled: 1-line block ×4, first 2 shown]
	ds_read2_b32 v[9:10], v93 offset1:32
	ds_read_b128 v[5:8], v76 offset:448
	s_waitcnt lgkmcnt(0)
	v_mul_u32_u24_sdwa v15, v5, v86 dst_sel:DWORD dst_unused:UNUSED_PAD src0_sel:WORD_0 src1_sel:DWORD
	v_mul_u32_u24_sdwa v5, v5, v86 dst_sel:DWORD dst_unused:UNUSED_PAD src0_sel:WORD_1 src1_sel:DWORD
	v_mul_u32_u24_sdwa v16, v6, v86 dst_sel:DWORD dst_unused:UNUSED_PAD src0_sel:WORD_0 src1_sel:DWORD
	v_mul_u32_u24_sdwa v6, v6, v86 dst_sel:DWORD dst_unused:UNUSED_PAD src0_sel:WORD_1 src1_sel:DWORD
	v_pk_fma_f16 v13, v9, v15, v13
	v_pk_fma_f16 v5, v9, v5, v14
	v_pk_fma_f16 v11, v9, v16, v11
	v_pk_fma_f16 v6, v9, v6, v12
	v_mul_u32_u24_sdwa v9, v7, v86 dst_sel:DWORD dst_unused:UNUSED_PAD src0_sel:WORD_0 src1_sel:DWORD
	v_mul_u32_u24_sdwa v7, v7, v86 dst_sel:DWORD dst_unused:UNUSED_PAD src0_sel:WORD_1 src1_sel:DWORD
	v_mul_u32_u24_sdwa v12, v8, v86 dst_sel:DWORD dst_unused:UNUSED_PAD src0_sel:WORD_0 src1_sel:DWORD
	v_mul_u32_u24_sdwa v8, v8, v86 dst_sel:DWORD dst_unused:UNUSED_PAD src0_sel:WORD_1 src1_sel:DWORD
	v_pk_fma_f16 v13, v10, v9, v13
	v_pk_fma_f16 v14, v10, v7, v5
	v_pk_fma_f16 v11, v10, v12, v11
	v_pk_fma_f16 v12, v10, v8, v6
	ds_read2_b32 v[9:10], v93 offset0:64 offset1:96
	ds_read_b128 v[5:8], v76 offset:464
	s_waitcnt lgkmcnt(0)
	v_mul_u32_u24_sdwa v15, v5, v86 dst_sel:DWORD dst_unused:UNUSED_PAD src0_sel:WORD_0 src1_sel:DWORD
	v_mul_u32_u24_sdwa v5, v5, v86 dst_sel:DWORD dst_unused:UNUSED_PAD src0_sel:WORD_1 src1_sel:DWORD
	v_mul_u32_u24_sdwa v16, v6, v86 dst_sel:DWORD dst_unused:UNUSED_PAD src0_sel:WORD_0 src1_sel:DWORD
	v_mul_u32_u24_sdwa v6, v6, v86 dst_sel:DWORD dst_unused:UNUSED_PAD src0_sel:WORD_1 src1_sel:DWORD
	v_pk_fma_f16 v13, v9, v15, v13
	v_pk_fma_f16 v5, v9, v5, v14
	v_pk_fma_f16 v11, v9, v16, v11
	v_pk_fma_f16 v6, v9, v6, v12
	v_mul_u32_u24_sdwa v9, v7, v86 dst_sel:DWORD dst_unused:UNUSED_PAD src0_sel:WORD_0 src1_sel:DWORD
	v_mul_u32_u24_sdwa v7, v7, v86 dst_sel:DWORD dst_unused:UNUSED_PAD src0_sel:WORD_1 src1_sel:DWORD
	v_mul_u32_u24_sdwa v12, v8, v86 dst_sel:DWORD dst_unused:UNUSED_PAD src0_sel:WORD_0 src1_sel:DWORD
	v_mul_u32_u24_sdwa v8, v8, v86 dst_sel:DWORD dst_unused:UNUSED_PAD src0_sel:WORD_1 src1_sel:DWORD
	v_pk_fma_f16 v13, v10, v9, v13
	v_pk_fma_f16 v14, v10, v7, v5
	v_pk_fma_f16 v11, v10, v12, v11
	v_pk_fma_f16 v12, v10, v8, v6
	ds_read2_b32 v[9:10], v93 offset0:128 offset1:160
	;; [unrolled: 19-line block ×3, first 2 shown]
	ds_read_b128 v[5:8], v76 offset:496
	s_waitcnt lgkmcnt(0)
	v_mul_u32_u24_sdwa v15, v5, v86 dst_sel:DWORD dst_unused:UNUSED_PAD src0_sel:WORD_0 src1_sel:DWORD
	v_mul_u32_u24_sdwa v5, v5, v86 dst_sel:DWORD dst_unused:UNUSED_PAD src0_sel:WORD_1 src1_sel:DWORD
	v_mul_u32_u24_sdwa v16, v6, v86 dst_sel:DWORD dst_unused:UNUSED_PAD src0_sel:WORD_0 src1_sel:DWORD
	v_mul_u32_u24_sdwa v6, v6, v86 dst_sel:DWORD dst_unused:UNUSED_PAD src0_sel:WORD_1 src1_sel:DWORD
	v_pk_fma_f16 v13, v9, v15, v13
	v_pk_fma_f16 v5, v9, v5, v14
	;; [unrolled: 1-line block ×4, first 2 shown]
	v_mul_u32_u24_sdwa v9, v7, v86 dst_sel:DWORD dst_unused:UNUSED_PAD src0_sel:WORD_0 src1_sel:DWORD
	v_mul_u32_u24_sdwa v7, v7, v86 dst_sel:DWORD dst_unused:UNUSED_PAD src0_sel:WORD_1 src1_sel:DWORD
	v_mul_u32_u24_sdwa v12, v8, v86 dst_sel:DWORD dst_unused:UNUSED_PAD src0_sel:WORD_0 src1_sel:DWORD
	v_mul_u32_u24_sdwa v8, v8, v86 dst_sel:DWORD dst_unused:UNUSED_PAD src0_sel:WORD_1 src1_sel:DWORD
	v_pk_fma_f16 v13, v10, v9, v13
	v_pk_fma_f16 v14, v10, v7, v5
	v_pk_fma_f16 v11, v10, v12, v11
	v_pk_fma_f16 v12, v10, v8, v6
	ds_read2_b32 v[9:10], v94 offset1:32
	ds_read_b128 v[5:8], v76 offset:512
	s_waitcnt lgkmcnt(0)
	v_mul_u32_u24_sdwa v15, v5, v86 dst_sel:DWORD dst_unused:UNUSED_PAD src0_sel:WORD_0 src1_sel:DWORD
	v_mul_u32_u24_sdwa v5, v5, v86 dst_sel:DWORD dst_unused:UNUSED_PAD src0_sel:WORD_1 src1_sel:DWORD
	v_mul_u32_u24_sdwa v16, v6, v86 dst_sel:DWORD dst_unused:UNUSED_PAD src0_sel:WORD_0 src1_sel:DWORD
	v_mul_u32_u24_sdwa v6, v6, v86 dst_sel:DWORD dst_unused:UNUSED_PAD src0_sel:WORD_1 src1_sel:DWORD
	v_pk_fma_f16 v13, v9, v15, v13
	v_pk_fma_f16 v5, v9, v5, v14
	v_pk_fma_f16 v11, v9, v16, v11
	v_pk_fma_f16 v6, v9, v6, v12
	v_mul_u32_u24_sdwa v9, v7, v86 dst_sel:DWORD dst_unused:UNUSED_PAD src0_sel:WORD_0 src1_sel:DWORD
	v_mul_u32_u24_sdwa v7, v7, v86 dst_sel:DWORD dst_unused:UNUSED_PAD src0_sel:WORD_1 src1_sel:DWORD
	v_mul_u32_u24_sdwa v12, v8, v86 dst_sel:DWORD dst_unused:UNUSED_PAD src0_sel:WORD_0 src1_sel:DWORD
	v_mul_u32_u24_sdwa v8, v8, v86 dst_sel:DWORD dst_unused:UNUSED_PAD src0_sel:WORD_1 src1_sel:DWORD
	v_pk_fma_f16 v13, v10, v9, v13
	v_pk_fma_f16 v14, v10, v7, v5
	v_pk_fma_f16 v11, v10, v12, v11
	v_pk_fma_f16 v12, v10, v8, v6
	ds_read2_b32 v[9:10], v94 offset0:64 offset1:96
	ds_read_b128 v[5:8], v76 offset:528
	s_waitcnt lgkmcnt(0)
	v_mul_u32_u24_sdwa v15, v5, v86 dst_sel:DWORD dst_unused:UNUSED_PAD src0_sel:WORD_0 src1_sel:DWORD
	v_mul_u32_u24_sdwa v5, v5, v86 dst_sel:DWORD dst_unused:UNUSED_PAD src0_sel:WORD_1 src1_sel:DWORD
	v_mul_u32_u24_sdwa v16, v6, v86 dst_sel:DWORD dst_unused:UNUSED_PAD src0_sel:WORD_0 src1_sel:DWORD
	v_mul_u32_u24_sdwa v6, v6, v86 dst_sel:DWORD dst_unused:UNUSED_PAD src0_sel:WORD_1 src1_sel:DWORD
	v_pk_fma_f16 v13, v9, v15, v13
	v_pk_fma_f16 v5, v9, v5, v14
	v_pk_fma_f16 v11, v9, v16, v11
	v_pk_fma_f16 v6, v9, v6, v12
	v_mul_u32_u24_sdwa v9, v7, v86 dst_sel:DWORD dst_unused:UNUSED_PAD src0_sel:WORD_0 src1_sel:DWORD
	v_mul_u32_u24_sdwa v7, v7, v86 dst_sel:DWORD dst_unused:UNUSED_PAD src0_sel:WORD_1 src1_sel:DWORD
	v_mul_u32_u24_sdwa v12, v8, v86 dst_sel:DWORD dst_unused:UNUSED_PAD src0_sel:WORD_0 src1_sel:DWORD
	v_mul_u32_u24_sdwa v8, v8, v86 dst_sel:DWORD dst_unused:UNUSED_PAD src0_sel:WORD_1 src1_sel:DWORD
	v_pk_fma_f16 v13, v10, v9, v13
	v_pk_fma_f16 v14, v10, v7, v5
	v_pk_fma_f16 v11, v10, v12, v11
	v_pk_fma_f16 v12, v10, v8, v6
	ds_read2_b32 v[9:10], v94 offset0:128 offset1:160
	;; [unrolled: 19-line block ×3, first 2 shown]
	ds_read_b128 v[5:8], v76 offset:560
	s_waitcnt lgkmcnt(0)
	v_mul_u32_u24_sdwa v15, v5, v86 dst_sel:DWORD dst_unused:UNUSED_PAD src0_sel:WORD_0 src1_sel:DWORD
	v_mul_u32_u24_sdwa v5, v5, v86 dst_sel:DWORD dst_unused:UNUSED_PAD src0_sel:WORD_1 src1_sel:DWORD
	v_mul_u32_u24_sdwa v16, v6, v86 dst_sel:DWORD dst_unused:UNUSED_PAD src0_sel:WORD_0 src1_sel:DWORD
	v_mul_u32_u24_sdwa v6, v6, v86 dst_sel:DWORD dst_unused:UNUSED_PAD src0_sel:WORD_1 src1_sel:DWORD
	v_pk_fma_f16 v13, v9, v15, v13
	v_pk_fma_f16 v5, v9, v5, v14
	;; [unrolled: 1-line block ×4, first 2 shown]
	v_mul_u32_u24_sdwa v9, v7, v86 dst_sel:DWORD dst_unused:UNUSED_PAD src0_sel:WORD_0 src1_sel:DWORD
	v_mul_u32_u24_sdwa v7, v7, v86 dst_sel:DWORD dst_unused:UNUSED_PAD src0_sel:WORD_1 src1_sel:DWORD
	v_mul_u32_u24_sdwa v12, v8, v86 dst_sel:DWORD dst_unused:UNUSED_PAD src0_sel:WORD_0 src1_sel:DWORD
	v_mul_u32_u24_sdwa v8, v8, v86 dst_sel:DWORD dst_unused:UNUSED_PAD src0_sel:WORD_1 src1_sel:DWORD
	v_pk_fma_f16 v13, v10, v9, v13
	v_pk_fma_f16 v14, v10, v7, v5
	;; [unrolled: 1-line block ×4, first 2 shown]
	ds_read2_b32 v[9:10], v95 offset1:32
	ds_read_b128 v[5:8], v76 offset:576
	s_waitcnt lgkmcnt(0)
	v_mul_u32_u24_sdwa v15, v5, v86 dst_sel:DWORD dst_unused:UNUSED_PAD src0_sel:WORD_0 src1_sel:DWORD
	v_mul_u32_u24_sdwa v5, v5, v86 dst_sel:DWORD dst_unused:UNUSED_PAD src0_sel:WORD_1 src1_sel:DWORD
	v_mul_u32_u24_sdwa v16, v6, v86 dst_sel:DWORD dst_unused:UNUSED_PAD src0_sel:WORD_0 src1_sel:DWORD
	v_mul_u32_u24_sdwa v6, v6, v86 dst_sel:DWORD dst_unused:UNUSED_PAD src0_sel:WORD_1 src1_sel:DWORD
	v_pk_fma_f16 v13, v9, v15, v13
	v_pk_fma_f16 v5, v9, v5, v14
	v_pk_fma_f16 v11, v9, v16, v11
	v_pk_fma_f16 v6, v9, v6, v12
	v_mul_u32_u24_sdwa v9, v7, v86 dst_sel:DWORD dst_unused:UNUSED_PAD src0_sel:WORD_0 src1_sel:DWORD
	v_mul_u32_u24_sdwa v7, v7, v86 dst_sel:DWORD dst_unused:UNUSED_PAD src0_sel:WORD_1 src1_sel:DWORD
	v_mul_u32_u24_sdwa v12, v8, v86 dst_sel:DWORD dst_unused:UNUSED_PAD src0_sel:WORD_0 src1_sel:DWORD
	v_mul_u32_u24_sdwa v8, v8, v86 dst_sel:DWORD dst_unused:UNUSED_PAD src0_sel:WORD_1 src1_sel:DWORD
	v_pk_fma_f16 v13, v10, v9, v13
	v_pk_fma_f16 v14, v10, v7, v5
	v_pk_fma_f16 v11, v10, v12, v11
	v_pk_fma_f16 v12, v10, v8, v6
	ds_read2_b32 v[9:10], v95 offset0:64 offset1:96
	ds_read_b128 v[5:8], v76 offset:592
	s_waitcnt lgkmcnt(0)
	v_mul_u32_u24_sdwa v15, v5, v86 dst_sel:DWORD dst_unused:UNUSED_PAD src0_sel:WORD_0 src1_sel:DWORD
	v_mul_u32_u24_sdwa v5, v5, v86 dst_sel:DWORD dst_unused:UNUSED_PAD src0_sel:WORD_1 src1_sel:DWORD
	v_mul_u32_u24_sdwa v16, v6, v86 dst_sel:DWORD dst_unused:UNUSED_PAD src0_sel:WORD_0 src1_sel:DWORD
	v_mul_u32_u24_sdwa v6, v6, v86 dst_sel:DWORD dst_unused:UNUSED_PAD src0_sel:WORD_1 src1_sel:DWORD
	v_pk_fma_f16 v13, v9, v15, v13
	v_pk_fma_f16 v5, v9, v5, v14
	v_pk_fma_f16 v11, v9, v16, v11
	v_pk_fma_f16 v6, v9, v6, v12
	v_mul_u32_u24_sdwa v9, v7, v86 dst_sel:DWORD dst_unused:UNUSED_PAD src0_sel:WORD_0 src1_sel:DWORD
	v_mul_u32_u24_sdwa v7, v7, v86 dst_sel:DWORD dst_unused:UNUSED_PAD src0_sel:WORD_1 src1_sel:DWORD
	v_mul_u32_u24_sdwa v12, v8, v86 dst_sel:DWORD dst_unused:UNUSED_PAD src0_sel:WORD_0 src1_sel:DWORD
	v_mul_u32_u24_sdwa v8, v8, v86 dst_sel:DWORD dst_unused:UNUSED_PAD src0_sel:WORD_1 src1_sel:DWORD
	v_pk_fma_f16 v13, v10, v9, v13
	v_pk_fma_f16 v14, v10, v7, v5
	v_pk_fma_f16 v11, v10, v12, v11
	v_pk_fma_f16 v12, v10, v8, v6
	ds_read2_b32 v[9:10], v95 offset0:128 offset1:160
	;; [unrolled: 19-line block ×3, first 2 shown]
	ds_read_b128 v[5:8], v76 offset:624
	s_waitcnt lgkmcnt(0)
	v_mul_u32_u24_sdwa v15, v5, v86 dst_sel:DWORD dst_unused:UNUSED_PAD src0_sel:WORD_0 src1_sel:DWORD
	v_mul_u32_u24_sdwa v5, v5, v86 dst_sel:DWORD dst_unused:UNUSED_PAD src0_sel:WORD_1 src1_sel:DWORD
	v_mul_u32_u24_sdwa v16, v6, v86 dst_sel:DWORD dst_unused:UNUSED_PAD src0_sel:WORD_0 src1_sel:DWORD
	v_mul_u32_u24_sdwa v6, v6, v86 dst_sel:DWORD dst_unused:UNUSED_PAD src0_sel:WORD_1 src1_sel:DWORD
	v_pk_fma_f16 v13, v9, v15, v13
	v_pk_fma_f16 v5, v9, v5, v14
	;; [unrolled: 1-line block ×4, first 2 shown]
	v_mul_u32_u24_sdwa v9, v7, v86 dst_sel:DWORD dst_unused:UNUSED_PAD src0_sel:WORD_0 src1_sel:DWORD
	v_mul_u32_u24_sdwa v7, v7, v86 dst_sel:DWORD dst_unused:UNUSED_PAD src0_sel:WORD_1 src1_sel:DWORD
	v_mul_u32_u24_sdwa v12, v8, v86 dst_sel:DWORD dst_unused:UNUSED_PAD src0_sel:WORD_0 src1_sel:DWORD
	v_mul_u32_u24_sdwa v8, v8, v86 dst_sel:DWORD dst_unused:UNUSED_PAD src0_sel:WORD_1 src1_sel:DWORD
	v_pk_fma_f16 v13, v10, v9, v13
	v_pk_fma_f16 v14, v10, v7, v5
	;; [unrolled: 1-line block ×4, first 2 shown]
	ds_read2_b32 v[9:10], v96 offset1:32
	ds_read_b128 v[5:8], v76 offset:640
	s_waitcnt lgkmcnt(0)
	v_mul_u32_u24_sdwa v15, v5, v86 dst_sel:DWORD dst_unused:UNUSED_PAD src0_sel:WORD_0 src1_sel:DWORD
	v_mul_u32_u24_sdwa v5, v5, v86 dst_sel:DWORD dst_unused:UNUSED_PAD src0_sel:WORD_1 src1_sel:DWORD
	v_mul_u32_u24_sdwa v16, v6, v86 dst_sel:DWORD dst_unused:UNUSED_PAD src0_sel:WORD_0 src1_sel:DWORD
	v_mul_u32_u24_sdwa v6, v6, v86 dst_sel:DWORD dst_unused:UNUSED_PAD src0_sel:WORD_1 src1_sel:DWORD
	v_pk_fma_f16 v13, v9, v15, v13
	v_pk_fma_f16 v5, v9, v5, v14
	v_pk_fma_f16 v11, v9, v16, v11
	v_pk_fma_f16 v6, v9, v6, v12
	v_mul_u32_u24_sdwa v9, v7, v86 dst_sel:DWORD dst_unused:UNUSED_PAD src0_sel:WORD_0 src1_sel:DWORD
	v_mul_u32_u24_sdwa v7, v7, v86 dst_sel:DWORD dst_unused:UNUSED_PAD src0_sel:WORD_1 src1_sel:DWORD
	v_mul_u32_u24_sdwa v12, v8, v86 dst_sel:DWORD dst_unused:UNUSED_PAD src0_sel:WORD_0 src1_sel:DWORD
	v_mul_u32_u24_sdwa v8, v8, v86 dst_sel:DWORD dst_unused:UNUSED_PAD src0_sel:WORD_1 src1_sel:DWORD
	v_pk_fma_f16 v13, v10, v9, v13
	v_pk_fma_f16 v14, v10, v7, v5
	v_pk_fma_f16 v11, v10, v12, v11
	v_pk_fma_f16 v12, v10, v8, v6
	ds_read2_b32 v[9:10], v96 offset0:64 offset1:96
	ds_read_b128 v[5:8], v76 offset:656
	s_waitcnt lgkmcnt(0)
	v_mul_u32_u24_sdwa v15, v5, v86 dst_sel:DWORD dst_unused:UNUSED_PAD src0_sel:WORD_0 src1_sel:DWORD
	v_mul_u32_u24_sdwa v5, v5, v86 dst_sel:DWORD dst_unused:UNUSED_PAD src0_sel:WORD_1 src1_sel:DWORD
	v_mul_u32_u24_sdwa v16, v6, v86 dst_sel:DWORD dst_unused:UNUSED_PAD src0_sel:WORD_0 src1_sel:DWORD
	v_mul_u32_u24_sdwa v6, v6, v86 dst_sel:DWORD dst_unused:UNUSED_PAD src0_sel:WORD_1 src1_sel:DWORD
	v_pk_fma_f16 v13, v9, v15, v13
	v_pk_fma_f16 v5, v9, v5, v14
	v_pk_fma_f16 v11, v9, v16, v11
	v_pk_fma_f16 v6, v9, v6, v12
	v_mul_u32_u24_sdwa v9, v7, v86 dst_sel:DWORD dst_unused:UNUSED_PAD src0_sel:WORD_0 src1_sel:DWORD
	v_mul_u32_u24_sdwa v7, v7, v86 dst_sel:DWORD dst_unused:UNUSED_PAD src0_sel:WORD_1 src1_sel:DWORD
	v_mul_u32_u24_sdwa v12, v8, v86 dst_sel:DWORD dst_unused:UNUSED_PAD src0_sel:WORD_0 src1_sel:DWORD
	v_mul_u32_u24_sdwa v8, v8, v86 dst_sel:DWORD dst_unused:UNUSED_PAD src0_sel:WORD_1 src1_sel:DWORD
	v_pk_fma_f16 v13, v10, v9, v13
	v_pk_fma_f16 v14, v10, v7, v5
	v_pk_fma_f16 v11, v10, v12, v11
	v_pk_fma_f16 v12, v10, v8, v6
	ds_read2_b32 v[9:10], v96 offset0:128 offset1:160
	;; [unrolled: 19-line block ×3, first 2 shown]
	ds_read_b128 v[5:8], v76 offset:688
	s_waitcnt lgkmcnt(0)
	v_mul_u32_u24_sdwa v15, v5, v86 dst_sel:DWORD dst_unused:UNUSED_PAD src0_sel:WORD_0 src1_sel:DWORD
	v_mul_u32_u24_sdwa v5, v5, v86 dst_sel:DWORD dst_unused:UNUSED_PAD src0_sel:WORD_1 src1_sel:DWORD
	v_mul_u32_u24_sdwa v16, v6, v86 dst_sel:DWORD dst_unused:UNUSED_PAD src0_sel:WORD_0 src1_sel:DWORD
	v_mul_u32_u24_sdwa v6, v6, v86 dst_sel:DWORD dst_unused:UNUSED_PAD src0_sel:WORD_1 src1_sel:DWORD
	v_pk_fma_f16 v13, v9, v15, v13
	v_pk_fma_f16 v5, v9, v5, v14
	;; [unrolled: 1-line block ×4, first 2 shown]
	v_mul_u32_u24_sdwa v9, v7, v86 dst_sel:DWORD dst_unused:UNUSED_PAD src0_sel:WORD_0 src1_sel:DWORD
	v_mul_u32_u24_sdwa v7, v7, v86 dst_sel:DWORD dst_unused:UNUSED_PAD src0_sel:WORD_1 src1_sel:DWORD
	v_mul_u32_u24_sdwa v12, v8, v86 dst_sel:DWORD dst_unused:UNUSED_PAD src0_sel:WORD_0 src1_sel:DWORD
	v_mul_u32_u24_sdwa v8, v8, v86 dst_sel:DWORD dst_unused:UNUSED_PAD src0_sel:WORD_1 src1_sel:DWORD
	v_pk_fma_f16 v13, v10, v9, v13
	v_pk_fma_f16 v14, v10, v7, v5
	;; [unrolled: 1-line block ×4, first 2 shown]
	ds_read2_b32 v[9:10], v97 offset1:32
	ds_read_b128 v[5:8], v76 offset:704
	s_waitcnt lgkmcnt(0)
	v_mul_u32_u24_sdwa v15, v5, v86 dst_sel:DWORD dst_unused:UNUSED_PAD src0_sel:WORD_0 src1_sel:DWORD
	v_mul_u32_u24_sdwa v5, v5, v86 dst_sel:DWORD dst_unused:UNUSED_PAD src0_sel:WORD_1 src1_sel:DWORD
	v_mul_u32_u24_sdwa v16, v6, v86 dst_sel:DWORD dst_unused:UNUSED_PAD src0_sel:WORD_0 src1_sel:DWORD
	v_mul_u32_u24_sdwa v6, v6, v86 dst_sel:DWORD dst_unused:UNUSED_PAD src0_sel:WORD_1 src1_sel:DWORD
	v_pk_fma_f16 v13, v9, v15, v13
	v_pk_fma_f16 v5, v9, v5, v14
	v_pk_fma_f16 v11, v9, v16, v11
	v_pk_fma_f16 v6, v9, v6, v12
	v_mul_u32_u24_sdwa v9, v7, v86 dst_sel:DWORD dst_unused:UNUSED_PAD src0_sel:WORD_0 src1_sel:DWORD
	v_mul_u32_u24_sdwa v7, v7, v86 dst_sel:DWORD dst_unused:UNUSED_PAD src0_sel:WORD_1 src1_sel:DWORD
	v_mul_u32_u24_sdwa v12, v8, v86 dst_sel:DWORD dst_unused:UNUSED_PAD src0_sel:WORD_0 src1_sel:DWORD
	v_mul_u32_u24_sdwa v8, v8, v86 dst_sel:DWORD dst_unused:UNUSED_PAD src0_sel:WORD_1 src1_sel:DWORD
	v_pk_fma_f16 v13, v10, v9, v13
	v_pk_fma_f16 v14, v10, v7, v5
	v_pk_fma_f16 v11, v10, v12, v11
	v_pk_fma_f16 v12, v10, v8, v6
	ds_read2_b32 v[9:10], v97 offset0:64 offset1:96
	ds_read_b128 v[5:8], v76 offset:720
	s_waitcnt lgkmcnt(0)
	v_mul_u32_u24_sdwa v15, v5, v86 dst_sel:DWORD dst_unused:UNUSED_PAD src0_sel:WORD_0 src1_sel:DWORD
	v_mul_u32_u24_sdwa v5, v5, v86 dst_sel:DWORD dst_unused:UNUSED_PAD src0_sel:WORD_1 src1_sel:DWORD
	v_mul_u32_u24_sdwa v16, v6, v86 dst_sel:DWORD dst_unused:UNUSED_PAD src0_sel:WORD_0 src1_sel:DWORD
	v_mul_u32_u24_sdwa v6, v6, v86 dst_sel:DWORD dst_unused:UNUSED_PAD src0_sel:WORD_1 src1_sel:DWORD
	v_pk_fma_f16 v13, v9, v15, v13
	v_pk_fma_f16 v5, v9, v5, v14
	v_pk_fma_f16 v11, v9, v16, v11
	v_pk_fma_f16 v6, v9, v6, v12
	v_mul_u32_u24_sdwa v9, v7, v86 dst_sel:DWORD dst_unused:UNUSED_PAD src0_sel:WORD_0 src1_sel:DWORD
	v_mul_u32_u24_sdwa v7, v7, v86 dst_sel:DWORD dst_unused:UNUSED_PAD src0_sel:WORD_1 src1_sel:DWORD
	v_mul_u32_u24_sdwa v12, v8, v86 dst_sel:DWORD dst_unused:UNUSED_PAD src0_sel:WORD_0 src1_sel:DWORD
	v_mul_u32_u24_sdwa v8, v8, v86 dst_sel:DWORD dst_unused:UNUSED_PAD src0_sel:WORD_1 src1_sel:DWORD
	v_pk_fma_f16 v13, v10, v9, v13
	v_pk_fma_f16 v14, v10, v7, v5
	v_pk_fma_f16 v11, v10, v12, v11
	v_pk_fma_f16 v12, v10, v8, v6
	ds_read2_b32 v[9:10], v97 offset0:128 offset1:160
	;; [unrolled: 19-line block ×3, first 2 shown]
	ds_read_b128 v[5:8], v76 offset:752
	s_waitcnt lgkmcnt(0)
	v_mul_u32_u24_sdwa v15, v5, v86 dst_sel:DWORD dst_unused:UNUSED_PAD src0_sel:WORD_0 src1_sel:DWORD
	v_mul_u32_u24_sdwa v5, v5, v86 dst_sel:DWORD dst_unused:UNUSED_PAD src0_sel:WORD_1 src1_sel:DWORD
	v_mul_u32_u24_sdwa v16, v6, v86 dst_sel:DWORD dst_unused:UNUSED_PAD src0_sel:WORD_0 src1_sel:DWORD
	v_mul_u32_u24_sdwa v6, v6, v86 dst_sel:DWORD dst_unused:UNUSED_PAD src0_sel:WORD_1 src1_sel:DWORD
	v_pk_fma_f16 v13, v9, v15, v13
	v_pk_fma_f16 v5, v9, v5, v14
	v_pk_fma_f16 v11, v9, v16, v11
	v_pk_fma_f16 v6, v9, v6, v12
	v_mul_u32_u24_sdwa v9, v7, v86 dst_sel:DWORD dst_unused:UNUSED_PAD src0_sel:WORD_0 src1_sel:DWORD
	v_mul_u32_u24_sdwa v7, v7, v86 dst_sel:DWORD dst_unused:UNUSED_PAD src0_sel:WORD_1 src1_sel:DWORD
	v_mul_u32_u24_sdwa v12, v8, v86 dst_sel:DWORD dst_unused:UNUSED_PAD src0_sel:WORD_0 src1_sel:DWORD
	v_mul_u32_u24_sdwa v8, v8, v86 dst_sel:DWORD dst_unused:UNUSED_PAD src0_sel:WORD_1 src1_sel:DWORD
	v_pk_fma_f16 v13, v10, v9, v13
	v_pk_fma_f16 v14, v10, v7, v5
	;; [unrolled: 1-line block ×4, first 2 shown]
	ds_read2_b32 v[9:10], v98 offset1:32
	ds_read_b128 v[5:8], v76 offset:768
	s_waitcnt lgkmcnt(0)
	v_mul_u32_u24_sdwa v15, v5, v86 dst_sel:DWORD dst_unused:UNUSED_PAD src0_sel:WORD_0 src1_sel:DWORD
	v_mul_u32_u24_sdwa v5, v5, v86 dst_sel:DWORD dst_unused:UNUSED_PAD src0_sel:WORD_1 src1_sel:DWORD
	v_mul_u32_u24_sdwa v16, v6, v86 dst_sel:DWORD dst_unused:UNUSED_PAD src0_sel:WORD_0 src1_sel:DWORD
	v_mul_u32_u24_sdwa v6, v6, v86 dst_sel:DWORD dst_unused:UNUSED_PAD src0_sel:WORD_1 src1_sel:DWORD
	v_pk_fma_f16 v13, v9, v15, v13
	v_pk_fma_f16 v5, v9, v5, v14
	v_pk_fma_f16 v11, v9, v16, v11
	v_pk_fma_f16 v6, v9, v6, v12
	v_mul_u32_u24_sdwa v9, v7, v86 dst_sel:DWORD dst_unused:UNUSED_PAD src0_sel:WORD_0 src1_sel:DWORD
	v_mul_u32_u24_sdwa v7, v7, v86 dst_sel:DWORD dst_unused:UNUSED_PAD src0_sel:WORD_1 src1_sel:DWORD
	v_mul_u32_u24_sdwa v12, v8, v86 dst_sel:DWORD dst_unused:UNUSED_PAD src0_sel:WORD_0 src1_sel:DWORD
	v_mul_u32_u24_sdwa v8, v8, v86 dst_sel:DWORD dst_unused:UNUSED_PAD src0_sel:WORD_1 src1_sel:DWORD
	v_pk_fma_f16 v13, v10, v9, v13
	v_pk_fma_f16 v14, v10, v7, v5
	v_pk_fma_f16 v11, v10, v12, v11
	v_pk_fma_f16 v12, v10, v8, v6
	ds_read2_b32 v[9:10], v98 offset0:64 offset1:96
	ds_read_b128 v[5:8], v76 offset:784
	s_waitcnt lgkmcnt(0)
	v_mul_u32_u24_sdwa v15, v5, v86 dst_sel:DWORD dst_unused:UNUSED_PAD src0_sel:WORD_0 src1_sel:DWORD
	v_mul_u32_u24_sdwa v5, v5, v86 dst_sel:DWORD dst_unused:UNUSED_PAD src0_sel:WORD_1 src1_sel:DWORD
	v_mul_u32_u24_sdwa v16, v6, v86 dst_sel:DWORD dst_unused:UNUSED_PAD src0_sel:WORD_0 src1_sel:DWORD
	v_mul_u32_u24_sdwa v6, v6, v86 dst_sel:DWORD dst_unused:UNUSED_PAD src0_sel:WORD_1 src1_sel:DWORD
	v_pk_fma_f16 v13, v9, v15, v13
	v_pk_fma_f16 v5, v9, v5, v14
	v_pk_fma_f16 v11, v9, v16, v11
	v_pk_fma_f16 v6, v9, v6, v12
	v_mul_u32_u24_sdwa v9, v7, v86 dst_sel:DWORD dst_unused:UNUSED_PAD src0_sel:WORD_0 src1_sel:DWORD
	v_mul_u32_u24_sdwa v7, v7, v86 dst_sel:DWORD dst_unused:UNUSED_PAD src0_sel:WORD_1 src1_sel:DWORD
	v_mul_u32_u24_sdwa v12, v8, v86 dst_sel:DWORD dst_unused:UNUSED_PAD src0_sel:WORD_0 src1_sel:DWORD
	v_mul_u32_u24_sdwa v8, v8, v86 dst_sel:DWORD dst_unused:UNUSED_PAD src0_sel:WORD_1 src1_sel:DWORD
	v_pk_fma_f16 v13, v10, v9, v13
	v_pk_fma_f16 v14, v10, v7, v5
	v_pk_fma_f16 v11, v10, v12, v11
	v_pk_fma_f16 v12, v10, v8, v6
	ds_read2_b32 v[9:10], v98 offset0:128 offset1:160
	;; [unrolled: 19-line block ×3, first 2 shown]
	ds_read_b128 v[5:8], v76 offset:816
	s_waitcnt lgkmcnt(0)
	v_mul_u32_u24_sdwa v15, v5, v86 dst_sel:DWORD dst_unused:UNUSED_PAD src0_sel:WORD_0 src1_sel:DWORD
	v_mul_u32_u24_sdwa v5, v5, v86 dst_sel:DWORD dst_unused:UNUSED_PAD src0_sel:WORD_1 src1_sel:DWORD
	v_mul_u32_u24_sdwa v16, v6, v86 dst_sel:DWORD dst_unused:UNUSED_PAD src0_sel:WORD_0 src1_sel:DWORD
	v_mul_u32_u24_sdwa v6, v6, v86 dst_sel:DWORD dst_unused:UNUSED_PAD src0_sel:WORD_1 src1_sel:DWORD
	v_pk_fma_f16 v13, v9, v15, v13
	v_pk_fma_f16 v5, v9, v5, v14
	v_pk_fma_f16 v11, v9, v16, v11
	v_pk_fma_f16 v6, v9, v6, v12
	v_mul_u32_u24_sdwa v9, v7, v86 dst_sel:DWORD dst_unused:UNUSED_PAD src0_sel:WORD_0 src1_sel:DWORD
	v_mul_u32_u24_sdwa v7, v7, v86 dst_sel:DWORD dst_unused:UNUSED_PAD src0_sel:WORD_1 src1_sel:DWORD
	v_mul_u32_u24_sdwa v12, v8, v86 dst_sel:DWORD dst_unused:UNUSED_PAD src0_sel:WORD_0 src1_sel:DWORD
	v_mul_u32_u24_sdwa v8, v8, v86 dst_sel:DWORD dst_unused:UNUSED_PAD src0_sel:WORD_1 src1_sel:DWORD
	v_pk_fma_f16 v13, v10, v9, v13
	v_pk_fma_f16 v14, v10, v7, v5
	;; [unrolled: 1-line block ×4, first 2 shown]
	ds_read2_b32 v[9:10], v99 offset1:32
	ds_read_b128 v[5:8], v76 offset:832
	s_waitcnt lgkmcnt(0)
	v_mul_u32_u24_sdwa v15, v5, v86 dst_sel:DWORD dst_unused:UNUSED_PAD src0_sel:WORD_0 src1_sel:DWORD
	v_mul_u32_u24_sdwa v5, v5, v86 dst_sel:DWORD dst_unused:UNUSED_PAD src0_sel:WORD_1 src1_sel:DWORD
	v_mul_u32_u24_sdwa v16, v6, v86 dst_sel:DWORD dst_unused:UNUSED_PAD src0_sel:WORD_0 src1_sel:DWORD
	v_mul_u32_u24_sdwa v6, v6, v86 dst_sel:DWORD dst_unused:UNUSED_PAD src0_sel:WORD_1 src1_sel:DWORD
	v_pk_fma_f16 v13, v9, v15, v13
	v_pk_fma_f16 v5, v9, v5, v14
	v_pk_fma_f16 v11, v9, v16, v11
	v_pk_fma_f16 v6, v9, v6, v12
	v_mul_u32_u24_sdwa v9, v7, v86 dst_sel:DWORD dst_unused:UNUSED_PAD src0_sel:WORD_0 src1_sel:DWORD
	v_mul_u32_u24_sdwa v7, v7, v86 dst_sel:DWORD dst_unused:UNUSED_PAD src0_sel:WORD_1 src1_sel:DWORD
	v_mul_u32_u24_sdwa v12, v8, v86 dst_sel:DWORD dst_unused:UNUSED_PAD src0_sel:WORD_0 src1_sel:DWORD
	v_mul_u32_u24_sdwa v8, v8, v86 dst_sel:DWORD dst_unused:UNUSED_PAD src0_sel:WORD_1 src1_sel:DWORD
	v_pk_fma_f16 v13, v10, v9, v13
	v_pk_fma_f16 v14, v10, v7, v5
	v_pk_fma_f16 v11, v10, v12, v11
	v_pk_fma_f16 v12, v10, v8, v6
	ds_read2_b32 v[9:10], v99 offset0:64 offset1:96
	ds_read_b128 v[5:8], v76 offset:848
	s_waitcnt lgkmcnt(0)
	v_mul_u32_u24_sdwa v15, v5, v86 dst_sel:DWORD dst_unused:UNUSED_PAD src0_sel:WORD_0 src1_sel:DWORD
	v_mul_u32_u24_sdwa v5, v5, v86 dst_sel:DWORD dst_unused:UNUSED_PAD src0_sel:WORD_1 src1_sel:DWORD
	v_mul_u32_u24_sdwa v16, v6, v86 dst_sel:DWORD dst_unused:UNUSED_PAD src0_sel:WORD_0 src1_sel:DWORD
	v_mul_u32_u24_sdwa v6, v6, v86 dst_sel:DWORD dst_unused:UNUSED_PAD src0_sel:WORD_1 src1_sel:DWORD
	v_pk_fma_f16 v13, v9, v15, v13
	v_pk_fma_f16 v5, v9, v5, v14
	v_pk_fma_f16 v11, v9, v16, v11
	v_pk_fma_f16 v6, v9, v6, v12
	v_mul_u32_u24_sdwa v9, v7, v86 dst_sel:DWORD dst_unused:UNUSED_PAD src0_sel:WORD_0 src1_sel:DWORD
	v_mul_u32_u24_sdwa v7, v7, v86 dst_sel:DWORD dst_unused:UNUSED_PAD src0_sel:WORD_1 src1_sel:DWORD
	v_mul_u32_u24_sdwa v12, v8, v86 dst_sel:DWORD dst_unused:UNUSED_PAD src0_sel:WORD_0 src1_sel:DWORD
	v_mul_u32_u24_sdwa v8, v8, v86 dst_sel:DWORD dst_unused:UNUSED_PAD src0_sel:WORD_1 src1_sel:DWORD
	v_pk_fma_f16 v13, v10, v9, v13
	v_pk_fma_f16 v14, v10, v7, v5
	v_pk_fma_f16 v11, v10, v12, v11
	v_pk_fma_f16 v12, v10, v8, v6
	ds_read2_b32 v[9:10], v99 offset0:128 offset1:160
	;; [unrolled: 19-line block ×3, first 2 shown]
	ds_read_b128 v[5:8], v76 offset:880
	s_waitcnt lgkmcnt(0)
	v_mul_u32_u24_sdwa v15, v5, v86 dst_sel:DWORD dst_unused:UNUSED_PAD src0_sel:WORD_0 src1_sel:DWORD
	v_mul_u32_u24_sdwa v5, v5, v86 dst_sel:DWORD dst_unused:UNUSED_PAD src0_sel:WORD_1 src1_sel:DWORD
	v_mul_u32_u24_sdwa v16, v6, v86 dst_sel:DWORD dst_unused:UNUSED_PAD src0_sel:WORD_0 src1_sel:DWORD
	v_mul_u32_u24_sdwa v6, v6, v86 dst_sel:DWORD dst_unused:UNUSED_PAD src0_sel:WORD_1 src1_sel:DWORD
	v_pk_fma_f16 v13, v9, v15, v13
	v_pk_fma_f16 v5, v9, v5, v14
	v_pk_fma_f16 v11, v9, v16, v11
	v_pk_fma_f16 v6, v9, v6, v12
	v_mul_u32_u24_sdwa v9, v7, v86 dst_sel:DWORD dst_unused:UNUSED_PAD src0_sel:WORD_0 src1_sel:DWORD
	v_mul_u32_u24_sdwa v7, v7, v86 dst_sel:DWORD dst_unused:UNUSED_PAD src0_sel:WORD_1 src1_sel:DWORD
	v_mul_u32_u24_sdwa v12, v8, v86 dst_sel:DWORD dst_unused:UNUSED_PAD src0_sel:WORD_0 src1_sel:DWORD
	v_mul_u32_u24_sdwa v8, v8, v86 dst_sel:DWORD dst_unused:UNUSED_PAD src0_sel:WORD_1 src1_sel:DWORD
	v_pk_fma_f16 v13, v10, v9, v13
	v_pk_fma_f16 v14, v10, v7, v5
	;; [unrolled: 1-line block ×4, first 2 shown]
	ds_read2_b32 v[9:10], v100 offset1:32
	ds_read_b128 v[5:8], v76 offset:896
	s_waitcnt lgkmcnt(0)
	v_mul_u32_u24_sdwa v15, v5, v86 dst_sel:DWORD dst_unused:UNUSED_PAD src0_sel:WORD_0 src1_sel:DWORD
	v_mul_u32_u24_sdwa v5, v5, v86 dst_sel:DWORD dst_unused:UNUSED_PAD src0_sel:WORD_1 src1_sel:DWORD
	v_mul_u32_u24_sdwa v16, v6, v86 dst_sel:DWORD dst_unused:UNUSED_PAD src0_sel:WORD_0 src1_sel:DWORD
	v_mul_u32_u24_sdwa v6, v6, v86 dst_sel:DWORD dst_unused:UNUSED_PAD src0_sel:WORD_1 src1_sel:DWORD
	v_pk_fma_f16 v13, v9, v15, v13
	v_pk_fma_f16 v5, v9, v5, v14
	v_pk_fma_f16 v11, v9, v16, v11
	v_pk_fma_f16 v6, v9, v6, v12
	v_mul_u32_u24_sdwa v9, v7, v86 dst_sel:DWORD dst_unused:UNUSED_PAD src0_sel:WORD_0 src1_sel:DWORD
	v_mul_u32_u24_sdwa v7, v7, v86 dst_sel:DWORD dst_unused:UNUSED_PAD src0_sel:WORD_1 src1_sel:DWORD
	v_mul_u32_u24_sdwa v12, v8, v86 dst_sel:DWORD dst_unused:UNUSED_PAD src0_sel:WORD_0 src1_sel:DWORD
	v_mul_u32_u24_sdwa v8, v8, v86 dst_sel:DWORD dst_unused:UNUSED_PAD src0_sel:WORD_1 src1_sel:DWORD
	v_pk_fma_f16 v13, v10, v9, v13
	v_pk_fma_f16 v14, v10, v7, v5
	v_pk_fma_f16 v11, v10, v12, v11
	v_pk_fma_f16 v12, v10, v8, v6
	ds_read2_b32 v[9:10], v100 offset0:64 offset1:96
	ds_read_b128 v[5:8], v76 offset:912
	s_waitcnt lgkmcnt(0)
	v_mul_u32_u24_sdwa v15, v5, v86 dst_sel:DWORD dst_unused:UNUSED_PAD src0_sel:WORD_0 src1_sel:DWORD
	v_mul_u32_u24_sdwa v5, v5, v86 dst_sel:DWORD dst_unused:UNUSED_PAD src0_sel:WORD_1 src1_sel:DWORD
	v_mul_u32_u24_sdwa v16, v6, v86 dst_sel:DWORD dst_unused:UNUSED_PAD src0_sel:WORD_0 src1_sel:DWORD
	v_mul_u32_u24_sdwa v6, v6, v86 dst_sel:DWORD dst_unused:UNUSED_PAD src0_sel:WORD_1 src1_sel:DWORD
	v_pk_fma_f16 v13, v9, v15, v13
	v_pk_fma_f16 v5, v9, v5, v14
	v_pk_fma_f16 v11, v9, v16, v11
	v_pk_fma_f16 v6, v9, v6, v12
	v_mul_u32_u24_sdwa v9, v7, v86 dst_sel:DWORD dst_unused:UNUSED_PAD src0_sel:WORD_0 src1_sel:DWORD
	v_mul_u32_u24_sdwa v7, v7, v86 dst_sel:DWORD dst_unused:UNUSED_PAD src0_sel:WORD_1 src1_sel:DWORD
	v_mul_u32_u24_sdwa v12, v8, v86 dst_sel:DWORD dst_unused:UNUSED_PAD src0_sel:WORD_0 src1_sel:DWORD
	v_mul_u32_u24_sdwa v8, v8, v86 dst_sel:DWORD dst_unused:UNUSED_PAD src0_sel:WORD_1 src1_sel:DWORD
	v_pk_fma_f16 v13, v10, v9, v13
	v_pk_fma_f16 v14, v10, v7, v5
	v_pk_fma_f16 v11, v10, v12, v11
	v_pk_fma_f16 v12, v10, v8, v6
	ds_read2_b32 v[9:10], v100 offset0:128 offset1:160
	;; [unrolled: 19-line block ×3, first 2 shown]
	ds_read_b128 v[5:8], v76 offset:944
	s_waitcnt lgkmcnt(0)
	v_mul_u32_u24_sdwa v15, v5, v86 dst_sel:DWORD dst_unused:UNUSED_PAD src0_sel:WORD_0 src1_sel:DWORD
	v_mul_u32_u24_sdwa v5, v5, v86 dst_sel:DWORD dst_unused:UNUSED_PAD src0_sel:WORD_1 src1_sel:DWORD
	v_mul_u32_u24_sdwa v16, v6, v86 dst_sel:DWORD dst_unused:UNUSED_PAD src0_sel:WORD_0 src1_sel:DWORD
	v_mul_u32_u24_sdwa v6, v6, v86 dst_sel:DWORD dst_unused:UNUSED_PAD src0_sel:WORD_1 src1_sel:DWORD
	v_pk_fma_f16 v13, v9, v15, v13
	v_pk_fma_f16 v5, v9, v5, v14
	;; [unrolled: 1-line block ×4, first 2 shown]
	v_mul_u32_u24_sdwa v9, v7, v86 dst_sel:DWORD dst_unused:UNUSED_PAD src0_sel:WORD_0 src1_sel:DWORD
	v_mul_u32_u24_sdwa v7, v7, v86 dst_sel:DWORD dst_unused:UNUSED_PAD src0_sel:WORD_1 src1_sel:DWORD
	v_mul_u32_u24_sdwa v12, v8, v86 dst_sel:DWORD dst_unused:UNUSED_PAD src0_sel:WORD_0 src1_sel:DWORD
	v_mul_u32_u24_sdwa v8, v8, v86 dst_sel:DWORD dst_unused:UNUSED_PAD src0_sel:WORD_1 src1_sel:DWORD
	v_pk_fma_f16 v13, v10, v9, v13
	v_pk_fma_f16 v14, v10, v7, v5
	;; [unrolled: 1-line block ×4, first 2 shown]
	ds_read2_b32 v[9:10], v101 offset1:32
	ds_read_b128 v[5:8], v76 offset:960
	s_waitcnt lgkmcnt(0)
	v_mul_u32_u24_sdwa v15, v5, v86 dst_sel:DWORD dst_unused:UNUSED_PAD src0_sel:WORD_0 src1_sel:DWORD
	v_mul_u32_u24_sdwa v5, v5, v86 dst_sel:DWORD dst_unused:UNUSED_PAD src0_sel:WORD_1 src1_sel:DWORD
	v_mul_u32_u24_sdwa v16, v6, v86 dst_sel:DWORD dst_unused:UNUSED_PAD src0_sel:WORD_0 src1_sel:DWORD
	v_mul_u32_u24_sdwa v6, v6, v86 dst_sel:DWORD dst_unused:UNUSED_PAD src0_sel:WORD_1 src1_sel:DWORD
	v_pk_fma_f16 v13, v9, v15, v13
	v_pk_fma_f16 v5, v9, v5, v14
	v_pk_fma_f16 v11, v9, v16, v11
	v_pk_fma_f16 v6, v9, v6, v12
	v_mul_u32_u24_sdwa v9, v7, v86 dst_sel:DWORD dst_unused:UNUSED_PAD src0_sel:WORD_0 src1_sel:DWORD
	v_mul_u32_u24_sdwa v7, v7, v86 dst_sel:DWORD dst_unused:UNUSED_PAD src0_sel:WORD_1 src1_sel:DWORD
	v_mul_u32_u24_sdwa v12, v8, v86 dst_sel:DWORD dst_unused:UNUSED_PAD src0_sel:WORD_0 src1_sel:DWORD
	v_mul_u32_u24_sdwa v8, v8, v86 dst_sel:DWORD dst_unused:UNUSED_PAD src0_sel:WORD_1 src1_sel:DWORD
	v_pk_fma_f16 v13, v10, v9, v13
	v_pk_fma_f16 v14, v10, v7, v5
	v_pk_fma_f16 v11, v10, v12, v11
	v_pk_fma_f16 v12, v10, v8, v6
	ds_read2_b32 v[9:10], v101 offset0:64 offset1:96
	ds_read_b128 v[5:8], v76 offset:976
	s_waitcnt lgkmcnt(0)
	v_mul_u32_u24_sdwa v15, v5, v86 dst_sel:DWORD dst_unused:UNUSED_PAD src0_sel:WORD_0 src1_sel:DWORD
	v_mul_u32_u24_sdwa v5, v5, v86 dst_sel:DWORD dst_unused:UNUSED_PAD src0_sel:WORD_1 src1_sel:DWORD
	v_mul_u32_u24_sdwa v16, v6, v86 dst_sel:DWORD dst_unused:UNUSED_PAD src0_sel:WORD_0 src1_sel:DWORD
	v_mul_u32_u24_sdwa v6, v6, v86 dst_sel:DWORD dst_unused:UNUSED_PAD src0_sel:WORD_1 src1_sel:DWORD
	v_pk_fma_f16 v13, v9, v15, v13
	v_pk_fma_f16 v5, v9, v5, v14
	v_pk_fma_f16 v11, v9, v16, v11
	v_pk_fma_f16 v6, v9, v6, v12
	v_mul_u32_u24_sdwa v9, v7, v86 dst_sel:DWORD dst_unused:UNUSED_PAD src0_sel:WORD_0 src1_sel:DWORD
	v_mul_u32_u24_sdwa v12, v7, v86 dst_sel:DWORD dst_unused:UNUSED_PAD src0_sel:WORD_1 src1_sel:DWORD
	v_mul_u32_u24_sdwa v14, v8, v86 dst_sel:DWORD dst_unused:UNUSED_PAD src0_sel:WORD_0 src1_sel:DWORD
	v_mul_u32_u24_sdwa v15, v8, v86 dst_sel:DWORD dst_unused:UNUSED_PAD src0_sel:WORD_1 src1_sel:DWORD
	v_pk_fma_f16 v7, v10, v9, v13
	v_pk_fma_f16 v8, v10, v12, v5
	v_pk_fma_f16 v9, v10, v14, v11
	v_pk_fma_f16 v10, v10, v15, v6
	ds_read2_b32 v[5:6], v101 offset0:128 offset1:160
	;; [unrolled: 19-line block ×3, first 2 shown]
	ds_read_b128 v[7:10], v76 offset:1008
	s_waitcnt lgkmcnt(0)
	s_barrier
	buffer_gl0_inv
	s_load_dword s14, s[0:1], 0x4
	v_mul_u32_u24_sdwa v15, v7, v86 dst_sel:DWORD dst_unused:UNUSED_PAD src0_sel:WORD_0 src1_sel:DWORD
	v_mul_u32_u24_sdwa v7, v7, v86 dst_sel:DWORD dst_unused:UNUSED_PAD src0_sel:WORD_1 src1_sel:DWORD
	v_mul_u32_u24_sdwa v16, v8, v86 dst_sel:DWORD dst_unused:UNUSED_PAD src0_sel:WORD_0 src1_sel:DWORD
	v_mul_u32_u24_sdwa v8, v8, v86 dst_sel:DWORD dst_unused:UNUSED_PAD src0_sel:WORD_1 src1_sel:DWORD
	s_waitcnt lgkmcnt(0)
	s_lshl_b32 s14, s14, 7
	v_pk_fma_f16 v14, v5, v15, v14
	v_pk_fma_f16 v11, v5, v7, v11
	;; [unrolled: 1-line block ×4, first 2 shown]
	v_mul_u32_u24_sdwa v8, v9, v86 dst_sel:DWORD dst_unused:UNUSED_PAD src0_sel:WORD_0 src1_sel:DWORD
	v_mul_u32_u24_sdwa v9, v9, v86 dst_sel:DWORD dst_unused:UNUSED_PAD src0_sel:WORD_1 src1_sel:DWORD
	v_mul_u32_u24_sdwa v13, v10, v86 dst_sel:DWORD dst_unused:UNUSED_PAD src0_sel:WORD_0 src1_sel:DWORD
	v_mul_u32_u24_sdwa v7, v10, v86 dst_sel:DWORD dst_unused:UNUSED_PAD src0_sel:WORD_1 src1_sel:DWORD
	s_add_i32 s6, s14, s6
	v_pk_fma_f16 v104, v6, v8, v14
	v_pk_fma_f16 v103, v6, v9, v11
	;; [unrolled: 1-line block ×4, first 2 shown]
	s_cmp_ge_i32 s6, s30
	s_cbranch_scc0 .LBB9_9
; %bb.10:
	v_mov_b32_e32 v6, v56
.LBB9_11:
	v_lshlrev_b32_e32 v15, 1, v0
	v_cmp_lt_i32_e32 vcc_lo, v64, v57
	s_cmp_lg_u64 s[16:17], 0
	s_cselect_b32 s0, -1, 0
	s_cmp_eq_u32 s28, 0
	v_cndmask_b32_e32 v5, v6, v64, vcc_lo
	v_cmp_lt_i32_e32 vcc_lo, v62, v57
	s_cselect_b32 s1, -1, 0
	s_and_b32 s0, s1, s0
	v_lshlrev_b32_e32 v5, 2, v5
	v_cndmask_b32_e32 v10, v6, v62, vcc_lo
	v_cmp_lt_i32_e32 vcc_lo, v60, v57
	ds_bpermute_b32 v7, v5, v105
	ds_bpermute_b32 v8, v5, v106
	;; [unrolled: 1-line block ×4, first 2 shown]
	v_lshlrev_b32_e32 v10, 2, v10
	v_cndmask_b32_e32 v14, v6, v60, vcc_lo
	v_cmp_lt_i32_e32 vcc_lo, v59, v57
	v_lshlrev_b32_e32 v14, 2, v14
	s_waitcnt lgkmcnt(3)
	v_add_f32_e32 v7, v105, v7
	s_waitcnt lgkmcnt(2)
	v_add_f32_e32 v8, v106, v8
	;; [unrolled: 2-line block ×4, first 2 shown]
	ds_bpermute_b32 v11, v10, v7
	ds_bpermute_b32 v12, v10, v8
	;; [unrolled: 1-line block ×4, first 2 shown]
	s_waitcnt lgkmcnt(3)
	v_add_f32_e32 v7, v7, v11
	s_waitcnt lgkmcnt(2)
	v_add_f32_e32 v8, v8, v12
	;; [unrolled: 2-line block ×4, first 2 shown]
	ds_bpermute_b32 v10, v14, v7
	ds_bpermute_b32 v11, v14, v8
	;; [unrolled: 1-line block ×4, first 2 shown]
	v_cndmask_b32_e32 v14, v6, v59, vcc_lo
	v_cmp_lt_i32_e32 vcc_lo, v58, v57
	v_lshlrev_b32_e32 v14, 2, v14
	v_cndmask_b32_e32 v6, v6, v58, vcc_lo
	s_and_b32 vcc_lo, exec_lo, s0
	v_lshlrev_b32_e32 v6, 2, v6
	s_waitcnt lgkmcnt(3)
	v_add_f32_e32 v7, v7, v10
	s_waitcnt lgkmcnt(2)
	v_add_f32_e32 v8, v8, v11
	;; [unrolled: 2-line block ×4, first 2 shown]
	ds_bpermute_b32 v10, v14, v7
	ds_bpermute_b32 v11, v14, v8
	;; [unrolled: 1-line block ×4, first 2 shown]
	s_waitcnt lgkmcnt(3)
	v_add_f32_e32 v7, v7, v10
	s_waitcnt lgkmcnt(2)
	v_add_f32_e32 v8, v8, v11
	;; [unrolled: 2-line block ×4, first 2 shown]
	ds_bpermute_b32 v5, v6, v7
	ds_bpermute_b32 v11, v6, v8
	;; [unrolled: 1-line block ×4, first 2 shown]
	s_waitcnt lgkmcnt(3)
	v_add_f32_e32 v5, v7, v5
	s_waitcnt lgkmcnt(2)
	v_add_f32_e32 v6, v8, v11
	;; [unrolled: 2-line block ×4, first 2 shown]
	s_cbranch_vccz .LBB9_13
; %bb.12:
	v_add_nc_u32_e32 v9, s29, v55
	v_max_f32_e32 v13, v1, v1
	v_max_f32_e32 v14, v2, v2
	;; [unrolled: 1-line block ×4, first 2 shown]
	v_ashrrev_i32_e32 v10, 31, v9
	v_lshlrev_b64 v[9:10], 2, v[9:10]
	v_add_co_u32 v9, vcc_lo, s16, v9
	v_add_co_ci_u32_e64 v10, null, s17, v10, vcc_lo
	global_load_dwordx4 v[9:12], v[9:10], off
	s_waitcnt vmcnt(0)
	v_max_f32_e32 v18, v9, v9
	v_max_f32_e32 v19, v10, v10
	;; [unrolled: 1-line block ×8, first 2 shown]
	v_mov_b32_e32 v13, 0x10001
	v_sub_f32_e32 v14, v1, v18
	v_sub_f32_e32 v16, v2, v19
	;; [unrolled: 1-line block ×4, first 2 shown]
	v_mov_b32_e32 v1, v18
	v_sub_f32_e32 v9, v9, v18
	v_mov_b32_e32 v2, v19
	v_mov_b32_e32 v3, v20
	;; [unrolled: 1-line block ×3, first 2 shown]
	v_mul_f32_e32 v18, 0x3fb8aa3b, v14
	v_sub_f32_e32 v10, v10, v19
	v_mul_f32_e32 v19, 0x3fb8aa3b, v9
	v_sub_f32_e32 v11, v11, v20
	v_mul_f32_e32 v20, 0x3fb8aa3b, v16
	v_fma_f32 v28, 0x3fb8aa3b, v14, -v18
	v_rndne_f32_e32 v29, v18
	v_fma_f32 v30, 0x3fb8aa3b, v9, -v19
	v_rndne_f32_e32 v31, v19
	v_sub_f32_e32 v12, v12, v21
	v_fmac_f32_e32 v28, 0x32a5705f, v14
	v_sub_f32_e32 v18, v18, v29
	v_mul_f32_e32 v21, 0x3fb8aa3b, v10
	v_fma_f32 v32, 0x3fb8aa3b, v16, -v20
	v_rndne_f32_e32 v33, v20
	v_fmac_f32_e32 v30, 0x32a5705f, v9
	v_sub_f32_e32 v19, v19, v31
	v_add_f32_e32 v18, v18, v28
	v_mul_f32_e32 v24, 0x3fb8aa3b, v22
	v_fma_f32 v34, 0x3fb8aa3b, v10, -v21
	v_rndne_f32_e32 v35, v21
	v_fmac_f32_e32 v32, 0x32a5705f, v16
	v_sub_f32_e32 v20, v20, v33
	v_add_f32_e32 v19, v19, v30
	v_exp_f32_e32 v18, v18
	v_mul_f32_e32 v25, 0x3fb8aa3b, v11
	v_fma_f32 v36, 0x3fb8aa3b, v22, -v24
	v_rndne_f32_e32 v37, v24
	v_cvt_i32_f32_e32 v29, v29
	v_fmac_f32_e32 v34, 0x32a5705f, v10
	v_sub_f32_e32 v21, v21, v35
	v_add_f32_e32 v20, v20, v32
	v_exp_f32_e32 v19, v19
	v_mul_f32_e32 v26, 0x3fb8aa3b, v23
	v_fma_f32 v38, 0x3fb8aa3b, v11, -v25
	v_rndne_f32_e32 v39, v25
	v_cvt_i32_f32_e32 v31, v31
	v_fmac_f32_e32 v36, 0x32a5705f, v22
	v_sub_f32_e32 v24, v24, v37
	v_add_f32_e32 v21, v21, v34
	v_exp_f32_e32 v20, v20
	v_ldexp_f32 v18, v18, v29
	v_cmp_ngt_f32_e32 vcc_lo, 0xc2ce8ed0, v14
	v_mul_f32_e32 v27, 0x3fb8aa3b, v12
	v_fma_f32 v40, 0x3fb8aa3b, v23, -v26
	v_rndne_f32_e32 v41, v26
	v_cvt_i32_f32_e32 v33, v33
	v_fmac_f32_e32 v38, 0x32a5705f, v11
	v_sub_f32_e32 v25, v25, v39
	v_add_f32_e32 v24, v24, v36
	v_exp_f32_e32 v21, v21
	v_ldexp_f32 v19, v19, v31
	v_cndmask_b32_e32 v18, 0, v18, vcc_lo
	v_cmp_ngt_f32_e32 vcc_lo, 0xc2ce8ed0, v9
	v_fma_f32 v42, 0x3fb8aa3b, v12, -v27
	v_rndne_f32_e32 v43, v27
	v_cvt_i32_f32_e32 v35, v35
	v_fmac_f32_e32 v40, 0x32a5705f, v23
	v_sub_f32_e32 v26, v26, v41
	v_add_f32_e32 v25, v25, v38
	v_exp_f32_e32 v24, v24
	v_ldexp_f32 v20, v20, v33
	v_cndmask_b32_e32 v19, 0, v19, vcc_lo
	v_cmp_ngt_f32_e32 vcc_lo, 0xc2ce8ed0, v16
	v_cvt_i32_f32_e32 v37, v37
	v_fmac_f32_e32 v42, 0x32a5705f, v12
	v_sub_f32_e32 v27, v27, v43
	v_add_f32_e32 v26, v26, v40
	v_exp_f32_e32 v25, v25
	v_ldexp_f32 v21, v21, v35
	v_cndmask_b32_e32 v20, 0, v20, vcc_lo
	v_cmp_ngt_f32_e32 vcc_lo, 0xc2ce8ed0, v10
	v_cvt_i32_f32_e32 v39, v39
	v_add_f32_e32 v27, v27, v42
	v_exp_f32_e32 v26, v26
	v_ldexp_f32 v24, v24, v37
	v_cndmask_b32_e32 v21, 0, v21, vcc_lo
	v_cmp_ngt_f32_e32 vcc_lo, 0xc2ce8ed0, v22
	v_exp_f32_e32 v27, v27
	v_cvt_i32_f32_e32 v28, v41
	v_ldexp_f32 v25, v25, v39
	v_cvt_i32_f32_e32 v30, v43
	v_cndmask_b32_e32 v24, 0, v24, vcc_lo
	v_cmp_ngt_f32_e32 vcc_lo, 0xc2ce8ed0, v11
	v_ldexp_f32 v26, v26, v28
	v_cndmask_b32_e32 v25, 0, v25, vcc_lo
	v_cmp_ngt_f32_e32 vcc_lo, 0xc2ce8ed0, v23
	v_ldexp_f32 v27, v27, v30
	v_cndmask_b32_e32 v26, 0, v26, vcc_lo
	v_cmp_ngt_f32_e32 vcc_lo, 0xc2ce8ed0, v12
	v_cndmask_b32_e32 v27, 0, v27, vcc_lo
	v_cmp_nlt_f32_e32 vcc_lo, 0x42b17218, v14
	v_cndmask_b32_e32 v14, 0x7f800000, v18, vcc_lo
	v_cmp_nlt_f32_e32 vcc_lo, 0x42b17218, v9
	v_cndmask_b32_e32 v9, 0x7f800000, v19, vcc_lo
	v_cmp_nlt_f32_e32 vcc_lo, 0x42b17218, v16
	v_fmac_f32_e32 v9, v5, v14
	v_cndmask_b32_e32 v16, 0x7f800000, v20, vcc_lo
	v_cmp_nlt_f32_e32 vcc_lo, 0x42b17218, v10
	v_cvt_f16_f32_e32 v5, v14
	v_cndmask_b32_e32 v10, 0x7f800000, v21, vcc_lo
	v_cmp_nlt_f32_e32 vcc_lo, 0x42b17218, v22
	v_fmac_f32_e32 v10, v6, v16
	v_cndmask_b32_e32 v18, 0x7f800000, v24, vcc_lo
	v_cmp_nlt_f32_e32 vcc_lo, 0x42b17218, v11
	v_cvt_f16_f32_e32 v6, v16
	v_cndmask_b32_e32 v11, 0x7f800000, v25, vcc_lo
	v_cmp_nlt_f32_e32 vcc_lo, 0x42b17218, v23
	v_mul_u32_u24_sdwa v16, v6, v13 dst_sel:DWORD dst_unused:UNUSED_PAD src0_sel:WORD_0 src1_sel:DWORD
	v_mov_b32_e32 v6, v10
	v_fmac_f32_e32 v11, v7, v18
	v_cndmask_b32_e32 v19, 0x7f800000, v26, vcc_lo
	v_cmp_nlt_f32_e32 vcc_lo, 0x42b17218, v12
	v_cvt_f16_f32_e32 v7, v18
	v_pk_mul_f16 v103, v103, v16
	v_cvt_f16_f32_e32 v14, v19
	v_cndmask_b32_e32 v12, 0x7f800000, v27, vcc_lo
	v_mul_u32_u24_sdwa v18, v7, v13 dst_sel:DWORD dst_unused:UNUSED_PAD src0_sel:WORD_0 src1_sel:DWORD
	v_mov_b32_e32 v7, v11
	v_fmac_f32_e32 v12, v8, v19
	v_mul_u32_u24_sdwa v8, v5, v13 dst_sel:DWORD dst_unused:UNUSED_PAD src0_sel:WORD_0 src1_sel:DWORD
	v_mul_u32_u24_sdwa v13, v14, v13 dst_sel:DWORD dst_unused:UNUSED_PAD src0_sel:WORD_0 src1_sel:DWORD
	v_mov_b32_e32 v5, v9
	v_pk_mul_f16 v102, v102, v18
	v_pk_mul_f16 v104, v104, v8
	;; [unrolled: 1-line block ×3, first 2 shown]
	v_mov_b32_e32 v8, v12
	s_mov_b32 s0, exec_lo
	v_cmpx_gt_i32_e64 s2, v17
	s_cbranch_execnz .LBB9_14
	s_branch .LBB9_30
.LBB9_13:
	v_mov_b32_e32 v12, v8
	v_mov_b32_e32 v11, v7
	;; [unrolled: 1-line block ×4, first 2 shown]
	s_mov_b32 s0, exec_lo
	v_cmpx_gt_i32_e64 s2, v17
	s_cbranch_execz .LBB9_30
.LBB9_14:
	s_load_dword s1, s[4:5], 0xd4
	v_mov_b32_e32 v16, 1.0
	s_waitcnt lgkmcnt(0)
	s_cmp_lg_u32 s1, 1
	s_cselect_b32 s5, -1, 0
	s_cmp_eq_u32 s1, 1
	s_cselect_b32 s4, -1, 0
	s_and_b32 vcc_lo, exec_lo, s5
	s_cbranch_vccnz .LBB9_16
; %bb.15:
	v_div_scale_f32 v13, null, v5, v5, 1.0
	v_rcp_f32_e32 v14, v13
	v_fma_f32 v16, -v13, v14, 1.0
	v_fmac_f32_e32 v14, v16, v14
	v_div_scale_f32 v16, vcc_lo, 1.0, v5, 1.0
	v_mul_f32_e32 v18, v16, v14
	v_fma_f32 v19, -v13, v18, v16
	v_fmac_f32_e32 v18, v19, v14
	v_fma_f32 v13, -v13, v18, v16
	v_div_fmas_f32 v13, v13, v14, v18
	v_div_fixup_f32 v16, v13, v5, 1.0
.LBB9_16:
	v_mad_u64_u32 v[13:14], null, s7, s2, v[17:18]
	v_mov_b32_e32 v18, 0
	v_cmp_eq_u32_e32 vcc_lo, 0, v0
	v_mul_lo_u32 v5, v13, s3
	v_add3_u32 v5, s29, v55, v5
	v_mad_u64_u32 v[13:14], null, s1, v5, s[28:29]
	v_cvt_f32_f16_e32 v5, v104
	v_cvt_f32_f16_sdwa v14, v104 dst_sel:DWORD dst_unused:UNUSED_PAD src0_sel:WORD_1
	v_mul_f32_e32 v19, v16, v5
	v_lshl_add_u32 v17, v13, 6, v15
	v_mul_f32_e32 v20, v16, v14
	v_lshlrev_b64 v[17:18], 2, v[17:18]
	v_add_co_u32 v16, s0, s20, v17
	v_add_co_ci_u32_e64 v17, null, s21, v18, s0
	s_and_b32 s0, vcc_lo, s5
	global_store_dwordx2 v[16:17], v[19:20], off
	s_and_saveexec_b32 s2, s0
	s_cbranch_execz .LBB9_18
; %bb.17:
	v_ashrrev_i32_e32 v14, 31, v13
	v_mov_b32_e32 v0, v1
	v_mov_b32_e32 v1, v9
	v_lshlrev_b64 v[16:17], 3, v[13:14]
	v_add_co_u32 v16, vcc_lo, s22, v16
	v_add_co_ci_u32_e64 v17, null, s23, v17, vcc_lo
	global_store_dwordx2 v[16:17], v[0:1], off
.LBB9_18:
	s_or_b32 exec_lo, exec_lo, s2
	v_cndmask_b32_e64 v5, 0, 1, s4
	v_mov_b32_e32 v1, 1.0
	s_andn2_b32 vcc_lo, exec_lo, s4
	s_cbranch_vccnz .LBB9_20
; %bb.19:
	v_div_scale_f32 v0, null, v6, v6, 1.0
	v_rcp_f32_e32 v1, v0
	v_fma_f32 v9, -v0, v1, 1.0
	v_fmac_f32_e32 v1, v9, v1
	v_div_scale_f32 v9, vcc_lo, 1.0, v6, 1.0
	v_mul_f32_e32 v14, v9, v1
	v_fma_f32 v16, -v0, v14, v9
	v_fmac_f32_e32 v14, v16, v1
	v_fma_f32 v0, -v0, v14, v9
	v_div_fmas_f32 v0, v0, v1, v14
	v_div_fixup_f32 v1, v0, v6, 1.0
.LBB9_20:
	v_add_nc_u32_e32 v0, s1, v13
	v_mov_b32_e32 v14, 0
	v_cvt_f32_f16_e32 v6, v103
	v_cvt_f32_f16_sdwa v9, v103 dst_sel:DWORD dst_unused:UNUSED_PAD src0_sel:WORD_1
	v_lshl_add_u32 v13, v0, 6, v15
	v_mul_f32_e32 v16, v1, v6
	v_mul_f32_e32 v17, v1, v9
	v_lshlrev_b64 v[13:14], 2, v[13:14]
	v_add_co_u32 v13, vcc_lo, s20, v13
	v_add_co_ci_u32_e64 v14, null, s21, v14, vcc_lo
	global_store_dwordx2 v[13:14], v[16:17], off
	s_and_saveexec_b32 s2, s0
	s_cbranch_execz .LBB9_22
; %bb.21:
	v_ashrrev_i32_e32 v1, 31, v0
	v_mov_b32_e32 v9, v2
	v_lshlrev_b64 v[13:14], 3, v[0:1]
	v_add_co_u32 v13, vcc_lo, s22, v13
	v_add_co_ci_u32_e64 v14, null, s23, v14, vcc_lo
	global_store_dwordx2 v[13:14], v[9:10], off
.LBB9_22:
	s_or_b32 exec_lo, exec_lo, s2
	v_cmp_ne_u32_e32 vcc_lo, 1, v5
	v_mov_b32_e32 v1, 1.0
	s_cbranch_vccnz .LBB9_24
; %bb.23:
	v_div_scale_f32 v1, null, v7, v7, 1.0
	v_rcp_f32_e32 v2, v1
	v_fma_f32 v6, -v1, v2, 1.0
	v_fmac_f32_e32 v2, v6, v2
	v_div_scale_f32 v6, vcc_lo, 1.0, v7, 1.0
	v_mul_f32_e32 v9, v6, v2
	v_fma_f32 v10, -v1, v9, v6
	v_fmac_f32_e32 v9, v10, v2
	v_fma_f32 v1, -v1, v9, v6
	v_div_fmas_f32 v1, v1, v2, v9
	v_div_fixup_f32 v1, v1, v7, 1.0
.LBB9_24:
	v_add_nc_u32_e32 v0, s1, v0
	v_mov_b32_e32 v7, 0
	v_cvt_f32_f16_e32 v2, v102
	v_cvt_f32_f16_sdwa v10, v102 dst_sel:DWORD dst_unused:UNUSED_PAD src0_sel:WORD_1
	v_lshl_add_u32 v6, v0, 6, v15
	v_mul_f32_e32 v9, v1, v2
	v_mul_f32_e32 v10, v1, v10
	v_lshlrev_b64 v[6:7], 2, v[6:7]
	v_add_co_u32 v1, vcc_lo, s20, v6
	v_add_co_ci_u32_e64 v2, null, s21, v7, vcc_lo
	global_store_dwordx2 v[1:2], v[9:10], off
	s_and_saveexec_b32 s2, s0
	s_cbranch_execz .LBB9_26
; %bb.25:
	v_ashrrev_i32_e32 v1, 31, v0
	v_mov_b32_e32 v10, v3
	v_lshlrev_b64 v[1:2], 3, v[0:1]
	v_add_co_u32 v1, vcc_lo, s22, v1
	v_add_co_ci_u32_e64 v2, null, s23, v2, vcc_lo
	global_store_dwordx2 v[1:2], v[10:11], off
.LBB9_26:
	s_or_b32 exec_lo, exec_lo, s2
	v_cmp_ne_u32_e32 vcc_lo, 1, v5
	v_mov_b32_e32 v1, 1.0
	s_cbranch_vccnz .LBB9_28
; %bb.27:
	v_div_scale_f32 v1, null, v8, v8, 1.0
	v_rcp_f32_e32 v2, v1
	v_fma_f32 v3, -v1, v2, 1.0
	v_fmac_f32_e32 v2, v3, v2
	v_div_scale_f32 v3, vcc_lo, 1.0, v8, 1.0
	v_mul_f32_e32 v5, v3, v2
	v_fma_f32 v6, -v1, v5, v3
	v_fmac_f32_e32 v5, v6, v2
	v_fma_f32 v1, -v1, v5, v3
	v_div_fmas_f32 v1, v1, v2, v5
	v_div_fixup_f32 v1, v1, v8, 1.0
.LBB9_28:
	v_add_nc_u32_e32 v0, s1, v0
	v_mov_b32_e32 v3, 0
	v_cvt_f32_f16_e32 v5, v51
	v_cvt_f32_f16_sdwa v6, v51 dst_sel:DWORD dst_unused:UNUSED_PAD src0_sel:WORD_1
	v_lshl_add_u32 v2, v0, 6, v15
	v_mul_f32_e32 v5, v1, v5
	v_mul_f32_e32 v6, v1, v6
	v_lshlrev_b64 v[2:3], 2, v[2:3]
	v_add_co_u32 v1, vcc_lo, s20, v2
	v_add_co_ci_u32_e64 v2, null, s21, v3, vcc_lo
	global_store_dwordx2 v[1:2], v[5:6], off
	s_and_b32 exec_lo, exec_lo, s0
	s_cbranch_execz .LBB9_30
; %bb.29:
	v_ashrrev_i32_e32 v1, 31, v0
	v_mov_b32_e32 v11, v4
	v_lshlrev_b64 v[0:1], 3, v[0:1]
	v_add_co_u32 v0, vcc_lo, s22, v0
	v_add_co_ci_u32_e64 v1, null, s23, v1, vcc_lo
	global_store_dwordx2 v[0:1], v[11:12], off
	s_endpgm
.LBB9_30:
	s_endpgm
	.section	.rodata,"a",@progbits
	.p2align	6, 0x0
	.amdhsa_kernel _ZL15flash_attn_tileILi64ELi64ELi2ELi8ELb0EEvPKcS1_S1_S1_S1_PKiPfP15HIP_vector_typeIfLj2EEffffjfiS5_IjLj3EEiiiiiiiiiiiliiliiiiil
		.amdhsa_group_segment_fixed_size 24576
		.amdhsa_private_segment_fixed_size 0
		.amdhsa_kernarg_size 464
		.amdhsa_user_sgpr_count 6
		.amdhsa_user_sgpr_private_segment_buffer 1
		.amdhsa_user_sgpr_dispatch_ptr 0
		.amdhsa_user_sgpr_queue_ptr 0
		.amdhsa_user_sgpr_kernarg_segment_ptr 1
		.amdhsa_user_sgpr_dispatch_id 0
		.amdhsa_user_sgpr_flat_scratch_init 0
		.amdhsa_user_sgpr_private_segment_size 0
		.amdhsa_wavefront_size32 1
		.amdhsa_uses_dynamic_stack 0
		.amdhsa_system_sgpr_private_segment_wavefront_offset 0
		.amdhsa_system_sgpr_workgroup_id_x 1
		.amdhsa_system_sgpr_workgroup_id_y 1
		.amdhsa_system_sgpr_workgroup_id_z 1
		.amdhsa_system_sgpr_workgroup_info 0
		.amdhsa_system_vgpr_workitem_id 1
		.amdhsa_next_free_vgpr 161
		.amdhsa_next_free_sgpr 40
		.amdhsa_reserve_vcc 1
		.amdhsa_reserve_flat_scratch 0
		.amdhsa_float_round_mode_32 0
		.amdhsa_float_round_mode_16_64 0
		.amdhsa_float_denorm_mode_32 3
		.amdhsa_float_denorm_mode_16_64 3
		.amdhsa_dx10_clamp 1
		.amdhsa_ieee_mode 1
		.amdhsa_fp16_overflow 0
		.amdhsa_workgroup_processor_mode 1
		.amdhsa_memory_ordered 1
		.amdhsa_forward_progress 1
		.amdhsa_shared_vgpr_count 0
		.amdhsa_exception_fp_ieee_invalid_op 0
		.amdhsa_exception_fp_denorm_src 0
		.amdhsa_exception_fp_ieee_div_zero 0
		.amdhsa_exception_fp_ieee_overflow 0
		.amdhsa_exception_fp_ieee_underflow 0
		.amdhsa_exception_fp_ieee_inexact 0
		.amdhsa_exception_int_div_zero 0
	.end_amdhsa_kernel
	.section	.text._ZL15flash_attn_tileILi64ELi64ELi2ELi8ELb0EEvPKcS1_S1_S1_S1_PKiPfP15HIP_vector_typeIfLj2EEffffjfiS5_IjLj3EEiiiiiiiiiiiliiliiiiil,"axG",@progbits,_ZL15flash_attn_tileILi64ELi64ELi2ELi8ELb0EEvPKcS1_S1_S1_S1_PKiPfP15HIP_vector_typeIfLj2EEffffjfiS5_IjLj3EEiiiiiiiiiiiliiliiiiil,comdat
.Lfunc_end9:
	.size	_ZL15flash_attn_tileILi64ELi64ELi2ELi8ELb0EEvPKcS1_S1_S1_S1_PKiPfP15HIP_vector_typeIfLj2EEffffjfiS5_IjLj3EEiiiiiiiiiiiliiliiiiil, .Lfunc_end9-_ZL15flash_attn_tileILi64ELi64ELi2ELi8ELb0EEvPKcS1_S1_S1_S1_PKiPfP15HIP_vector_typeIfLj2EEffffjfiS5_IjLj3EEiiiiiiiiiiiliiliiiiil
                                        ; -- End function
	.set _ZL15flash_attn_tileILi64ELi64ELi2ELi8ELb0EEvPKcS1_S1_S1_S1_PKiPfP15HIP_vector_typeIfLj2EEffffjfiS5_IjLj3EEiiiiiiiiiiiliiliiiiil.num_vgpr, 147
	.set _ZL15flash_attn_tileILi64ELi64ELi2ELi8ELb0EEvPKcS1_S1_S1_S1_PKiPfP15HIP_vector_typeIfLj2EEffffjfiS5_IjLj3EEiiiiiiiiiiiliiliiiiil.num_agpr, 0
	.set _ZL15flash_attn_tileILi64ELi64ELi2ELi8ELb0EEvPKcS1_S1_S1_S1_PKiPfP15HIP_vector_typeIfLj2EEffffjfiS5_IjLj3EEiiiiiiiiiiiliiliiiiil.numbered_sgpr, 40
	.set _ZL15flash_attn_tileILi64ELi64ELi2ELi8ELb0EEvPKcS1_S1_S1_S1_PKiPfP15HIP_vector_typeIfLj2EEffffjfiS5_IjLj3EEiiiiiiiiiiiliiliiiiil.num_named_barrier, 0
	.set _ZL15flash_attn_tileILi64ELi64ELi2ELi8ELb0EEvPKcS1_S1_S1_S1_PKiPfP15HIP_vector_typeIfLj2EEffffjfiS5_IjLj3EEiiiiiiiiiiiliiliiiiil.private_seg_size, 0
	.set _ZL15flash_attn_tileILi64ELi64ELi2ELi8ELb0EEvPKcS1_S1_S1_S1_PKiPfP15HIP_vector_typeIfLj2EEffffjfiS5_IjLj3EEiiiiiiiiiiiliiliiiiil.uses_vcc, 1
	.set _ZL15flash_attn_tileILi64ELi64ELi2ELi8ELb0EEvPKcS1_S1_S1_S1_PKiPfP15HIP_vector_typeIfLj2EEffffjfiS5_IjLj3EEiiiiiiiiiiiliiliiiiil.uses_flat_scratch, 0
	.set _ZL15flash_attn_tileILi64ELi64ELi2ELi8ELb0EEvPKcS1_S1_S1_S1_PKiPfP15HIP_vector_typeIfLj2EEffffjfiS5_IjLj3EEiiiiiiiiiiiliiliiiiil.has_dyn_sized_stack, 0
	.set _ZL15flash_attn_tileILi64ELi64ELi2ELi8ELb0EEvPKcS1_S1_S1_S1_PKiPfP15HIP_vector_typeIfLj2EEffffjfiS5_IjLj3EEiiiiiiiiiiiliiliiiiil.has_recursion, 0
	.set _ZL15flash_attn_tileILi64ELi64ELi2ELi8ELb0EEvPKcS1_S1_S1_S1_PKiPfP15HIP_vector_typeIfLj2EEffffjfiS5_IjLj3EEiiiiiiiiiiiliiliiiiil.has_indirect_call, 0
	.section	.AMDGPU.csdata,"",@progbits
; Kernel info:
; codeLenInByte = 28800
; TotalNumSgprs: 42
; NumVgprs: 147
; ScratchSize: 0
; MemoryBound: 0
; FloatMode: 240
; IeeeMode: 1
; LDSByteSize: 24576 bytes/workgroup (compile time only)
; SGPRBlocks: 0
; VGPRBlocks: 20
; NumSGPRsForWavesPerEU: 42
; NumVGPRsForWavesPerEU: 161
; Occupancy: 5
; WaveLimiterHint : 1
; COMPUTE_PGM_RSRC2:SCRATCH_EN: 0
; COMPUTE_PGM_RSRC2:USER_SGPR: 6
; COMPUTE_PGM_RSRC2:TRAP_HANDLER: 0
; COMPUTE_PGM_RSRC2:TGID_X_EN: 1
; COMPUTE_PGM_RSRC2:TGID_Y_EN: 1
; COMPUTE_PGM_RSRC2:TGID_Z_EN: 1
; COMPUTE_PGM_RSRC2:TIDIG_COMP_CNT: 1
	.section	.text._ZL25flash_attn_mask_to_KV_maxILi2EEvPK7__half2Piiii,"axG",@progbits,_ZL25flash_attn_mask_to_KV_maxILi2EEvPK7__half2Piiii,comdat
	.globl	_ZL25flash_attn_mask_to_KV_maxILi2EEvPK7__half2Piiii ; -- Begin function _ZL25flash_attn_mask_to_KV_maxILi2EEvPK7__half2Piiii
	.p2align	8
	.type	_ZL25flash_attn_mask_to_KV_maxILi2EEvPK7__half2Piiii,@function
_ZL25flash_attn_mask_to_KV_maxILi2EEvPK7__half2Piiii: ; @_ZL25flash_attn_mask_to_KV_maxILi2EEvPK7__half2Piiii
; %bb.0:
	s_load_dwordx4 s[8:11], s[4:5], 0x0
	s_mov_b32 s0, exec_lo
	v_cmpx_gt_u32_e32 32, v0
; %bb.1:
	v_lshlrev_b32_e32 v1, 2, v0
	v_mov_b32_e32 v2, 1
	ds_write_b32 v1, v2
; %bb.2:
	s_or_b32 exec_lo, exec_lo, s0
	s_clause 0x1
	s_load_dwordx4 s[12:15], s[4:5], 0x10
	s_load_dword s1, s[4:5], 0x20
	v_and_b32_e32 v1, 31, v0
	v_lshrrev_b32_e32 v3, 3, v0
	v_mov_b32_e32 v2, 0
	v_mov_b32_e32 v4, 0x204
	s_waitcnt lgkmcnt(0)
	v_lshlrev_b32_e32 v5, 2, v1
	s_barrier
	buffer_gl0_inv
	s_mul_i32 s0, s6, s13
	s_mul_i32 s2, s14, s7
	s_lshl_b32 s0, s0, 1
	s_add_i32 s2, s2, s0
	v_cmp_eq_u32_e64 s0, 0, v1
	s_ashr_i32 s3, s2, 31
	s_lshl_b64 s[4:5], s[2:3], 2
	s_add_u32 s3, s8, s4
	s_addc_u32 s4, s9, s5
	s_lshl_b32 s5, s12, 8
	s_branch .LBB10_4
.LBB10_3:                               ;   in Loop: Header=BB10_4 Depth=1
	s_or_b32 exec_lo, exec_lo, s8
	s_waitcnt lgkmcnt(0)
	s_barrier
	buffer_gl0_inv
	ds_read_b32 v1, v5
	s_waitcnt lgkmcnt(0)
	s_barrier
	buffer_gl0_inv
	v_cmp_ne_u32_e32 vcc_lo, 0, v1
	s_cmp_lg_u32 vcc_lo, exec_lo
	s_cselect_b32 s8, -1, 0
	s_and_b32 vcc_lo, exec_lo, s8
	s_cbranch_vccnz .LBB10_12
.LBB10_4:                               ; =>This Inner Loop Header: Depth=1
	s_mov_b32 s2, s5
	s_addk_i32 s5, 0xff00
	s_cmp_lt_i32 s5, 0
	s_cbranch_scc1 .LBB10_11
; %bb.5:                                ;   in Loop: Header=BB10_4 Depth=1
	s_lshr_b32 s8, s5, 1
	v_add_nc_u32_e32 v1, s8, v0
	v_lshlrev_b64 v[6:7], 2, v[1:2]
	v_add_co_u32 v6, vcc_lo, s3, v6
	v_add_co_ci_u32_e64 v7, null, s4, v7, vcc_lo
	global_load_dword v6, v[6:7], off
	s_waitcnt vmcnt(0)
	v_cmp_class_f16_e64 s8, v6, 0x204
	v_cmp_class_f16_sdwa s9, v6, v4 src0_sel:WORD_1 src1_sel:DWORD
	s_and_b32 s12, s8, s9
	s_mov_b32 s9, 0
	s_and_saveexec_b32 s8, s12
	s_cbranch_execz .LBB10_9
; %bb.6:                                ;   in Loop: Header=BB10_4 Depth=1
	v_add_nc_u32_e32 v6, s13, v1
	v_ashrrev_i32_e32 v7, 31, v6
	v_lshlrev_b64 v[6:7], 2, v[6:7]
	v_add_co_u32 v6, vcc_lo, s3, v6
	v_add_co_ci_u32_e64 v7, null, s4, v7, vcc_lo
	global_load_dword v1, v[6:7], off
	s_waitcnt vmcnt(0)
	v_cmp_class_f16_e64 s14, v1, 0x204
	s_and_saveexec_b32 s12, s14
; %bb.7:                                ;   in Loop: Header=BB10_4 Depth=1
	v_cmp_class_f16_sdwa s9, v1, v4 src0_sel:WORD_1 src1_sel:DWORD
	s_and_b32 s9, s9, exec_lo
; %bb.8:                                ;   in Loop: Header=BB10_4 Depth=1
	s_or_b32 exec_lo, exec_lo, s12
	s_and_b32 s9, s9, exec_lo
.LBB10_9:                               ;   in Loop: Header=BB10_4 Depth=1
	s_or_b32 exec_lo, exec_lo, s8
	v_cndmask_b32_e64 v1, 0, 1, s9
	s_mov_b32 s12, exec_lo
	v_cmp_ne_u32_e32 vcc_lo, 0, v1
	s_and_saveexec_b32 s8, s0
	s_cbranch_execz .LBB10_3
; %bb.10:                               ;   in Loop: Header=BB10_4 Depth=1
	s_cmp_eq_u32 vcc_lo, s12
	s_cselect_b32 s9, -1, 0
	v_cndmask_b32_e64 v1, 0, 1, s9
	ds_write_b32 v3, v1
	s_branch .LBB10_3
.LBB10_11:                              ;   in Loop: Header=BB10_4 Depth=1
	s_cbranch_execz .LBB10_4
.LBB10_12:
	s_mov_b32 s0, exec_lo
	v_cmpx_eq_u32_e32 0, v0
	s_cbranch_execz .LBB10_14
; %bb.13:
	s_mul_i32 s0, s1, s7
	v_mov_b32_e32 v0, 0
	s_add_i32 s0, s0, s6
	v_mov_b32_e32 v1, s2
	s_ashr_i32 s1, s0, 31
	s_lshl_b64 s[0:1], s[0:1], 2
	s_add_u32 s0, s10, s0
	s_addc_u32 s1, s11, s1
	global_store_dword v0, v1, s[0:1]
.LBB10_14:
	s_endpgm
	.section	.rodata,"a",@progbits
	.p2align	6, 0x0
	.amdhsa_kernel _ZL25flash_attn_mask_to_KV_maxILi2EEvPK7__half2Piiii
		.amdhsa_group_segment_fixed_size 128
		.amdhsa_private_segment_fixed_size 0
		.amdhsa_kernarg_size 288
		.amdhsa_user_sgpr_count 6
		.amdhsa_user_sgpr_private_segment_buffer 1
		.amdhsa_user_sgpr_dispatch_ptr 0
		.amdhsa_user_sgpr_queue_ptr 0
		.amdhsa_user_sgpr_kernarg_segment_ptr 1
		.amdhsa_user_sgpr_dispatch_id 0
		.amdhsa_user_sgpr_flat_scratch_init 0
		.amdhsa_user_sgpr_private_segment_size 0
		.amdhsa_wavefront_size32 1
		.amdhsa_uses_dynamic_stack 0
		.amdhsa_system_sgpr_private_segment_wavefront_offset 0
		.amdhsa_system_sgpr_workgroup_id_x 1
		.amdhsa_system_sgpr_workgroup_id_y 1
		.amdhsa_system_sgpr_workgroup_id_z 0
		.amdhsa_system_sgpr_workgroup_info 0
		.amdhsa_system_vgpr_workitem_id 0
		.amdhsa_next_free_vgpr 8
		.amdhsa_next_free_sgpr 16
		.amdhsa_reserve_vcc 1
		.amdhsa_reserve_flat_scratch 0
		.amdhsa_float_round_mode_32 0
		.amdhsa_float_round_mode_16_64 0
		.amdhsa_float_denorm_mode_32 3
		.amdhsa_float_denorm_mode_16_64 3
		.amdhsa_dx10_clamp 1
		.amdhsa_ieee_mode 1
		.amdhsa_fp16_overflow 0
		.amdhsa_workgroup_processor_mode 1
		.amdhsa_memory_ordered 1
		.amdhsa_forward_progress 1
		.amdhsa_shared_vgpr_count 0
		.amdhsa_exception_fp_ieee_invalid_op 0
		.amdhsa_exception_fp_denorm_src 0
		.amdhsa_exception_fp_ieee_div_zero 0
		.amdhsa_exception_fp_ieee_overflow 0
		.amdhsa_exception_fp_ieee_underflow 0
		.amdhsa_exception_fp_ieee_inexact 0
		.amdhsa_exception_int_div_zero 0
	.end_amdhsa_kernel
	.section	.text._ZL25flash_attn_mask_to_KV_maxILi2EEvPK7__half2Piiii,"axG",@progbits,_ZL25flash_attn_mask_to_KV_maxILi2EEvPK7__half2Piiii,comdat
.Lfunc_end10:
	.size	_ZL25flash_attn_mask_to_KV_maxILi2EEvPK7__half2Piiii, .Lfunc_end10-_ZL25flash_attn_mask_to_KV_maxILi2EEvPK7__half2Piiii
                                        ; -- End function
	.set _ZL25flash_attn_mask_to_KV_maxILi2EEvPK7__half2Piiii.num_vgpr, 8
	.set _ZL25flash_attn_mask_to_KV_maxILi2EEvPK7__half2Piiii.num_agpr, 0
	.set _ZL25flash_attn_mask_to_KV_maxILi2EEvPK7__half2Piiii.numbered_sgpr, 16
	.set _ZL25flash_attn_mask_to_KV_maxILi2EEvPK7__half2Piiii.num_named_barrier, 0
	.set _ZL25flash_attn_mask_to_KV_maxILi2EEvPK7__half2Piiii.private_seg_size, 0
	.set _ZL25flash_attn_mask_to_KV_maxILi2EEvPK7__half2Piiii.uses_vcc, 1
	.set _ZL25flash_attn_mask_to_KV_maxILi2EEvPK7__half2Piiii.uses_flat_scratch, 0
	.set _ZL25flash_attn_mask_to_KV_maxILi2EEvPK7__half2Piiii.has_dyn_sized_stack, 0
	.set _ZL25flash_attn_mask_to_KV_maxILi2EEvPK7__half2Piiii.has_recursion, 0
	.set _ZL25flash_attn_mask_to_KV_maxILi2EEvPK7__half2Piiii.has_indirect_call, 0
	.section	.AMDGPU.csdata,"",@progbits
; Kernel info:
; codeLenInByte = 500
; TotalNumSgprs: 18
; NumVgprs: 8
; ScratchSize: 0
; MemoryBound: 0
; FloatMode: 240
; IeeeMode: 1
; LDSByteSize: 128 bytes/workgroup (compile time only)
; SGPRBlocks: 0
; VGPRBlocks: 0
; NumSGPRsForWavesPerEU: 18
; NumVGPRsForWavesPerEU: 8
; Occupancy: 16
; WaveLimiterHint : 0
; COMPUTE_PGM_RSRC2:SCRATCH_EN: 0
; COMPUTE_PGM_RSRC2:USER_SGPR: 6
; COMPUTE_PGM_RSRC2:TRAP_HANDLER: 0
; COMPUTE_PGM_RSRC2:TGID_X_EN: 1
; COMPUTE_PGM_RSRC2:TGID_Y_EN: 1
; COMPUTE_PGM_RSRC2:TGID_Z_EN: 0
; COMPUTE_PGM_RSRC2:TIDIG_COMP_CNT: 0
	.section	.text._ZL33flash_attn_stream_k_fixup_uniformILi64ELi2ELi8EEvPfPK15HIP_vector_typeIfLj2EEiiiiiiS1_IjLj3EES5_S5_,"axG",@progbits,_ZL33flash_attn_stream_k_fixup_uniformILi64ELi2ELi8EEvPfPK15HIP_vector_typeIfLj2EEiiiiiiS1_IjLj3EES5_S5_,comdat
	.globl	_ZL33flash_attn_stream_k_fixup_uniformILi64ELi2ELi8EEvPfPK15HIP_vector_typeIfLj2EEiiiiiiS1_IjLj3EES5_S5_ ; -- Begin function _ZL33flash_attn_stream_k_fixup_uniformILi64ELi2ELi8EEvPfPK15HIP_vector_typeIfLj2EEiiiiiiS1_IjLj3EES5_S5_
	.p2align	8
	.type	_ZL33flash_attn_stream_k_fixup_uniformILi64ELi2ELi8EEvPfPK15HIP_vector_typeIfLj2EEiiiiiiS1_IjLj3EES5_S5_,@function
_ZL33flash_attn_stream_k_fixup_uniformILi64ELi2ELi8EEvPfPK15HIP_vector_typeIfLj2EEiiiiiiS1_IjLj3EES5_S5_: ; @_ZL33flash_attn_stream_k_fixup_uniformILi64ELi2ELi8EEvPfPK15HIP_vector_typeIfLj2EEiiiiiiS1_IjLj3EES5_S5_
; %bb.0:
	s_clause 0x2
	s_load_dwordx8 s[12:19], s[4:5], 0x1c
	s_load_dwordx4 s[20:23], s[4:5], 0x3c
	s_load_dwordx2 s[10:11], s[4:5], 0x10
	s_waitcnt lgkmcnt(0)
	s_mul_hi_u32 s0, s15, s6
	s_add_i32 s0, s6, s0
	s_lshr_b32 s0, s0, s16
	s_mul_i32 s1, s0, s17
	s_sub_i32 s2, s6, s1
	s_mul_hi_u32 s1, s2, s18
	s_add_i32 s1, s2, s1
	s_lshr_b32 s1, s1, s19
	s_mul_i32 s3, s1, s20
	s_sub_i32 s2, s2, s3
	s_mul_hi_u32 s3, s2, s21
	s_add_i32 s3, s2, s3
	s_lshr_b32 s3, s3, s22
	s_mul_i32 s9, s3, s23
	s_lshl_b32 s15, s3, 3
	s_sub_i32 s9, s2, s9
	s_lshl_b32 s2, s9, 1
	s_add_i32 s2, s2, s7
	s_cmp_lt_i32 s2, s10
	s_cselect_b32 s2, -1, 0
	s_add_i32 s3, s15, s8
	s_cmp_lt_i32 s3, s13
	s_cselect_b32 s3, -1, 0
	s_and_b32 s2, s2, s3
	s_andn2_b32 vcc_lo, exec_lo, s2
	s_cbranch_vccnz .LBB11_6
; %bb.1:
	s_mul_i32 s0, s0, s10
	s_mul_i32 s10, s1, s13
	s_add_i32 s0, s0, s7
	s_mul_i32 s0, s0, s11
	s_add_i32 s13, s0, s8
	s_load_dwordx4 s[0:3], s[4:5], 0x0
	s_add_i32 s4, s13, s10
	s_mul_i32 s5, s11, s9
	s_add_i32 s4, s4, s15
	s_lshl_b32 s5, s5, 7
	s_lshl_b32 s4, s4, 6
	;; [unrolled: 1-line block ×3, first 2 shown]
	s_add_i32 s5, s5, s4
	s_mul_i32 s4, s14, s6
	v_or_b32_e32 v1, s5, v0
	s_add_i32 s11, s4, s14
	v_ashrrev_i32_e32 v2, 31, v1
	v_lshlrev_b64 v[1:2], 2, v[1:2]
	s_waitcnt lgkmcnt(0)
	v_add_co_u32 v1, vcc_lo, s0, v1
	v_add_co_ci_u32_e64 v2, null, s1, v2, vcc_lo
	s_add_i32 s0, s10, s8
	s_lshl_b32 s1, s11, 4
	s_add_i32 s0, s0, s1
	global_load_dword v5, v[1:2], off
	s_add_i32 s0, s0, -16
	s_ashr_i32 s1, s0, 31
	s_lshl_b64 s[0:1], s[0:1], 3
	s_add_u32 s0, s2, s0
	s_addc_u32 s1, s3, s1
	s_add_i32 s5, s11, -2
	s_load_dword s13, s[0:1], 0x4
	s_cmp_lt_i32 s5, s4
	s_cbranch_scc1 .LBB11_4
; %bb.2:
	s_lshl_b32 s16, s12, 6
	s_load_dword s15, s[0:1], 0x0
	s_ashr_i32 s17, s16, 31
	s_waitcnt lgkmcnt(0)
	v_mov_b32_e32 v6, s13
	s_lshl_b64 s[0:1], s[16:17], 2
	s_add_u32 s5, s2, s0
	s_addc_u32 s9, s3, s1
	s_add_i32 s6, s6, 1
	s_lshl_b32 s0, s7, 9
	s_lshl_b32 s1, s8, 6
	s_mul_i32 s6, s14, s6
	s_add_i32 s0, s1, s0
	s_lshl_b32 s1, s6, 10
	s_add_i32 s0, s0, s1
	s_lshl_b32 s1, s6, 4
	v_or_b32_e32 v0, s0, v0
	s_lshl_b32 s0, s12, 4
	s_add_i32 s1, s8, s1
	s_add_i32 s6, s11, -1
	s_add_i32 s0, s1, s0
	v_add_nc_u32_e32 v3, 0xfffff800, v0
	v_mov_b32_e32 v0, s15
	s_add_i32 s0, s0, s10
	s_sub_i32 s0, s0, 32
.LBB11_3:                               ; =>This Inner Loop Header: Depth=1
	v_ashrrev_i32_e32 v4, 31, v3
	s_ashr_i32 s1, s0, 31
	s_lshl_b64 s[10:11], s[0:1], 3
	s_add_u32 s10, s2, s10
	v_lshlrev_b64 v[7:8], 2, v[3:4]
	s_addc_u32 s11, s3, s11
	v_add_nc_u32_e32 v3, 0xfffffc00, v3
	s_add_i32 s6, s6, -1
	s_add_i32 s0, s0, -16
	s_cmp_le_i32 s6, s4
	v_add_co_u32 v7, vcc_lo, s5, v7
	v_add_co_ci_u32_e64 v8, null, s9, v8, vcc_lo
	s_load_dwordx2 s[10:11], s[10:11], 0x0
	global_load_dword v4, v[7:8], off
	v_max_f32_e32 v7, v0, v0
	s_waitcnt lgkmcnt(0)
	v_max_f32_e64 v8, s10, s10
	v_max_f32_e32 v7, v7, v8
	v_sub_f32_e32 v8, s10, v7
	v_sub_f32_e32 v0, v0, v7
	v_mul_f32_e32 v9, 0x3fb8aa3b, v8
	v_mul_f32_e32 v12, 0x3fb8aa3b, v0
	v_cmp_ngt_f32_e32 vcc_lo, 0xc2ce8ed0, v8
	v_fma_f32 v10, 0x3fb8aa3b, v8, -v9
	v_rndne_f32_e32 v11, v9
	v_fma_f32 v13, 0x3fb8aa3b, v0, -v12
	v_rndne_f32_e32 v14, v12
	v_fmac_f32_e32 v10, 0x32a5705f, v8
	v_sub_f32_e32 v9, v9, v11
	v_fmac_f32_e32 v13, 0x32a5705f, v0
	v_cvt_i32_f32_e32 v11, v11
	v_add_f32_e32 v9, v9, v10
	v_sub_f32_e32 v10, v12, v14
	v_exp_f32_e32 v9, v9
	v_add_f32_e32 v10, v10, v13
	v_exp_f32_e32 v10, v10
	v_ldexp_f32 v9, v9, v11
	v_cvt_i32_f32_e32 v11, v14
	v_cndmask_b32_e32 v9, 0, v9, vcc_lo
	v_cmp_nlt_f32_e32 vcc_lo, 0x42b17218, v8
	v_ldexp_f32 v10, v10, v11
	v_mov_b32_e32 v11, v6
	v_cndmask_b32_e32 v9, 0x7f800000, v9, vcc_lo
	v_cmp_ngt_f32_e32 vcc_lo, 0xc2ce8ed0, v0
	v_cndmask_b32_e32 v10, 0, v10, vcc_lo
	v_cmp_le_f32_e32 vcc_lo, 0xc1a00000, v8
	v_cndmask_b32_e32 v8, 0, v9, vcc_lo
	v_cmp_nlt_f32_e32 vcc_lo, 0x42b17218, v0
	s_waitcnt vmcnt(1)
	v_mov_b32_e32 v9, v5
	v_cndmask_b32_e32 v5, 0x7f800000, v10, vcc_lo
	v_mul_f32_e32 v10, s11, v8
	v_cmp_le_f32_e32 vcc_lo, 0xc1a00000, v0
	v_mov_b32_e32 v0, v7
	v_mov_b32_e32 v6, v10
	v_cndmask_b32_e32 v12, 0, v5, vcc_lo
	v_fmac_f32_e32 v6, v11, v12
	s_waitcnt vmcnt(0)
	v_mul_f32_e32 v5, v4, v8
	v_fmac_f32_e32 v5, v9, v12
	s_cbranch_scc0 .LBB11_3
	s_branch .LBB11_5
.LBB11_4:
	s_waitcnt lgkmcnt(0)
	v_mov_b32_e32 v6, s13
.LBB11_5:
	s_waitcnt vmcnt(0)
	v_div_scale_f32 v0, null, v6, v6, v5
	v_rcp_f32_e32 v3, v0
	v_fma_f32 v4, -v0, v3, 1.0
	v_fmac_f32_e32 v3, v4, v3
	v_div_scale_f32 v4, vcc_lo, v5, v6, v5
	v_mul_f32_e32 v7, v4, v3
	v_fma_f32 v8, -v0, v7, v4
	v_fmac_f32_e32 v7, v8, v3
	v_fma_f32 v0, -v0, v7, v4
	v_div_fmas_f32 v0, v0, v3, v7
	v_div_fixup_f32 v0, v0, v6, v5
	global_store_dword v[1:2], v0, off
.LBB11_6:
	s_endpgm
	.section	.rodata,"a",@progbits
	.p2align	6, 0x0
	.amdhsa_kernel _ZL33flash_attn_stream_k_fixup_uniformILi64ELi2ELi8EEvPfPK15HIP_vector_typeIfLj2EEiiiiiiS1_IjLj3EES5_S5_
		.amdhsa_group_segment_fixed_size 0
		.amdhsa_private_segment_fixed_size 0
		.amdhsa_kernarg_size 76
		.amdhsa_user_sgpr_count 6
		.amdhsa_user_sgpr_private_segment_buffer 1
		.amdhsa_user_sgpr_dispatch_ptr 0
		.amdhsa_user_sgpr_queue_ptr 0
		.amdhsa_user_sgpr_kernarg_segment_ptr 1
		.amdhsa_user_sgpr_dispatch_id 0
		.amdhsa_user_sgpr_flat_scratch_init 0
		.amdhsa_user_sgpr_private_segment_size 0
		.amdhsa_wavefront_size32 1
		.amdhsa_uses_dynamic_stack 0
		.amdhsa_system_sgpr_private_segment_wavefront_offset 0
		.amdhsa_system_sgpr_workgroup_id_x 1
		.amdhsa_system_sgpr_workgroup_id_y 1
		.amdhsa_system_sgpr_workgroup_id_z 1
		.amdhsa_system_sgpr_workgroup_info 0
		.amdhsa_system_vgpr_workitem_id 0
		.amdhsa_next_free_vgpr 15
		.amdhsa_next_free_sgpr 24
		.amdhsa_reserve_vcc 1
		.amdhsa_reserve_flat_scratch 0
		.amdhsa_float_round_mode_32 0
		.amdhsa_float_round_mode_16_64 0
		.amdhsa_float_denorm_mode_32 3
		.amdhsa_float_denorm_mode_16_64 3
		.amdhsa_dx10_clamp 1
		.amdhsa_ieee_mode 1
		.amdhsa_fp16_overflow 0
		.amdhsa_workgroup_processor_mode 1
		.amdhsa_memory_ordered 1
		.amdhsa_forward_progress 1
		.amdhsa_shared_vgpr_count 0
		.amdhsa_exception_fp_ieee_invalid_op 0
		.amdhsa_exception_fp_denorm_src 0
		.amdhsa_exception_fp_ieee_div_zero 0
		.amdhsa_exception_fp_ieee_overflow 0
		.amdhsa_exception_fp_ieee_underflow 0
		.amdhsa_exception_fp_ieee_inexact 0
		.amdhsa_exception_int_div_zero 0
	.end_amdhsa_kernel
	.section	.text._ZL33flash_attn_stream_k_fixup_uniformILi64ELi2ELi8EEvPfPK15HIP_vector_typeIfLj2EEiiiiiiS1_IjLj3EES5_S5_,"axG",@progbits,_ZL33flash_attn_stream_k_fixup_uniformILi64ELi2ELi8EEvPfPK15HIP_vector_typeIfLj2EEiiiiiiS1_IjLj3EES5_S5_,comdat
.Lfunc_end11:
	.size	_ZL33flash_attn_stream_k_fixup_uniformILi64ELi2ELi8EEvPfPK15HIP_vector_typeIfLj2EEiiiiiiS1_IjLj3EES5_S5_, .Lfunc_end11-_ZL33flash_attn_stream_k_fixup_uniformILi64ELi2ELi8EEvPfPK15HIP_vector_typeIfLj2EEiiiiiiS1_IjLj3EES5_S5_
                                        ; -- End function
	.set _ZL33flash_attn_stream_k_fixup_uniformILi64ELi2ELi8EEvPfPK15HIP_vector_typeIfLj2EEiiiiiiS1_IjLj3EES5_S5_.num_vgpr, 15
	.set _ZL33flash_attn_stream_k_fixup_uniformILi64ELi2ELi8EEvPfPK15HIP_vector_typeIfLj2EEiiiiiiS1_IjLj3EES5_S5_.num_agpr, 0
	.set _ZL33flash_attn_stream_k_fixup_uniformILi64ELi2ELi8EEvPfPK15HIP_vector_typeIfLj2EEiiiiiiS1_IjLj3EES5_S5_.numbered_sgpr, 24
	.set _ZL33flash_attn_stream_k_fixup_uniformILi64ELi2ELi8EEvPfPK15HIP_vector_typeIfLj2EEiiiiiiS1_IjLj3EES5_S5_.num_named_barrier, 0
	.set _ZL33flash_attn_stream_k_fixup_uniformILi64ELi2ELi8EEvPfPK15HIP_vector_typeIfLj2EEiiiiiiS1_IjLj3EES5_S5_.private_seg_size, 0
	.set _ZL33flash_attn_stream_k_fixup_uniformILi64ELi2ELi8EEvPfPK15HIP_vector_typeIfLj2EEiiiiiiS1_IjLj3EES5_S5_.uses_vcc, 1
	.set _ZL33flash_attn_stream_k_fixup_uniformILi64ELi2ELi8EEvPfPK15HIP_vector_typeIfLj2EEiiiiiiS1_IjLj3EES5_S5_.uses_flat_scratch, 0
	.set _ZL33flash_attn_stream_k_fixup_uniformILi64ELi2ELi8EEvPfPK15HIP_vector_typeIfLj2EEiiiiiiS1_IjLj3EES5_S5_.has_dyn_sized_stack, 0
	.set _ZL33flash_attn_stream_k_fixup_uniformILi64ELi2ELi8EEvPfPK15HIP_vector_typeIfLj2EEiiiiiiS1_IjLj3EES5_S5_.has_recursion, 0
	.set _ZL33flash_attn_stream_k_fixup_uniformILi64ELi2ELi8EEvPfPK15HIP_vector_typeIfLj2EEiiiiiiS1_IjLj3EES5_S5_.has_indirect_call, 0
	.section	.AMDGPU.csdata,"",@progbits
; Kernel info:
; codeLenInByte = 848
; TotalNumSgprs: 26
; NumVgprs: 15
; ScratchSize: 0
; MemoryBound: 0
; FloatMode: 240
; IeeeMode: 1
; LDSByteSize: 0 bytes/workgroup (compile time only)
; SGPRBlocks: 0
; VGPRBlocks: 1
; NumSGPRsForWavesPerEU: 26
; NumVGPRsForWavesPerEU: 15
; Occupancy: 16
; WaveLimiterHint : 0
; COMPUTE_PGM_RSRC2:SCRATCH_EN: 0
; COMPUTE_PGM_RSRC2:USER_SGPR: 6
; COMPUTE_PGM_RSRC2:TRAP_HANDLER: 0
; COMPUTE_PGM_RSRC2:TGID_X_EN: 1
; COMPUTE_PGM_RSRC2:TGID_Y_EN: 1
; COMPUTE_PGM_RSRC2:TGID_Z_EN: 1
; COMPUTE_PGM_RSRC2:TIDIG_COMP_CNT: 0
	.section	.text._ZL33flash_attn_stream_k_fixup_generalILi64ELi2ELi8EEvPfPK15HIP_vector_typeIfLj2EEiiiiS1_IjLj3EES5_S5_S5_,"axG",@progbits,_ZL33flash_attn_stream_k_fixup_generalILi64ELi2ELi8EEvPfPK15HIP_vector_typeIfLj2EEiiiiS1_IjLj3EES5_S5_S5_,comdat
	.globl	_ZL33flash_attn_stream_k_fixup_generalILi64ELi2ELi8EEvPfPK15HIP_vector_typeIfLj2EEiiiiS1_IjLj3EES5_S5_S5_ ; -- Begin function _ZL33flash_attn_stream_k_fixup_generalILi64ELi2ELi8EEvPfPK15HIP_vector_typeIfLj2EEiiiiS1_IjLj3EES5_S5_S5_
	.p2align	8
	.type	_ZL33flash_attn_stream_k_fixup_generalILi64ELi2ELi8EEvPfPK15HIP_vector_typeIfLj2EEiiiiS1_IjLj3EES5_S5_S5_,@function
_ZL33flash_attn_stream_k_fixup_generalILi64ELi2ELi8EEvPfPK15HIP_vector_typeIfLj2EEiiiiS1_IjLj3EES5_S5_S5_: ; @_ZL33flash_attn_stream_k_fixup_generalILi64ELi2ELi8EEvPfPK15HIP_vector_typeIfLj2EEiiiiS1_IjLj3EES5_S5_S5_
; %bb.0:
	s_clause 0x1
	s_load_dwordx4 s[0:3], s[4:5], 0x10
	s_load_dword s9, s[4:5], 0x50
	s_mov_b32 s16, 0
	s_waitcnt lgkmcnt(0)
	s_mul_hi_i32 s17, s3, s6
	s_mul_i32 s18, s3, s6
	s_cmp_lg_u64 s[16:17], 0
	s_cbranch_scc0 .LBB12_21
; %bb.1:
	s_add_u32 s10, s9, 0
	s_addc_u32 s11, 0, 0
	s_xor_b64 s[10:11], s[10:11], 0
	v_cvt_f32_u32_e32 v1, s10
	v_cvt_f32_u32_e32 v2, s11
	s_sub_u32 s14, 0, s10
	s_subb_u32 s15, 0, s11
	v_fmamk_f32 v1, v2, 0x4f800000, v1
	v_rcp_f32_e32 v1, v1
	v_mul_f32_e32 v1, 0x5f7ffffc, v1
	v_mul_f32_e32 v2, 0x2f800000, v1
	v_trunc_f32_e32 v2, v2
	v_fmamk_f32 v1, v2, 0xcf800000, v1
	v_cvt_u32_f32_e32 v2, v2
	v_cvt_u32_f32_e32 v1, v1
	v_readfirstlane_b32 s12, v2
	v_readfirstlane_b32 s13, v1
	s_mul_i32 s19, s14, s12
	s_mul_hi_u32 s21, s14, s13
	s_mul_i32 s20, s15, s13
	s_add_i32 s19, s21, s19
	s_mul_i32 s22, s14, s13
	s_add_i32 s19, s19, s20
	s_mul_hi_u32 s21, s13, s22
	s_mul_i32 s24, s13, s19
	s_mul_hi_u32 s23, s12, s22
	s_mul_i32 s20, s12, s22
	s_mul_hi_u32 s22, s13, s19
	s_add_u32 s21, s21, s24
	s_addc_u32 s22, 0, s22
	s_mul_hi_u32 s25, s12, s19
	s_add_u32 s20, s21, s20
	s_mul_i32 s19, s12, s19
	s_addc_u32 s20, s22, s23
	s_addc_u32 s21, s25, 0
	s_add_u32 s19, s20, s19
	s_addc_u32 s20, 0, s21
	s_add_u32 s13, s13, s19
	s_cselect_b32 s19, -1, 0
	s_mul_hi_u32 s21, s14, s13
	s_cmp_lg_u32 s19, 0
	s_mul_i32 s19, s14, s13
	s_addc_u32 s12, s12, s20
	s_mul_i32 s15, s15, s13
	s_mul_i32 s14, s14, s12
	s_mul_hi_u32 s20, s13, s19
	s_add_i32 s14, s21, s14
	s_mul_hi_u32 s21, s12, s19
	s_add_i32 s14, s14, s15
	s_mul_i32 s15, s12, s19
	s_mul_i32 s23, s13, s14
	s_mul_hi_u32 s22, s13, s14
	s_add_u32 s20, s20, s23
	s_addc_u32 s22, 0, s22
	s_mul_hi_u32 s19, s12, s14
	s_add_u32 s15, s20, s15
	s_mul_i32 s14, s12, s14
	s_addc_u32 s15, s22, s21
	s_addc_u32 s19, s19, 0
	s_add_u32 s14, s15, s14
	s_addc_u32 s15, 0, s19
	s_add_u32 s19, s13, s14
	s_cselect_b32 s13, -1, 0
	s_cmp_lg_u32 s13, 0
	s_addc_u32 s20, s12, s15
	s_ashr_i32 s12, s17, 31
	s_add_u32 s14, s18, s12
	s_mov_b32 s13, s12
	s_addc_u32 s15, s17, s12
	s_xor_b64 s[14:15], s[14:15], s[12:13]
	s_mul_i32 s21, s14, s20
	s_mul_hi_u32 s22, s14, s19
	s_mul_hi_u32 s17, s14, s20
	;; [unrolled: 1-line block ×3, first 2 shown]
	s_mul_i32 s19, s15, s19
	s_add_u32 s21, s22, s21
	s_addc_u32 s17, 0, s17
	s_mul_hi_u32 s23, s15, s20
	s_add_u32 s19, s21, s19
	s_mul_i32 s20, s15, s20
	s_addc_u32 s17, s17, s24
	s_addc_u32 s19, s23, 0
	s_add_u32 s17, s17, s20
	s_addc_u32 s19, 0, s19
	s_mul_hi_u32 s20, s10, s17
	s_mul_i32 s21, s10, s19
	s_mul_i32 s22, s11, s17
	s_add_i32 s20, s20, s21
	s_mul_i32 s21, s10, s17
	s_add_i32 s20, s20, s22
	s_sub_i32 s22, s15, s20
	s_sub_u32 s14, s14, s21
	s_cselect_b32 s21, -1, 0
	s_cmp_lg_u32 s21, 0
	s_subb_u32 s22, s22, s11
	s_sub_u32 s23, s14, s10
	s_cselect_b32 s24, -1, 0
	s_cmp_lg_u32 s24, 0
	s_subb_u32 s22, s22, 0
	s_cmp_ge_u32 s22, s11
	s_cselect_b32 s24, -1, 0
	s_cmp_ge_u32 s23, s10
	s_cselect_b32 s23, -1, 0
	s_cmp_eq_u32 s22, s11
	s_cselect_b32 s22, s23, s24
	s_add_u32 s23, s17, 1
	s_addc_u32 s24, s19, 0
	s_add_u32 s25, s17, 2
	s_addc_u32 s26, s19, 0
	s_cmp_lg_u32 s22, 0
	s_cselect_b32 s22, s25, s23
	s_cselect_b32 s23, s26, s24
	s_cmp_lg_u32 s21, 0
	s_subb_u32 s15, s15, s20
	s_cmp_ge_u32 s15, s11
	s_cselect_b32 s20, -1, 0
	s_cmp_ge_u32 s14, s10
	s_cselect_b32 s10, -1, 0
	s_cmp_eq_u32 s15, s11
	s_cselect_b32 s10, s10, s20
	s_cmp_lg_u32 s10, 0
	s_cselect_b32 s11, s23, s19
	s_cselect_b32 s10, s22, s17
	s_xor_b64 s[12:13], s[12:13], 0
	s_xor_b64 s[10:11], s[10:11], s[12:13]
	s_sub_u32 s10, s10, s12
	s_load_dwordx4 s[12:15], s[4:5], 0x44
	s_andn2_b32 vcc_lo, exec_lo, s16
	s_cbranch_vccnz .LBB12_3
.LBB12_2:
	v_cvt_f32_u32_e32 v1, s9
	s_sub_i32 s11, 0, s9
	v_rcp_iflag_f32_e32 v1, v1
	v_mul_f32_e32 v1, 0x4f7ffffe, v1
	v_cvt_u32_f32_e32 v1, v1
	v_readfirstlane_b32 s10, v1
	s_mul_i32 s11, s11, s10
	s_mul_hi_u32 s11, s10, s11
	s_add_i32 s10, s10, s11
	s_mul_hi_u32 s10, s18, s10
	s_mul_i32 s11, s10, s9
	s_waitcnt lgkmcnt(0)
	s_add_i32 s15, s10, 1
	s_sub_i32 s11, s18, s11
	s_sub_i32 s16, s11, s9
	s_cmp_ge_u32 s11, s9
	s_cselect_b32 s10, s15, s10
	s_cselect_b32 s11, s16, s11
	s_add_i32 s15, s10, 1
	s_cmp_ge_u32 s11, s9
	s_cselect_b32 s10, s15, s10
.LBB12_3:
	s_add_i32 s11, s6, 1
	s_mov_b32 s16, 0
	s_mul_hi_i32 s17, s3, s11
	s_mul_i32 s11, s3, s11
	s_cmp_lg_u64 s[16:17], 0
	s_cbranch_scc0 .LBB12_22
; %bb.4:
	s_add_u32 s18, s9, 0
	s_addc_u32 s19, 0, 0
	s_xor_b64 s[18:19], s[18:19], 0
	v_cvt_f32_u32_e32 v1, s18
	v_cvt_f32_u32_e32 v2, s19
	s_sub_u32 s21, 0, s18
	s_subb_u32 s22, 0, s19
	v_fmamk_f32 v1, v2, 0x4f800000, v1
	v_rcp_f32_e32 v1, v1
	v_mul_f32_e32 v1, 0x5f7ffffc, v1
	v_mul_f32_e32 v2, 0x2f800000, v1
	v_trunc_f32_e32 v2, v2
	v_fmamk_f32 v1, v2, 0xcf800000, v1
	v_cvt_u32_f32_e32 v2, v2
	v_cvt_u32_f32_e32 v1, v1
	s_waitcnt lgkmcnt(0)
	v_readfirstlane_b32 s15, v2
	v_readfirstlane_b32 s20, v1
	s_mul_i32 s23, s21, s15
	s_mul_hi_u32 s25, s21, s20
	s_mul_i32 s24, s22, s20
	s_add_i32 s23, s25, s23
	s_mul_i32 s26, s21, s20
	s_add_i32 s23, s23, s24
	s_mul_hi_u32 s25, s20, s26
	s_mul_i32 s28, s20, s23
	s_mul_hi_u32 s27, s15, s26
	s_mul_i32 s24, s15, s26
	s_mul_hi_u32 s26, s20, s23
	s_add_u32 s25, s25, s28
	s_addc_u32 s26, 0, s26
	s_mul_hi_u32 s29, s15, s23
	s_add_u32 s24, s25, s24
	s_mul_i32 s23, s15, s23
	s_addc_u32 s24, s26, s27
	s_addc_u32 s25, s29, 0
	s_add_u32 s23, s24, s23
	s_addc_u32 s24, 0, s25
	s_add_u32 s20, s20, s23
	s_cselect_b32 s23, -1, 0
	s_mul_hi_u32 s25, s21, s20
	s_cmp_lg_u32 s23, 0
	s_mul_i32 s23, s21, s20
	s_addc_u32 s15, s15, s24
	s_mul_i32 s22, s22, s20
	s_mul_i32 s21, s21, s15
	s_mul_hi_u32 s24, s20, s23
	s_add_i32 s21, s25, s21
	s_mul_hi_u32 s25, s15, s23
	s_add_i32 s21, s21, s22
	s_mul_i32 s22, s15, s23
	s_mul_i32 s27, s20, s21
	s_mul_hi_u32 s26, s20, s21
	s_add_u32 s24, s24, s27
	s_addc_u32 s26, 0, s26
	s_mul_hi_u32 s23, s15, s21
	s_add_u32 s22, s24, s22
	s_mul_i32 s21, s15, s21
	s_addc_u32 s22, s26, s25
	s_addc_u32 s23, s23, 0
	s_add_u32 s21, s22, s21
	s_addc_u32 s22, 0, s23
	s_add_u32 s24, s20, s21
	s_cselect_b32 s20, -1, 0
	s_cmp_lg_u32 s20, 0
	s_addc_u32 s15, s15, s22
	s_ashr_i32 s20, s17, 31
	s_add_u32 s22, s11, s20
	s_mov_b32 s21, s20
	s_addc_u32 s23, s17, s20
	s_xor_b64 s[22:23], s[22:23], s[20:21]
	s_mul_i32 s25, s22, s15
	s_mul_hi_u32 s26, s22, s24
	s_mul_hi_u32 s17, s22, s15
	s_mul_hi_u32 s28, s23, s24
	s_mul_i32 s24, s23, s24
	s_add_u32 s25, s26, s25
	s_addc_u32 s17, 0, s17
	s_mul_hi_u32 s27, s23, s15
	s_add_u32 s24, s25, s24
	s_mul_i32 s15, s23, s15
	s_addc_u32 s17, s17, s28
	s_addc_u32 s24, s27, 0
	s_add_u32 s15, s17, s15
	s_addc_u32 s17, 0, s24
	s_mul_hi_u32 s24, s18, s15
	s_mul_i32 s25, s18, s17
	s_mul_i32 s26, s19, s15
	s_add_i32 s24, s24, s25
	s_mul_i32 s25, s18, s15
	s_add_i32 s24, s24, s26
	s_sub_i32 s26, s23, s24
	s_sub_u32 s22, s22, s25
	s_cselect_b32 s25, -1, 0
	s_cmp_lg_u32 s25, 0
	s_subb_u32 s26, s26, s19
	s_sub_u32 s27, s22, s18
	s_cselect_b32 s28, -1, 0
	s_cmp_lg_u32 s28, 0
	s_subb_u32 s26, s26, 0
	s_cmp_ge_u32 s26, s19
	s_cselect_b32 s28, -1, 0
	s_cmp_ge_u32 s27, s18
	s_cselect_b32 s27, -1, 0
	s_cmp_eq_u32 s26, s19
	s_cselect_b32 s26, s27, s28
	s_add_u32 s27, s15, 1
	s_addc_u32 s28, s17, 0
	s_add_u32 s29, s15, 2
	s_addc_u32 s30, s17, 0
	s_cmp_lg_u32 s26, 0
	s_cselect_b32 s26, s29, s27
	s_cselect_b32 s27, s30, s28
	s_cmp_lg_u32 s25, 0
	s_subb_u32 s23, s23, s24
	s_cmp_ge_u32 s23, s19
	s_cselect_b32 s24, -1, 0
	s_cmp_ge_u32 s22, s18
	s_cselect_b32 s18, -1, 0
	s_cmp_eq_u32 s23, s19
	s_cselect_b32 s18, s18, s24
	s_cmp_lg_u32 s18, 0
	s_cselect_b32 s19, s27, s17
	s_cselect_b32 s18, s26, s15
	s_xor_b64 s[20:21], s[20:21], 0
	s_xor_b64 s[18:19], s[18:19], s[20:21]
	s_sub_u32 s18, s18, s20
	s_andn2_b32 vcc_lo, exec_lo, s16
	s_cbranch_vccnz .LBB12_6
.LBB12_5:
	v_cvt_f32_u32_e32 v1, s9
	s_sub_i32 s16, 0, s9
	v_rcp_iflag_f32_e32 v1, v1
	v_mul_f32_e32 v1, 0x4f7ffffe, v1
	v_cvt_u32_f32_e32 v1, v1
	s_waitcnt lgkmcnt(0)
	v_readfirstlane_b32 s15, v1
	s_mul_i32 s16, s16, s15
	s_mul_hi_u32 s16, s15, s16
	s_add_i32 s15, s15, s16
	s_mul_hi_u32 s15, s11, s15
	s_mul_i32 s16, s15, s9
	s_sub_i32 s11, s11, s16
	s_add_i32 s16, s15, 1
	s_sub_i32 s17, s11, s9
	s_cmp_ge_u32 s11, s9
	s_cselect_b32 s15, s16, s15
	s_cselect_b32 s11, s17, s11
	s_add_i32 s16, s15, 1
	s_cmp_ge_u32 s11, s9
	s_cselect_b32 s18, s16, s15
.LBB12_6:
	s_cmp_eq_u32 s10, s18
	s_waitcnt lgkmcnt(0)
	s_mul_hi_u32 s11, s10, s12
	s_cselect_b32 s15, -1, 0
	s_add_i32 s11, s11, s10
	s_lshr_b32 s11, s11, s13
	s_mul_i32 s16, s11, s14
	s_cmp_eq_u32 s16, s10
	s_mul_hi_u32 s16, s18, s12
	s_cselect_b32 s17, -1, 0
	s_add_i32 s16, s16, s18
	s_lshr_b32 s16, s16, s13
	s_cmp_eq_u32 s11, s16
	s_mul_i32 s16, s16, s14
	s_cselect_b32 s19, -1, 0
	s_cmp_lg_u32 s16, s18
	s_cselect_b32 s16, -1, 0
	s_or_b32 s15, s15, s17
	s_and_b32 s16, s19, s16
	s_or_b32 s15, s15, s16
	s_and_b32 vcc_lo, exec_lo, s15
	s_cbranch_vccnz .LBB12_24
; %bb.7:
	s_clause 0x1
	s_load_dwordx8 s[20:27], s[4:5], 0x20
	s_load_dword s16, s[4:5], 0x40
	s_waitcnt lgkmcnt(0)
	s_mul_hi_u32 s15, s10, s20
	s_add_i32 s15, s15, s10
	s_lshr_b32 s15, s15, s21
	s_mul_i32 s17, s15, s22
	s_sub_i32 s17, s10, s17
	s_mul_hi_u32 s18, s17, s23
	s_add_i32 s18, s17, s18
	s_lshr_b32 s22, s18, s24
	s_mul_i32 s18, s22, s25
	s_sub_i32 s17, s17, s18
	s_mul_hi_u32 s18, s17, s26
	s_add_i32 s18, s17, s18
	s_lshr_b32 s18, s18, s27
	s_mul_i32 s16, s18, s16
	s_lshl_b32 s24, s18, 3
	s_sub_i32 s16, s17, s16
	s_mul_hi_u32 s17, s16, s12
	s_add_i32 s16, s16, s17
	s_lshr_b32 s23, s16, s13
	s_lshl_b32 s16, s23, 1
	s_add_i32 s16, s16, s7
	s_cmp_lt_i32 s16, s0
	s_cselect_b32 s16, -1, 0
	s_add_i32 s17, s24, s8
	s_cmp_lt_i32 s17, s2
	s_cselect_b32 s17, -1, 0
	s_and_b32 s16, s16, s17
	s_andn2_b32 vcc_lo, exec_lo, s16
	s_cbranch_vccnz .LBB12_24
; %bb.8:
	s_load_dwordx4 s[16:19], s[4:5], 0x0
	s_mov_b32 s4, 0
	s_lshl_b32 s20, s9, 6
	s_mov_b32 s21, s4
	s_lshl_b32 s5, s7, 3
	s_lshl_b64 s[20:21], s[20:21], 2
	s_mul_i32 s0, s15, s0
	s_add_i32 s15, s5, s8
	s_mul_i32 s22, s22, s2
	v_cvt_f32_u32_e32 v4, s9
	v_rcp_iflag_f32_e32 v4, v4
	s_waitcnt lgkmcnt(0)
	s_add_u32 s20, s18, s20
	s_addc_u32 s21, s19, s21
	s_add_i32 s0, s0, s7
	s_mul_i32 s0, s0, s1
	s_mul_i32 s1, s1, s23
	s_add_i32 s0, s0, s8
	s_lshl_b32 s1, s1, 7
	s_add_i32 s0, s0, s22
	v_mul_f32_e32 v4, 0x4f7ffffe, v4
	s_add_i32 s0, s0, s24
	s_lshl_b32 s0, s0, 6
	s_add_i32 s1, s1, s0
	s_lshl_b32 s0, s6, 4
	v_or_b32_e32 v1, s1, v0
	s_add_i32 s0, s15, s0
	v_lshl_or_b32 v0, s15, 6, v0
	s_ashr_i32 s1, s0, 31
	v_cvt_u32_f32_e32 v4, v4
	v_ashrrev_i32_e32 v2, 31, v1
	s_lshl_b64 s[0:1], s[0:1], 3
	s_add_u32 s0, s18, s0
	s_addc_u32 s1, s19, s1
	v_lshlrev_b64 v[1:2], 2, v[1:2]
	s_load_dwordx2 s[0:1], s[0:1], 0x0
	s_add_i32 s8, s6, -1
	s_sub_i32 s2, 0, s9
	v_add_co_u32 v1, vcc_lo, s16, v1
	v_add_co_ci_u32_e64 v2, null, s17, v2, vcc_lo
	global_load_dword v3, v[1:2], off
	s_waitcnt lgkmcnt(0)
	v_mov_b32_e32 v5, s1
	v_mov_b32_e32 v6, s0
.LBB12_9:                               ; =>This Inner Loop Header: Depth=1
	s_mul_hi_i32 s5, s8, s3
	s_mul_i32 s6, s8, s3
	s_cmp_lg_u64 s[4:5], 0
	s_mov_b32 s7, -1
                                        ; implicit-def: $sgpr0_sgpr1
	s_cbranch_scc0 .LBB12_11
; %bb.10:                               ;   in Loop: Header=BB12_9 Depth=1
	s_add_u32 s0, s9, 0
	s_addc_u32 s1, 0, 0
	s_xor_b64 s[0:1], s[0:1], 0
	v_cvt_f32_u32_e32 v7, s0
	v_cvt_f32_u32_e32 v8, s1
	s_sub_u32 s17, 0, s0
	s_subb_u32 s22, 0, s1
	v_fmac_f32_e32 v7, 0x4f800000, v8
	v_rcp_f32_e32 v7, v7
	v_mul_f32_e32 v7, 0x5f7ffffc, v7
	v_mul_f32_e32 v8, 0x2f800000, v7
	v_trunc_f32_e32 v8, v8
	v_fmac_f32_e32 v7, 0xcf800000, v8
	v_cvt_u32_f32_e32 v8, v8
	v_cvt_u32_f32_e32 v7, v7
	v_readfirstlane_b32 s7, v8
	v_readfirstlane_b32 s16, v7
	s_mul_i32 s23, s17, s7
	s_mul_hi_u32 s25, s17, s16
	s_mul_i32 s24, s22, s16
	s_add_i32 s23, s25, s23
	s_mul_i32 s26, s17, s16
	s_add_i32 s23, s23, s24
	s_mul_hi_u32 s25, s16, s26
	s_mul_i32 s28, s16, s23
	s_mul_hi_u32 s27, s7, s26
	s_mul_i32 s24, s7, s26
	s_mul_hi_u32 s26, s16, s23
	s_add_u32 s25, s25, s28
	s_addc_u32 s26, 0, s26
	s_mul_hi_u32 s29, s7, s23
	s_add_u32 s24, s25, s24
	s_mul_i32 s23, s7, s23
	s_addc_u32 s24, s26, s27
	s_addc_u32 s25, s29, 0
	s_add_u32 s23, s24, s23
	s_addc_u32 s24, 0, s25
	s_add_u32 s16, s16, s23
	s_cselect_b32 s23, -1, 0
	s_mul_hi_u32 s25, s17, s16
	s_cmp_lg_u32 s23, 0
	s_mul_i32 s23, s17, s16
	s_addc_u32 s7, s7, s24
	s_mul_i32 s22, s22, s16
	s_mul_i32 s17, s17, s7
	s_mul_hi_u32 s24, s16, s23
	s_add_i32 s17, s25, s17
	s_mul_hi_u32 s25, s7, s23
	s_add_i32 s17, s17, s22
	s_mul_i32 s22, s7, s23
	s_mul_i32 s27, s16, s17
	s_mul_hi_u32 s26, s16, s17
	s_add_u32 s24, s24, s27
	s_addc_u32 s26, 0, s26
	s_mul_hi_u32 s23, s7, s17
	s_add_u32 s22, s24, s22
	s_mul_i32 s17, s7, s17
	s_addc_u32 s22, s26, s25
	s_addc_u32 s23, s23, 0
	s_add_u32 s17, s22, s17
	s_addc_u32 s22, 0, s23
	s_add_u32 s24, s16, s17
	s_cselect_b32 s16, -1, 0
	s_cmp_lg_u32 s16, 0
	s_addc_u32 s7, s7, s22
	s_ashr_i32 s16, s5, 31
	s_add_u32 s22, s6, s16
	s_mov_b32 s17, s16
	s_addc_u32 s23, s5, s16
	s_xor_b64 s[22:23], s[22:23], s[16:17]
	s_mul_i32 s25, s22, s7
	s_mul_hi_u32 s26, s22, s24
	s_mul_hi_u32 s5, s22, s7
	;; [unrolled: 1-line block ×3, first 2 shown]
	s_mul_i32 s24, s23, s24
	s_add_u32 s25, s26, s25
	s_addc_u32 s5, 0, s5
	s_mul_hi_u32 s27, s23, s7
	s_add_u32 s24, s25, s24
	s_mul_i32 s7, s23, s7
	s_addc_u32 s5, s5, s28
	s_addc_u32 s24, s27, 0
	s_add_u32 s5, s5, s7
	s_addc_u32 s7, 0, s24
	s_mul_hi_u32 s24, s0, s5
	s_mul_i32 s25, s0, s7
	s_mul_i32 s26, s1, s5
	s_add_i32 s24, s24, s25
	s_mul_i32 s25, s0, s5
	s_add_i32 s24, s24, s26
	s_sub_i32 s26, s23, s24
	s_sub_u32 s22, s22, s25
	s_cselect_b32 s25, -1, 0
	s_cmp_lg_u32 s25, 0
	s_subb_u32 s26, s26, s1
	s_sub_u32 s27, s22, s0
	s_cselect_b32 s28, -1, 0
	s_cmp_lg_u32 s28, 0
	s_subb_u32 s26, s26, 0
	s_cmp_ge_u32 s26, s1
	s_cselect_b32 s28, -1, 0
	s_cmp_ge_u32 s27, s0
	s_cselect_b32 s27, -1, 0
	s_cmp_eq_u32 s26, s1
	s_cselect_b32 s26, s27, s28
	s_add_u32 s27, s5, 1
	s_addc_u32 s28, s7, 0
	s_add_u32 s29, s5, 2
	s_addc_u32 s30, s7, 0
	s_cmp_lg_u32 s26, 0
	s_cselect_b32 s26, s29, s27
	s_cselect_b32 s27, s30, s28
	s_cmp_lg_u32 s25, 0
	s_subb_u32 s23, s23, s24
	s_cmp_ge_u32 s23, s1
	s_cselect_b32 s24, -1, 0
	s_cmp_ge_u32 s22, s0
	s_cselect_b32 s0, -1, 0
	s_cmp_eq_u32 s23, s1
	s_cselect_b32 s0, s0, s24
	s_cmp_lg_u32 s0, 0
	s_cselect_b32 s1, s27, s7
	s_cselect_b32 s0, s26, s5
	s_xor_b64 s[16:17], s[16:17], 0
	s_mov_b32 s7, 0
	s_xor_b64 s[0:1], s[0:1], s[16:17]
	s_sub_u32 s0, s0, s16
.LBB12_11:                              ;   in Loop: Header=BB12_9 Depth=1
	s_andn2_b32 vcc_lo, exec_lo, s7
	s_cbranch_vccnz .LBB12_13
; %bb.12:                               ;   in Loop: Header=BB12_9 Depth=1
	v_readfirstlane_b32 s0, v4
	s_mul_i32 s1, s2, s0
	s_mul_hi_u32 s1, s0, s1
	s_add_i32 s0, s0, s1
	s_mul_hi_u32 s0, s6, s0
	s_mul_i32 s1, s0, s9
	s_add_i32 s5, s0, 1
	s_sub_i32 s1, s6, s1
	s_sub_i32 s6, s1, s9
	s_cmp_ge_u32 s1, s9
	s_cselect_b32 s0, s5, s0
	s_cselect_b32 s1, s6, s1
	s_add_i32 s5, s0, 1
	s_cmp_ge_u32 s1, s9
	s_cselect_b32 s0, s5, s0
.LBB12_13:                              ;   in Loop: Header=BB12_9 Depth=1
	s_cmp_lg_u32 s10, s0
	s_mov_b32 s6, -1
                                        ; implicit-def: $sgpr5
                                        ; implicit-def: $vgpr8
                                        ; implicit-def: $vgpr7
                                        ; implicit-def: $vgpr9
                                        ; implicit-def: $sgpr1
                                        ; implicit-def: $sgpr16
	s_cbranch_scc0 .LBB12_18
; %bb.14:                               ;   in Loop: Header=BB12_9 Depth=1
	s_add_i32 s1, s8, s9
	s_mov_b32 s7, s4
	s_lshl_b32 s1, s1, 4
	s_mov_b32 s16, s10
	s_add_i32 s6, s1, s15
	s_mul_hi_u32 s1, s0, s12
	s_lshl_b64 s[6:7], s[6:7], 3
	s_add_u32 s6, s18, s6
	s_addc_u32 s7, s19, s7
	s_add_i32 s1, s1, s0
	s_lshr_b32 s1, s1, s13
	s_mul_i32 s5, s1, s14
	s_cmp_eq_u32 s5, s0
	s_cselect_b32 s5, -1, 0
	s_cmp_lt_u32 s1, s11
	s_cselect_b32 s1, -1, 0
	s_or_b32 s1, s1, s5
	s_mov_b32 s5, -1
	s_and_b32 vcc_lo, exec_lo, s1
	s_mov_b32 s1, s8
	s_cbranch_vccnz .LBB12_16
; %bb.15:                               ;   in Loop: Header=BB12_9 Depth=1
	s_add_i32 s1, s8, -1
	s_mov_b32 s5, 0
	s_mov_b32 s16, s0
.LBB12_16:                              ;   in Loop: Header=BB12_9 Depth=1
	v_lshl_add_u32 v7, s8, 10, v0
	s_load_dwordx2 s[6:7], s[6:7], 0x0
	v_ashrrev_i32_e32 v8, 31, v7
	v_lshlrev_b64 v[7:8], 2, v[7:8]
	v_add_co_u32 v7, vcc_lo, s20, v7
	v_add_co_ci_u32_e64 v8, null, s21, v8, vcc_lo
	s_waitcnt lgkmcnt(0)
	v_max_f32_e64 v9, s6, s6
	global_load_dword v8, v[7:8], off
	v_max_f32_e32 v7, v6, v6
	v_max_f32_e32 v7, v7, v9
	v_sub_f32_e32 v9, s6, v7
	v_sub_f32_e32 v10, v6, v7
	v_mul_f32_e32 v11, 0x3fb8aa3b, v9
	v_mul_f32_e32 v12, 0x3fb8aa3b, v10
	v_cmp_ngt_f32_e32 vcc_lo, 0xc2ce8ed0, v9
	v_fma_f32 v13, 0x3fb8aa3b, v9, -v11
	v_rndne_f32_e32 v14, v11
	v_fma_f32 v15, 0x3fb8aa3b, v10, -v12
	v_rndne_f32_e32 v16, v12
	v_fmac_f32_e32 v13, 0x32a5705f, v9
	v_sub_f32_e32 v11, v11, v14
	v_fmac_f32_e32 v15, 0x32a5705f, v10
	v_sub_f32_e32 v12, v12, v16
	v_add_f32_e32 v11, v11, v13
	v_cvt_i32_f32_e32 v13, v14
	v_add_f32_e32 v12, v12, v15
	v_cvt_i32_f32_e32 v14, v16
	v_exp_f32_e32 v11, v11
	v_exp_f32_e32 v12, v12
	v_ldexp_f32 v11, v11, v13
	v_ldexp_f32 v12, v12, v14
	v_cndmask_b32_e32 v11, 0, v11, vcc_lo
	v_cmp_ngt_f32_e32 vcc_lo, 0xc2ce8ed0, v10
	v_cndmask_b32_e32 v12, 0, v12, vcc_lo
	v_cmp_nlt_f32_e32 vcc_lo, 0x42b17218, v9
	v_cndmask_b32_e32 v11, 0x7f800000, v11, vcc_lo
	v_cmp_nlt_f32_e32 vcc_lo, 0x42b17218, v10
	v_cndmask_b32_e32 v12, 0x7f800000, v12, vcc_lo
	v_cmp_le_f32_e32 vcc_lo, 0xc1a00000, v9
	v_cndmask_b32_e32 v9, 0, v11, vcc_lo
	v_cmp_le_f32_e32 vcc_lo, 0xc1a00000, v10
	v_cndmask_b32_e32 v10, 0, v12, vcc_lo
	s_waitcnt vmcnt(0)
	v_mul_f32_e32 v8, v8, v9
	v_mul_f32_e32 v9, s7, v9
	v_fmac_f32_e32 v8, v3, v10
	v_fmac_f32_e32 v9, v5, v10
	s_cbranch_execz .LBB12_19
.LBB12_17:                              ;   in Loop: Header=BB12_9 Depth=1
	s_andn2_b32 vcc_lo, exec_lo, s5
	s_cbranch_vccnz .LBB12_20
	s_branch .LBB12_23
.LBB12_18:                              ;   in Loop: Header=BB12_9 Depth=1
	s_andn2_b32 vcc_lo, exec_lo, s6
	s_cbranch_vccnz .LBB12_17
.LBB12_19:                              ;   in Loop: Header=BB12_9 Depth=1
	v_mov_b32_e32 v9, v5
	v_mov_b32_e32 v7, v6
	s_waitcnt vmcnt(0)
	v_mov_b32_e32 v8, v3
	s_add_i32 s1, s8, -1
	s_mov_b32 s16, s10
	s_cbranch_execz .LBB12_23
.LBB12_20:                              ;   in Loop: Header=BB12_9 Depth=1
	v_mov_b32_e32 v5, v9
	v_mov_b32_e32 v6, v7
	s_waitcnt vmcnt(0)
	v_mov_b32_e32 v3, v8
	s_mov_b32 s10, s16
	s_mov_b32 s8, s1
	s_branch .LBB12_9
.LBB12_21:
                                        ; implicit-def: $sgpr10_sgpr11
	s_load_dwordx4 s[12:15], s[4:5], 0x44
	s_branch .LBB12_2
.LBB12_22:
                                        ; implicit-def: $sgpr18_sgpr19
	s_branch .LBB12_5
.LBB12_23:
	v_div_scale_f32 v0, null, v9, v9, v8
	s_waitcnt vmcnt(0)
	v_rcp_f32_e32 v3, v0
	v_fma_f32 v4, -v0, v3, 1.0
	v_fmac_f32_e32 v3, v4, v3
	v_div_scale_f32 v4, vcc_lo, v8, v9, v8
	v_mul_f32_e32 v5, v4, v3
	v_fma_f32 v6, -v0, v5, v4
	v_fmac_f32_e32 v5, v6, v3
	v_fma_f32 v0, -v0, v5, v4
	v_div_fmas_f32 v0, v0, v3, v5
	v_div_fixup_f32 v0, v0, v9, v8
	global_store_dword v[1:2], v0, off
.LBB12_24:
	s_endpgm
	.section	.rodata,"a",@progbits
	.p2align	6, 0x0
	.amdhsa_kernel _ZL33flash_attn_stream_k_fixup_generalILi64ELi2ELi8EEvPfPK15HIP_vector_typeIfLj2EEiiiiS1_IjLj3EES5_S5_S5_
		.amdhsa_group_segment_fixed_size 0
		.amdhsa_private_segment_fixed_size 0
		.amdhsa_kernarg_size 336
		.amdhsa_user_sgpr_count 6
		.amdhsa_user_sgpr_private_segment_buffer 1
		.amdhsa_user_sgpr_dispatch_ptr 0
		.amdhsa_user_sgpr_queue_ptr 0
		.amdhsa_user_sgpr_kernarg_segment_ptr 1
		.amdhsa_user_sgpr_dispatch_id 0
		.amdhsa_user_sgpr_flat_scratch_init 0
		.amdhsa_user_sgpr_private_segment_size 0
		.amdhsa_wavefront_size32 1
		.amdhsa_uses_dynamic_stack 0
		.amdhsa_system_sgpr_private_segment_wavefront_offset 0
		.amdhsa_system_sgpr_workgroup_id_x 1
		.amdhsa_system_sgpr_workgroup_id_y 1
		.amdhsa_system_sgpr_workgroup_id_z 1
		.amdhsa_system_sgpr_workgroup_info 0
		.amdhsa_system_vgpr_workitem_id 0
		.amdhsa_next_free_vgpr 17
		.amdhsa_next_free_sgpr 31
		.amdhsa_reserve_vcc 1
		.amdhsa_reserve_flat_scratch 0
		.amdhsa_float_round_mode_32 0
		.amdhsa_float_round_mode_16_64 0
		.amdhsa_float_denorm_mode_32 3
		.amdhsa_float_denorm_mode_16_64 3
		.amdhsa_dx10_clamp 1
		.amdhsa_ieee_mode 1
		.amdhsa_fp16_overflow 0
		.amdhsa_workgroup_processor_mode 1
		.amdhsa_memory_ordered 1
		.amdhsa_forward_progress 1
		.amdhsa_shared_vgpr_count 0
		.amdhsa_exception_fp_ieee_invalid_op 0
		.amdhsa_exception_fp_denorm_src 0
		.amdhsa_exception_fp_ieee_div_zero 0
		.amdhsa_exception_fp_ieee_overflow 0
		.amdhsa_exception_fp_ieee_underflow 0
		.amdhsa_exception_fp_ieee_inexact 0
		.amdhsa_exception_int_div_zero 0
	.end_amdhsa_kernel
	.section	.text._ZL33flash_attn_stream_k_fixup_generalILi64ELi2ELi8EEvPfPK15HIP_vector_typeIfLj2EEiiiiS1_IjLj3EES5_S5_S5_,"axG",@progbits,_ZL33flash_attn_stream_k_fixup_generalILi64ELi2ELi8EEvPfPK15HIP_vector_typeIfLj2EEiiiiS1_IjLj3EES5_S5_S5_,comdat
.Lfunc_end12:
	.size	_ZL33flash_attn_stream_k_fixup_generalILi64ELi2ELi8EEvPfPK15HIP_vector_typeIfLj2EEiiiiS1_IjLj3EES5_S5_S5_, .Lfunc_end12-_ZL33flash_attn_stream_k_fixup_generalILi64ELi2ELi8EEvPfPK15HIP_vector_typeIfLj2EEiiiiS1_IjLj3EES5_S5_S5_
                                        ; -- End function
	.set _ZL33flash_attn_stream_k_fixup_generalILi64ELi2ELi8EEvPfPK15HIP_vector_typeIfLj2EEiiiiS1_IjLj3EES5_S5_S5_.num_vgpr, 17
	.set _ZL33flash_attn_stream_k_fixup_generalILi64ELi2ELi8EEvPfPK15HIP_vector_typeIfLj2EEiiiiS1_IjLj3EES5_S5_S5_.num_agpr, 0
	.set _ZL33flash_attn_stream_k_fixup_generalILi64ELi2ELi8EEvPfPK15HIP_vector_typeIfLj2EEiiiiS1_IjLj3EES5_S5_S5_.numbered_sgpr, 31
	.set _ZL33flash_attn_stream_k_fixup_generalILi64ELi2ELi8EEvPfPK15HIP_vector_typeIfLj2EEiiiiS1_IjLj3EES5_S5_S5_.num_named_barrier, 0
	.set _ZL33flash_attn_stream_k_fixup_generalILi64ELi2ELi8EEvPfPK15HIP_vector_typeIfLj2EEiiiiS1_IjLj3EES5_S5_S5_.private_seg_size, 0
	.set _ZL33flash_attn_stream_k_fixup_generalILi64ELi2ELi8EEvPfPK15HIP_vector_typeIfLj2EEiiiiS1_IjLj3EES5_S5_S5_.uses_vcc, 1
	.set _ZL33flash_attn_stream_k_fixup_generalILi64ELi2ELi8EEvPfPK15HIP_vector_typeIfLj2EEiiiiS1_IjLj3EES5_S5_S5_.uses_flat_scratch, 0
	.set _ZL33flash_attn_stream_k_fixup_generalILi64ELi2ELi8EEvPfPK15HIP_vector_typeIfLj2EEiiiiS1_IjLj3EES5_S5_S5_.has_dyn_sized_stack, 0
	.set _ZL33flash_attn_stream_k_fixup_generalILi64ELi2ELi8EEvPfPK15HIP_vector_typeIfLj2EEiiiiS1_IjLj3EES5_S5_S5_.has_recursion, 0
	.set _ZL33flash_attn_stream_k_fixup_generalILi64ELi2ELi8EEvPfPK15HIP_vector_typeIfLj2EEiiiiS1_IjLj3EES5_S5_S5_.has_indirect_call, 0
	.section	.AMDGPU.csdata,"",@progbits
; Kernel info:
; codeLenInByte = 2944
; TotalNumSgprs: 33
; NumVgprs: 17
; ScratchSize: 0
; MemoryBound: 0
; FloatMode: 240
; IeeeMode: 1
; LDSByteSize: 0 bytes/workgroup (compile time only)
; SGPRBlocks: 0
; VGPRBlocks: 2
; NumSGPRsForWavesPerEU: 33
; NumVGPRsForWavesPerEU: 17
; Occupancy: 16
; WaveLimiterHint : 0
; COMPUTE_PGM_RSRC2:SCRATCH_EN: 0
; COMPUTE_PGM_RSRC2:USER_SGPR: 6
; COMPUTE_PGM_RSRC2:TRAP_HANDLER: 0
; COMPUTE_PGM_RSRC2:TGID_X_EN: 1
; COMPUTE_PGM_RSRC2:TGID_Y_EN: 1
; COMPUTE_PGM_RSRC2:TGID_Z_EN: 1
; COMPUTE_PGM_RSRC2:TIDIG_COMP_CNT: 0
	.section	.text._ZL15flash_attn_tileILi64ELi64ELi1ELi8ELb0EEvPKcS1_S1_S1_S1_PKiPfP15HIP_vector_typeIfLj2EEffffjfiS5_IjLj3EEiiiiiiiiiiiliiliiiiil,"axG",@progbits,_ZL15flash_attn_tileILi64ELi64ELi1ELi8ELb0EEvPKcS1_S1_S1_S1_PKiPfP15HIP_vector_typeIfLj2EEffffjfiS5_IjLj3EEiiiiiiiiiiiliiliiiiil,comdat
	.globl	_ZL15flash_attn_tileILi64ELi64ELi1ELi8ELb0EEvPKcS1_S1_S1_S1_PKiPfP15HIP_vector_typeIfLj2EEffffjfiS5_IjLj3EEiiiiiiiiiiiliiliiiiil ; -- Begin function _ZL15flash_attn_tileILi64ELi64ELi1ELi8ELb0EEvPKcS1_S1_S1_S1_PKiPfP15HIP_vector_typeIfLj2EEffffjfiS5_IjLj3EEiiiiiiiiiiiliiliiiiil
	.p2align	8
	.type	_ZL15flash_attn_tileILi64ELi64ELi1ELi8ELb0EEvPKcS1_S1_S1_S1_PKiPfP15HIP_vector_typeIfLj2EEffffjfiS5_IjLj3EEiiiiiiiiiiiliiliiiiil,@function
_ZL15flash_attn_tileILi64ELi64ELi1ELi8ELb0EEvPKcS1_S1_S1_S1_PKiPfP15HIP_vector_typeIfLj2EEffffjfiS5_IjLj3EEiiiiiiiiiiiliiliiiiil: ; @_ZL15flash_attn_tileILi64ELi64ELi1ELi8ELb0EEvPKcS1_S1_S1_S1_PKiPfP15HIP_vector_typeIfLj2EEffffjfiS5_IjLj3EEiiiiiiiiiiiliiliiiiil
; %bb.0:
	s_clause 0x1
	s_load_dwordx4 s[24:27], s[4:5], 0x5c
	s_load_dwordx2 s[30:31], s[4:5], 0x80
	s_mov_b32 s28, s7
	s_mov_b64 s[34:35], 0
	s_waitcnt lgkmcnt(0)
	s_ashr_i32 s0, s27, 31
	s_lshr_b32 s0, s0, 29
	s_add_i32 s0, s27, s0
	s_ashr_i32 s0, s0, 3
	v_cvt_f32_u32_e32 v2, s0
	s_sub_i32 s2, 0, s0
	v_rcp_iflag_f32_e32 v2, v2
	v_mul_f32_e32 v2, 0x4f7ffffe, v2
	v_cvt_u32_f32_e32 v2, v2
	v_readfirstlane_b32 s1, v2
	s_mul_i32 s2, s2, s1
	s_mul_hi_u32 s2, s1, s2
	s_add_i32 s1, s1, s2
	s_mul_hi_u32 s1, s8, s1
	s_mul_i32 s2, s1, s0
	s_add_i32 s3, s1, 1
	s_sub_i32 s2, s8, s2
	s_sub_i32 s7, s2, s0
	s_cmp_ge_u32 s2, s0
	s_cselect_b32 s1, s3, s1
	s_cselect_b32 s2, s7, s2
	s_add_i32 s3, s1, 1
	s_cmp_ge_u32 s2, s0
	s_cselect_b32 s29, s3, s1
	s_abs_i32 s0, s31
	s_lshl_b32 s3, s8, 3
	v_cvt_f32_u32_e32 v2, s0
	s_sub_i32 s2, 0, s0
	s_abs_i32 s8, s27
	s_mul_i32 s7, s29, s27
	v_rcp_iflag_f32_e32 v2, v2
	s_sub_i32 s33, s3, s7
	v_mul_f32_e32 v2, 0x4f7ffffe, v2
	v_cvt_u32_f32_e32 v2, v2
	v_readfirstlane_b32 s1, v2
	s_mul_i32 s2, s2, s1
	s_mul_hi_u32 s2, s1, s2
	s_add_i32 s1, s1, s2
	s_xor_b32 s2, s27, s31
	s_mul_hi_u32 s1, s8, s1
	s_ashr_i32 s2, s2, 31
	s_mul_i32 s3, s1, s0
	s_add_i32 s7, s1, 1
	s_sub_i32 s3, s8, s3
	s_sub_i32 s8, s3, s0
	s_cmp_ge_u32 s3, s0
	s_cselect_b32 s1, s7, s1
	s_cselect_b32 s3, s8, s3
	s_add_i32 s7, s1, 1
	s_cmp_ge_u32 s3, s0
	s_clause 0x1
	s_load_dwordx16 s[8:23], s[4:5], 0x0
	s_load_dwordx2 s[36:37], s[4:5], 0xb8
	s_cselect_b32 s0, s7, s1
	s_xor_b32 s0, s0, s2
	s_sub_i32 s31, s0, s2
	s_abs_i32 s7, s31
	v_cvt_f32_u32_e32 v2, s7
	v_rcp_iflag_f32_e32 v2, v2
	s_waitcnt lgkmcnt(0)
	s_cmp_eq_u64 s[14:15], 0
	v_mul_f32_e32 v2, 0x4f7ffffe, v2
	v_cvt_u32_f32_e32 v2, v2
	v_readfirstlane_b32 s38, v2
	s_cbranch_scc1 .LBB13_2
; %bb.1:
	s_abs_i32 s2, s36
	s_abs_i32 s3, s29
	v_cvt_f32_u32_e32 v2, s2
	s_sub_i32 s1, 0, s2
	v_rcp_iflag_f32_e32 v2, v2
	v_mul_f32_e32 v2, 0x4f7ffffe, v2
	v_cvt_u32_f32_e32 v2, v2
	v_readfirstlane_b32 s0, v2
	s_mul_i32 s1, s1, s0
	s_mul_hi_u32 s1, s0, s1
	s_add_i32 s0, s0, s1
	s_mul_hi_u32 s34, s3, s0
	s_load_dwordx2 s[0:1], s[4:5], 0xc8
	s_mul_i32 s34, s34, s2
	s_sub_i32 s3, s3, s34
	s_ashr_i32 s34, s29, 31
	s_sub_i32 s35, s3, s2
	s_cmp_ge_u32 s3, s2
	s_cselect_b32 s3, s35, s3
	s_sub_i32 s35, s3, s2
	s_cmp_ge_u32 s3, s2
	s_cselect_b32 s2, s35, s3
	s_xor_b32 s2, s2, s34
	s_sub_i32 s2, s2, s34
	s_ashr_i32 s3, s2, 31
	s_waitcnt lgkmcnt(0)
	s_mul_hi_u32 s34, s0, s2
	s_mul_i32 s3, s0, s3
	s_mul_i32 s1, s1, s2
	s_add_i32 s3, s34, s3
	s_mul_i32 s0, s0, s2
	s_add_i32 s3, s3, s1
	s_add_u32 s34, s14, s0
	s_addc_u32 s35, s15, s3
.LBB13_2:
	v_lshrrev_b32_e32 v2, 2, v1
	s_load_dwordx4 s[0:3], s[4:5], 0x70
	v_lshlrev_b32_e32 v5, 1, v1
	v_add_nc_u32_e32 v33, s6, v2
	v_and_b32_e32 v69, 6, v5
	v_or_b32_e32 v12, 1, v5
	v_mul_hi_u32 v2, s24, v33
	v_and_b32_e32 v13, 7, v12
	v_add_nc_u32_e32 v2, v33, v2
	s_waitcnt lgkmcnt(0)
	s_mul_i32 s3, s29, s2
	s_mul_i32 s14, s33, s1
	v_lshrrev_b32_e32 v2, s25, v2
	s_ashr_i32 s15, s3, 31
	s_add_u32 s3, s8, s3
	s_addc_u32 s8, s9, s15
	s_ashr_i32 s9, s14, 31
	v_mul_lo_u32 v2, v2, s26
	s_add_u32 s14, s3, s14
	s_mov_b32 s2, s1
	s_addc_u32 s15, s8, s9
	s_ashr_i32 s3, s1, 31
	s_ashr_i32 s1, s0, 31
	s_lshr_b64 s[8:9], s[0:1], 2
	v_sub_nc_u32_e32 v2, v33, v2
	s_lshr_b32 s0, s1, 2
	v_mad_u64_u32 v[3:4], null, s8, v2, 0
	s_lshr_b64 s[8:9], s[2:3], 2
	v_mad_u64_u32 v[5:6], null, s8, v69, 0
	v_mad_u64_u32 v[7:8], null, s8, v13, 0
	;; [unrolled: 1-line block ×3, first 2 shown]
	v_mov_b32_e32 v4, v6
	s_lshr_b32 s0, s3, 2
	v_mov_b32_e32 v6, v8
	s_cmp_eq_u64 s[18:19], 0
	v_mad_u64_u32 v[10:11], null, s0, v69, v[4:5]
	v_mov_b32_e32 v4, v9
	v_mad_u64_u32 v[8:9], null, s0, v13, v[6:7]
	v_lshlrev_b32_e32 v9, 3, v0
	s_load_dword s0, s[4:5], 0x40
	v_lshlrev_b64 v[3:4], 2, v[3:4]
	v_mov_b32_e32 v6, v10
	v_add_co_u32 v10, vcc_lo, s14, v3
	v_add_co_ci_u32_e64 v11, null, s15, v4, vcc_lo
	v_lshlrev_b64 v[3:4], 2, v[5:6]
	v_add_co_u32 v9, vcc_lo, v10, v9
	v_lshlrev_b64 v[5:6], 2, v[7:8]
	v_add_co_ci_u32_e64 v10, null, 0, v11, vcc_lo
	v_add_co_u32 v3, vcc_lo, v9, v3
	v_add_co_ci_u32_e64 v4, null, v10, v4, vcc_lo
	v_add_co_u32 v5, vcc_lo, v9, v5
	v_add_co_ci_u32_e64 v6, null, v10, v6, vcc_lo
	s_clause 0x1
	global_load_dwordx2 v[7:8], v[3:4], off
	global_load_dwordx2 v[4:5], v[5:6], off
	v_lshl_or_b32 v6, v0, 2, 0x5000
	v_lshlrev_b32_e32 v3, 8, v1
	v_add_nc_u32_e32 v9, v6, v3
	v_lshl_add_u32 v6, v12, 7, v6
	s_waitcnt vmcnt(1) lgkmcnt(0)
	v_fma_mixlo_f16 v8, s0, v8, 0
	s_waitcnt vmcnt(0)
	v_fma_mixlo_f16 v5, s0, v5, 0
	v_fma_mixlo_f16 v7, s0, v7, 0
	;; [unrolled: 1-line block ×3, first 2 shown]
	v_lshlrev_b32_e32 v8, 16, v8
	v_lshlrev_b32_e32 v5, 16, v5
	v_or_b32_sdwa v7, v8, v7 dst_sel:DWORD dst_unused:UNUSED_PAD src0_sel:DWORD src1_sel:WORD_0
	v_or_b32_sdwa v4, v5, v4 dst_sel:DWORD dst_unused:UNUSED_PAD src0_sel:DWORD src1_sel:WORD_0
	ds_write_b32 v9, v7
	ds_write_b32 v6, v4
	s_waitcnt lgkmcnt(0)
	s_barrier
	buffer_gl0_inv
	s_cbranch_scc1 .LBB13_4
; %bb.3:
	s_load_dword s0, s[4:5], 0xd0
	s_mov_b32 s1, 0
	s_waitcnt lgkmcnt(0)
	s_mul_i32 s0, s0, s29
	s_add_i32 s0, s0, s6
	s_lshl_b64 s[0:1], s[0:1], 2
	s_add_u32 s0, s18, s0
	s_addc_u32 s1, s19, s1
	s_load_dword s30, s[0:1], 0x0
.LBB13_4:
	v_mbcnt_lo_u32_b32 v70, -1, 0
	s_lshl_b32 s9, s28, 7
	s_waitcnt lgkmcnt(0)
	s_cmp_lt_i32 s9, s30
	s_cbranch_scc1 .LBB13_7
; %bb.5:
	v_mbcnt_lo_u32_b32 v4, -1, 0
	v_mov_b32_e32 v72, 32
	v_xor_b32_e32 v83, 16, v4
	v_xor_b32_e32 v77, 8, v4
	;; [unrolled: 1-line block ×5, first 2 shown]
	s_cbranch_execz .LBB13_8
; %bb.6:
	v_mov_b32_e32 v118, 0
	v_mov_b32_e32 v116, 0
	;; [unrolled: 1-line block ×6, first 2 shown]
	s_branch .LBB13_11
.LBB13_7:
                                        ; implicit-def: $vgpr4
                                        ; implicit-def: $vgpr72
                                        ; implicit-def: $vgpr83
                                        ; implicit-def: $vgpr77
                                        ; implicit-def: $vgpr76
                                        ; implicit-def: $vgpr75
                                        ; implicit-def: $vgpr74
.LBB13_8:
	s_clause 0x1
	s_load_dwordx4 s[0:3], s[4:5], 0x98
	s_load_dwordx2 s[18:19], s[4:5], 0x8c
	s_sub_i32 s6, 0, s7
	s_abs_i32 s8, s33
	s_mul_i32 s6, s6, s38
	s_ashr_i32 s36, s33, 31
	s_mul_hi_u32 s6, s38, s6
	s_ashr_i32 s31, s31, 31
	s_add_i32 s38, s38, s6
	s_ashr_i32 s6, s37, 1
	s_mul_hi_u32 s37, s8, s38
	s_ashr_i32 s38, s29, 31
	s_load_dwordx2 s[24:25], s[4:5], 0xa8
	s_mul_i32 s39, s37, s7
	v_lshrrev_b32_e32 v4, 3, v0
	v_lshlrev_b32_e32 v71, 2, v0
	v_mad_u64_u32 v[34:35], null, v2, s6, v[0:1]
	v_lshl_add_u32 v89, v1, 9, 0x4800
	v_lshl_add_u32 v13, v1, 2, v4
	s_waitcnt lgkmcnt(0)
	s_ashr_i32 s14, s2, 2
	s_ashr_i32 s15, s18, 2
	s_mul_hi_u32 s2, s0, s29
	s_mul_i32 s18, s0, s38
	s_mul_i32 s1, s1, s29
	s_add_i32 s2, s2, s18
	s_mul_i32 s0, s0, s29
	s_add_i32 s2, s2, s1
	s_add_u32 s0, s10, s0
	s_addc_u32 s1, s11, s2
	s_sub_i32 s8, s8, s39
	s_xor_b32 s2, s36, s31
	s_add_i32 s10, s37, 1
	s_sub_i32 s11, s8, s7
	s_cmp_ge_u32 s8, s7
	v_mul_lo_u32 v4, s15, v13
	s_cselect_b32 s10, s10, s37
	s_cselect_b32 s8, s11, s8
	s_add_i32 s11, s10, 1
	s_cmp_ge_u32 s8, s7
	s_mul_hi_u32 s8, s24, s29
	s_cselect_b32 s7, s11, s10
	s_mul_i32 s10, s24, s38
	s_xor_b32 s7, s7, s2
	v_mul_lo_u32 v12, s14, v13
	s_sub_i32 s2, s7, s2
	s_mul_i32 s7, s25, s29
	s_mul_i32 s11, s2, s19
	;; [unrolled: 1-line block ×3, first 2 shown]
	s_ashr_i32 s19, s11, 31
	s_add_u32 s18, s0, s11
	s_addc_u32 s19, s1, s19
	s_add_i32 s0, s8, s10
	s_mul_i32 s2, s2, s3
	s_add_i32 s0, s0, s7
	s_add_u32 s1, s12, s24
	s_addc_u32 s0, s13, s0
	s_ashr_i32 s3, s2, 31
	s_add_u32 s12, s1, s2
	s_addc_u32 s13, s0, s3
	s_lshl_b32 s0, s15, 4
	s_lshl_b32 s1, s14, 4
	v_add_nc_u32_e32 v6, s0, v4
	v_add_nc_u32_e32 v16, s1, v12
	v_and_b32_e32 v32, 28, v71
	v_ashrrev_i32_e32 v5, 31, v4
	v_mov_b32_e32 v117, 0
	v_add_nc_u32_e32 v8, s0, v6
	v_add_nc_u32_e32 v20, s1, v16
	v_lshlrev_b32_e32 v17, 2, v32
	v_ashrrev_i32_e32 v7, 31, v6
	v_lshlrev_b64 v[35:36], 2, v[4:5]
	v_add_nc_u32_e32 v10, s0, v8
	v_add_nc_u32_e32 v24, s1, v20
	v_mad_u32_u24 v73, 0x90, v13, v17
	v_ashrrev_i32_e32 v9, 31, v8
	v_lshl_or_b32 v88, v13, 7, v17
	v_add_nc_u32_e32 v14, s0, v10
	v_add_nc_u32_e32 v28, s1, v24
	v_ashrrev_i32_e32 v11, 31, v10
	v_ashrrev_i32_e32 v13, 31, v12
	v_ashrrev_i32_e32 v17, 31, v16
	v_add_nc_u32_e32 v18, s0, v14
	v_add_nc_u32_e32 v1, s1, v28
	v_ashrrev_i32_e32 v15, 31, v14
	v_ashrrev_i32_e32 v21, 31, v20
	v_ashrrev_i32_e32 v25, 31, v24
	v_add_nc_u32_e32 v22, s0, v18
	v_add_nc_u32_e32 v30, s1, v1
	v_ashrrev_i32_e32 v19, 31, v18
	v_ashrrev_i32_e32 v29, 31, v28
	v_ashrrev_i32_e32 v2, 31, v1
	v_add_nc_u32_e32 v26, s0, v22
	v_add_nc_u32_e32 v67, s1, v30
	v_ashrrev_i32_e32 v23, 31, v22
	v_ashrrev_i32_e32 v31, 31, v30
	v_lshlrev_b64 v[37:38], 2, v[6:7]
	v_ashrrev_i32_e32 v27, 31, v26
	v_ashrrev_i32_e32 v68, 31, v67
	v_lshlrev_b64 v[39:40], 2, v[8:9]
	v_lshlrev_b64 v[41:42], 2, v[10:11]
	;; [unrolled: 1-line block ×14, first 2 shown]
	v_add_nc_u32_e32 v78, 0x5000, v3
	v_mul_u32_u24_e32 v79, 0x90, v0
	v_add_nc_u32_e32 v80, 0x900, v73
	v_add_nc_u32_e32 v81, 0x1200, v73
	v_add_nc_u32_e32 v82, 0x1b00, v73
	v_add_nc_u32_e32 v84, 0x2400, v73
	v_add_nc_u32_e32 v85, 0x2d00, v73
	v_add_nc_u32_e32 v86, 0x3600, v73
	v_add_nc_u32_e32 v87, 0x3f00, v73
	v_add_nc_u32_e32 v90, 0x800, v88
	v_add_nc_u32_e32 v91, 0x1000, v88
	v_add_nc_u32_e32 v92, 0x1800, v88
	v_add_nc_u32_e32 v93, 0x2000, v88
	v_add_nc_u32_e32 v94, 0x2800, v88
	v_add_nc_u32_e32 v95, 0x3000, v88
	v_add_nc_u32_e32 v96, 0x3800, v88
	v_mov_b32_e32 v51, 0xfeffffff
	v_lshlrev_b32_e32 v97, 2, v32
	v_mov_b32_e32 v72, 32
	v_xor_b32_e32 v83, 16, v70
	v_xor_b32_e32 v77, 8, v70
	;; [unrolled: 1-line block ×5, first 2 shown]
	v_add_nc_u32_e32 v98, v89, v71
	v_mov_b32_e32 v99, 0x10001
	v_add_nc_u32_e32 v100, 0x400, v71
	v_add_nc_u32_e32 v101, 0x800, v71
	;; [unrolled: 1-line block ×15, first 2 shown]
	v_mov_b32_e32 v118, 0
	v_mov_b32_e32 v52, 0xfeffffff
	;; [unrolled: 1-line block ×4, first 2 shown]
	s_add_u32 s10, s4, 0xd0
	s_addc_u32 s11, s5, 0
.LBB13_9:                               ; =>This Inner Loop Header: Depth=1
	s_mul_hi_i32 s1, s9, s15
	s_mul_i32 s0, s9, s15
	v_mov_b32_e32 v119, 0
	s_lshl_b64 s[0:1], s[0:1], 2
	v_mov_b32_e32 v120, 0
	s_add_u32 s8, s18, s0
	s_addc_u32 s24, s19, s1
	v_add_co_u32 v1, vcc_lo, s8, v37
	v_add_co_u32 v2, s0, s8, v39
	v_add_co_u32 v3, s1, s8, v41
	v_add_co_u32 v4, s2, s8, v43
	v_add_co_u32 v6, s3, s8, v45
	v_add_co_u32 v7, s6, s8, v47
	v_add_co_u32 v8, s7, s8, v49
	v_add_co_u32 v10, s8, s8, v35
	v_add_co_ci_u32_e64 v11, null, s24, v36, s8
	v_add_co_ci_u32_e64 v12, null, s24, v38, vcc_lo
	v_add_co_ci_u32_e64 v14, null, s24, v40, s0
	v_add_co_ci_u32_e64 v15, null, s24, v42, s1
	v_add_co_u32 v5, vcc_lo, v1, v97
	v_add_co_u32 v1, s8, v10, v97
	v_add_co_ci_u32_e64 v16, null, s24, v44, s2
	v_add_co_ci_u32_e64 v19, null, s24, v46, s3
	;; [unrolled: 1-line block ×4, first 2 shown]
	v_add_co_u32 v9, s0, v2, v97
	v_add_co_ci_u32_e64 v2, null, 0, v11, s8
	v_add_co_u32 v13, s1, v3, v97
	v_add_co_u32 v21, s3, v6, v97
	v_add_co_ci_u32_e64 v6, null, 0, v12, vcc_lo
	v_add_co_u32 v17, s2, v4, v97
	v_add_co_u32 v25, s6, v7, v97
	v_add_co_u32 v29, s7, v8, v97
	v_add_co_ci_u32_e64 v10, null, 0, v14, s0
	v_add_co_ci_u32_e64 v14, null, 0, v15, s1
	;; [unrolled: 1-line block ×6, first 2 shown]
	s_clause 0x7
	global_load_dwordx4 v[1:4], v[1:2], off
	global_load_dwordx4 v[5:8], v[5:6], off
	;; [unrolled: 1-line block ×8, first 2 shown]
	v_mov_b32_e32 v121, 0
	v_mov_b32_e32 v122, 0
	;; [unrolled: 1-line block ×6, first 2 shown]
	v_add_nc_u32_e32 v127, s9, v34
	s_mul_hi_i32 s1, s9, s14
	s_mul_i32 s0, s9, s14
	s_waitcnt vmcnt(7)
	ds_write_b128 v73, v[1:4]
	s_waitcnt vmcnt(6)
	ds_write_b128 v80, v[5:8]
	;; [unrolled: 2-line block ×8, first 2 shown]
	s_waitcnt lgkmcnt(0)
	s_barrier
	buffer_gl0_inv
	ds_read_b128 v[1:4], v79
	ds_read_b128 v[5:8], v78
	ds_read_b128 v[9:12], v78 offset:128
	ds_read_b128 v[13:16], v79 offset:4608
	;; [unrolled: 1-line block ×4, first 2 shown]
	s_waitcnt lgkmcnt(4)
	;;#ASMSTART
	v_dot2_f32_f16 v119, v1, v5, v119
	;;#ASMEND
	;;#ASMSTART
	v_dot2_f32_f16 v119, v2, v6, v119
	;;#ASMEND
	;;#ASMSTART
	v_dot2_f32_f16 v119, v3, v7, v119
	;;#ASMEND
	;;#ASMSTART
	v_dot2_f32_f16 v119, v4, v8, v119
	;;#ASMEND
	s_waitcnt lgkmcnt(3)
	;;#ASMSTART
	v_dot2_f32_f16 v120, v1, v9, v120
	;;#ASMEND
	;;#ASMSTART
	v_dot2_f32_f16 v120, v2, v10, v120
	;;#ASMEND
	;;#ASMSTART
	v_dot2_f32_f16 v120, v3, v11, v120
	;;#ASMEND
	;;#ASMSTART
	v_dot2_f32_f16 v120, v4, v12, v120
	;;#ASMEND
	s_waitcnt lgkmcnt(2)
	;;#ASMSTART
	v_dot2_f32_f16 v121, v13, v5, v121
	;;#ASMEND
	;;#ASMSTART
	v_dot2_f32_f16 v121, v14, v6, v121
	;;#ASMEND
	;;#ASMSTART
	v_dot2_f32_f16 v121, v15, v7, v121
	;;#ASMEND
	;;#ASMSTART
	v_dot2_f32_f16 v121, v16, v8, v121
	;;#ASMEND
	;;#ASMSTART
	v_dot2_f32_f16 v122, v13, v9, v122
	;;#ASMEND
	;;#ASMSTART
	v_dot2_f32_f16 v122, v14, v10, v122
	;;#ASMEND
	;; [unrolled: 3-line block ×4, first 2 shown]
	s_waitcnt lgkmcnt(1)
	;;#ASMSTART
	v_dot2_f32_f16 v125, v17, v5, v125
	;;#ASMEND
	;;#ASMSTART
	v_dot2_f32_f16 v125, v18, v6, v125
	;;#ASMEND
	;; [unrolled: 3-line block ×8, first 2 shown]
	s_waitcnt lgkmcnt(0)
	;;#ASMSTART
	v_dot2_f32_f16 v126, v21, v5, v126
	;;#ASMEND
	;;#ASMSTART
	v_dot2_f32_f16 v126, v22, v6, v126
	;;#ASMEND
	;;#ASMSTART
	v_dot2_f32_f16 v126, v23, v7, v126
	;;#ASMEND
	;;#ASMSTART
	v_dot2_f32_f16 v126, v24, v8, v126
	;;#ASMEND
	;;#ASMSTART
	v_dot2_f32_f16 v124, v21, v9, v124
	;;#ASMEND
	;;#ASMSTART
	v_dot2_f32_f16 v124, v22, v10, v124
	;;#ASMEND
	;;#ASMSTART
	v_dot2_f32_f16 v124, v23, v11, v124
	;;#ASMEND
	;;#ASMSTART
	v_dot2_f32_f16 v124, v24, v12, v124
	;;#ASMEND
	ds_read_b128 v[1:4], v79 offset:16
	ds_read_b128 v[5:8], v78 offset:16
	;; [unrolled: 1-line block ×6, first 2 shown]
	s_waitcnt lgkmcnt(4)
	;;#ASMSTART
	v_dot2_f32_f16 v119, v1, v5, v119
	;;#ASMEND
	;;#ASMSTART
	v_dot2_f32_f16 v119, v2, v6, v119
	;;#ASMEND
	;;#ASMSTART
	v_dot2_f32_f16 v119, v3, v7, v119
	;;#ASMEND
	;;#ASMSTART
	v_dot2_f32_f16 v119, v4, v8, v119
	;;#ASMEND
	s_waitcnt lgkmcnt(3)
	;;#ASMSTART
	v_dot2_f32_f16 v120, v1, v9, v120
	;;#ASMEND
	;;#ASMSTART
	v_dot2_f32_f16 v120, v2, v10, v120
	;;#ASMEND
	;;#ASMSTART
	v_dot2_f32_f16 v120, v3, v11, v120
	;;#ASMEND
	;;#ASMSTART
	v_dot2_f32_f16 v120, v4, v12, v120
	;;#ASMEND
	;; [unrolled: 13-line block ×3, first 2 shown]
	;;#ASMSTART
	v_dot2_f32_f16 v122, v13, v9, v122
	;;#ASMEND
	;;#ASMSTART
	v_dot2_f32_f16 v122, v14, v10, v122
	;;#ASMEND
	;; [unrolled: 3-line block ×4, first 2 shown]
	s_waitcnt lgkmcnt(1)
	;;#ASMSTART
	v_dot2_f32_f16 v125, v17, v5, v125
	;;#ASMEND
	;;#ASMSTART
	v_dot2_f32_f16 v125, v18, v6, v125
	;;#ASMEND
	;; [unrolled: 3-line block ×8, first 2 shown]
	s_waitcnt lgkmcnt(0)
	;;#ASMSTART
	v_dot2_f32_f16 v126, v21, v5, v126
	;;#ASMEND
	;;#ASMSTART
	v_dot2_f32_f16 v126, v22, v6, v126
	;;#ASMEND
	;;#ASMSTART
	v_dot2_f32_f16 v126, v23, v7, v126
	;;#ASMEND
	;;#ASMSTART
	v_dot2_f32_f16 v126, v24, v8, v126
	;;#ASMEND
	;;#ASMSTART
	v_dot2_f32_f16 v124, v21, v9, v124
	;;#ASMEND
	;;#ASMSTART
	v_dot2_f32_f16 v124, v22, v10, v124
	;;#ASMEND
	;;#ASMSTART
	v_dot2_f32_f16 v124, v23, v11, v124
	;;#ASMEND
	;;#ASMSTART
	v_dot2_f32_f16 v124, v24, v12, v124
	;;#ASMEND
	ds_read_b128 v[1:4], v79 offset:32
	ds_read_b128 v[5:8], v78 offset:32
	;; [unrolled: 1-line block ×6, first 2 shown]
	s_waitcnt lgkmcnt(4)
	;;#ASMSTART
	v_dot2_f32_f16 v119, v1, v5, v119
	;;#ASMEND
	;;#ASMSTART
	v_dot2_f32_f16 v119, v2, v6, v119
	;;#ASMEND
	;;#ASMSTART
	v_dot2_f32_f16 v119, v3, v7, v119
	;;#ASMEND
	;;#ASMSTART
	v_dot2_f32_f16 v119, v4, v8, v119
	;;#ASMEND
	s_waitcnt lgkmcnt(3)
	;;#ASMSTART
	v_dot2_f32_f16 v120, v1, v9, v120
	;;#ASMEND
	;;#ASMSTART
	v_dot2_f32_f16 v120, v2, v10, v120
	;;#ASMEND
	;;#ASMSTART
	v_dot2_f32_f16 v120, v3, v11, v120
	;;#ASMEND
	;;#ASMSTART
	v_dot2_f32_f16 v120, v4, v12, v120
	;;#ASMEND
	;; [unrolled: 13-line block ×3, first 2 shown]
	;;#ASMSTART
	v_dot2_f32_f16 v122, v13, v9, v122
	;;#ASMEND
	;;#ASMSTART
	v_dot2_f32_f16 v122, v14, v10, v122
	;;#ASMEND
	;;#ASMSTART
	v_dot2_f32_f16 v122, v15, v11, v122
	;;#ASMEND
	;;#ASMSTART
	v_dot2_f32_f16 v122, v16, v12, v122
	;;#ASMEND
	s_waitcnt lgkmcnt(1)
	;;#ASMSTART
	v_dot2_f32_f16 v125, v17, v5, v125
	;;#ASMEND
	;;#ASMSTART
	v_dot2_f32_f16 v125, v18, v6, v125
	;;#ASMEND
	;; [unrolled: 3-line block ×8, first 2 shown]
	s_waitcnt lgkmcnt(0)
	;;#ASMSTART
	v_dot2_f32_f16 v126, v21, v5, v126
	;;#ASMEND
	;;#ASMSTART
	v_dot2_f32_f16 v126, v22, v6, v126
	;;#ASMEND
	;; [unrolled: 3-line block ×8, first 2 shown]
	ds_read_b128 v[1:4], v79 offset:48
	ds_read_b128 v[5:8], v78 offset:48
	;; [unrolled: 1-line block ×6, first 2 shown]
	s_waitcnt lgkmcnt(4)
	;;#ASMSTART
	v_dot2_f32_f16 v119, v1, v5, v119
	;;#ASMEND
	;;#ASMSTART
	v_dot2_f32_f16 v119, v2, v6, v119
	;;#ASMEND
	;;#ASMSTART
	v_dot2_f32_f16 v119, v3, v7, v119
	;;#ASMEND
	;;#ASMSTART
	v_dot2_f32_f16 v119, v4, v8, v119
	;;#ASMEND
	s_waitcnt lgkmcnt(3)
	;;#ASMSTART
	v_dot2_f32_f16 v120, v1, v9, v120
	;;#ASMEND
	;;#ASMSTART
	v_dot2_f32_f16 v120, v2, v10, v120
	;;#ASMEND
	;;#ASMSTART
	v_dot2_f32_f16 v120, v3, v11, v120
	;;#ASMEND
	;;#ASMSTART
	v_dot2_f32_f16 v120, v4, v12, v120
	;;#ASMEND
	;; [unrolled: 13-line block ×3, first 2 shown]
	;;#ASMSTART
	v_dot2_f32_f16 v122, v13, v9, v122
	;;#ASMEND
	;;#ASMSTART
	v_dot2_f32_f16 v122, v14, v10, v122
	;;#ASMEND
	;; [unrolled: 3-line block ×4, first 2 shown]
	s_waitcnt lgkmcnt(1)
	;;#ASMSTART
	v_dot2_f32_f16 v125, v17, v5, v125
	;;#ASMEND
	;;#ASMSTART
	v_dot2_f32_f16 v125, v18, v6, v125
	;;#ASMEND
	;; [unrolled: 3-line block ×8, first 2 shown]
	s_waitcnt lgkmcnt(0)
	;;#ASMSTART
	v_dot2_f32_f16 v126, v21, v5, v126
	;;#ASMEND
	;;#ASMSTART
	v_dot2_f32_f16 v126, v22, v6, v126
	;;#ASMEND
	;; [unrolled: 3-line block ×8, first 2 shown]
	ds_read_b128 v[1:4], v79 offset:64
	ds_read_b128 v[5:8], v78 offset:64
	;; [unrolled: 1-line block ×6, first 2 shown]
	s_waitcnt lgkmcnt(4)
	;;#ASMSTART
	v_dot2_f32_f16 v119, v1, v5, v119
	;;#ASMEND
	;;#ASMSTART
	v_dot2_f32_f16 v119, v2, v6, v119
	;;#ASMEND
	;;#ASMSTART
	v_dot2_f32_f16 v119, v3, v7, v119
	;;#ASMEND
	;;#ASMSTART
	v_dot2_f32_f16 v119, v4, v8, v119
	;;#ASMEND
	s_waitcnt lgkmcnt(3)
	;;#ASMSTART
	v_dot2_f32_f16 v120, v1, v9, v120
	;;#ASMEND
	;;#ASMSTART
	v_dot2_f32_f16 v120, v2, v10, v120
	;;#ASMEND
	;;#ASMSTART
	v_dot2_f32_f16 v120, v3, v11, v120
	;;#ASMEND
	;;#ASMSTART
	v_dot2_f32_f16 v120, v4, v12, v120
	;;#ASMEND
	;; [unrolled: 13-line block ×3, first 2 shown]
	;;#ASMSTART
	v_dot2_f32_f16 v122, v13, v9, v122
	;;#ASMEND
	;;#ASMSTART
	v_dot2_f32_f16 v122, v14, v10, v122
	;;#ASMEND
	;; [unrolled: 3-line block ×4, first 2 shown]
	s_waitcnt lgkmcnt(1)
	;;#ASMSTART
	v_dot2_f32_f16 v125, v17, v5, v125
	;;#ASMEND
	;;#ASMSTART
	v_dot2_f32_f16 v125, v18, v6, v125
	;;#ASMEND
	;; [unrolled: 3-line block ×8, first 2 shown]
	s_waitcnt lgkmcnt(0)
	;;#ASMSTART
	v_dot2_f32_f16 v126, v21, v5, v126
	;;#ASMEND
	;;#ASMSTART
	v_dot2_f32_f16 v126, v22, v6, v126
	;;#ASMEND
	;; [unrolled: 3-line block ×8, first 2 shown]
	ds_read_b128 v[1:4], v79 offset:80
	ds_read_b128 v[5:8], v78 offset:80
	;; [unrolled: 1-line block ×6, first 2 shown]
	s_waitcnt lgkmcnt(4)
	;;#ASMSTART
	v_dot2_f32_f16 v119, v1, v5, v119
	;;#ASMEND
	;;#ASMSTART
	v_dot2_f32_f16 v119, v2, v6, v119
	;;#ASMEND
	;;#ASMSTART
	v_dot2_f32_f16 v119, v3, v7, v119
	;;#ASMEND
	;;#ASMSTART
	v_dot2_f32_f16 v119, v4, v8, v119
	;;#ASMEND
	s_waitcnt lgkmcnt(3)
	;;#ASMSTART
	v_dot2_f32_f16 v120, v1, v9, v120
	;;#ASMEND
	;;#ASMSTART
	v_dot2_f32_f16 v120, v2, v10, v120
	;;#ASMEND
	;;#ASMSTART
	v_dot2_f32_f16 v120, v3, v11, v120
	;;#ASMEND
	;;#ASMSTART
	v_dot2_f32_f16 v120, v4, v12, v120
	;;#ASMEND
	;; [unrolled: 13-line block ×3, first 2 shown]
	;;#ASMSTART
	v_dot2_f32_f16 v122, v13, v9, v122
	;;#ASMEND
	;;#ASMSTART
	v_dot2_f32_f16 v122, v14, v10, v122
	;;#ASMEND
	;; [unrolled: 3-line block ×4, first 2 shown]
	s_waitcnt lgkmcnt(1)
	;;#ASMSTART
	v_dot2_f32_f16 v125, v17, v5, v125
	;;#ASMEND
	;;#ASMSTART
	v_dot2_f32_f16 v125, v18, v6, v125
	;;#ASMEND
	;; [unrolled: 3-line block ×8, first 2 shown]
	s_waitcnt lgkmcnt(0)
	;;#ASMSTART
	v_dot2_f32_f16 v126, v21, v5, v126
	;;#ASMEND
	;;#ASMSTART
	v_dot2_f32_f16 v126, v22, v6, v126
	;;#ASMEND
	;; [unrolled: 3-line block ×8, first 2 shown]
	ds_read_b128 v[1:4], v79 offset:96
	ds_read_b128 v[5:8], v78 offset:96
	;; [unrolled: 1-line block ×6, first 2 shown]
	s_waitcnt lgkmcnt(4)
	;;#ASMSTART
	v_dot2_f32_f16 v119, v1, v5, v119
	;;#ASMEND
	;;#ASMSTART
	v_dot2_f32_f16 v119, v2, v6, v119
	;;#ASMEND
	;;#ASMSTART
	v_dot2_f32_f16 v119, v3, v7, v119
	;;#ASMEND
	;;#ASMSTART
	v_dot2_f32_f16 v119, v4, v8, v119
	;;#ASMEND
	s_waitcnt lgkmcnt(3)
	;;#ASMSTART
	v_dot2_f32_f16 v120, v1, v9, v120
	;;#ASMEND
	;;#ASMSTART
	v_dot2_f32_f16 v120, v2, v10, v120
	;;#ASMEND
	;;#ASMSTART
	v_dot2_f32_f16 v120, v3, v11, v120
	;;#ASMEND
	;;#ASMSTART
	v_dot2_f32_f16 v120, v4, v12, v120
	;;#ASMEND
	;; [unrolled: 13-line block ×3, first 2 shown]
	;;#ASMSTART
	v_dot2_f32_f16 v122, v13, v9, v122
	;;#ASMEND
	;;#ASMSTART
	v_dot2_f32_f16 v122, v14, v10, v122
	;;#ASMEND
	;; [unrolled: 3-line block ×4, first 2 shown]
	s_waitcnt lgkmcnt(1)
	;;#ASMSTART
	v_dot2_f32_f16 v125, v17, v5, v125
	;;#ASMEND
	;;#ASMSTART
	v_dot2_f32_f16 v125, v18, v6, v125
	;;#ASMEND
	;; [unrolled: 3-line block ×8, first 2 shown]
	s_waitcnt lgkmcnt(0)
	;;#ASMSTART
	v_dot2_f32_f16 v126, v21, v5, v126
	;;#ASMEND
	;;#ASMSTART
	v_dot2_f32_f16 v126, v22, v6, v126
	;;#ASMEND
	;; [unrolled: 3-line block ×8, first 2 shown]
	ds_read_b128 v[1:4], v79 offset:112
	ds_read_b128 v[5:8], v78 offset:112
	;; [unrolled: 1-line block ×6, first 2 shown]
	s_waitcnt lgkmcnt(4)
	;;#ASMSTART
	v_dot2_f32_f16 v119, v1, v5, v119
	;;#ASMEND
	;;#ASMSTART
	v_dot2_f32_f16 v119, v2, v6, v119
	;;#ASMEND
	;; [unrolled: 3-line block ×4, first 2 shown]
	s_waitcnt lgkmcnt(3)
	;;#ASMSTART
	v_dot2_f32_f16 v120, v1, v9, v120
	;;#ASMEND
	;;#ASMSTART
	v_dot2_f32_f16 v120, v2, v10, v120
	;;#ASMEND
	;; [unrolled: 3-line block ×3, first 2 shown]
	v_ashrrev_i32_e32 v128, 31, v127
	;;#ASMSTART
	v_dot2_f32_f16 v120, v4, v12, v120
	;;#ASMEND
	s_waitcnt lgkmcnt(2)
	;;#ASMSTART
	v_dot2_f32_f16 v121, v13, v5, v121
	;;#ASMEND
	;;#ASMSTART
	v_dot2_f32_f16 v121, v14, v6, v121
	;;#ASMEND
	;; [unrolled: 3-line block ×6, first 2 shown]
	v_lshlrev_b64 v[127:128], 1, v[127:128]
	;;#ASMSTART
	v_dot2_f32_f16 v122, v15, v11, v122
	;;#ASMEND
	;;#ASMSTART
	v_dot2_f32_f16 v122, v16, v12, v122
	;;#ASMEND
	s_waitcnt lgkmcnt(1)
	;;#ASMSTART
	v_dot2_f32_f16 v125, v17, v5, v125
	;;#ASMEND
	;;#ASMSTART
	v_dot2_f32_f16 v125, v18, v6, v125
	;;#ASMEND
	;; [unrolled: 3-line block ×6, first 2 shown]
	v_add_co_u32 v127, vcc_lo, s34, v127
	;;#ASMSTART
	v_dot2_f32_f16 v123, v19, v11, v123
	;;#ASMEND
	;;#ASMSTART
	v_dot2_f32_f16 v123, v20, v12, v123
	;;#ASMEND
	s_waitcnt lgkmcnt(0)
	;;#ASMSTART
	v_dot2_f32_f16 v126, v21, v5, v126
	;;#ASMEND
	v_add_co_ci_u32_e64 v128, null, s35, v128, vcc_lo
	;;#ASMSTART
	v_dot2_f32_f16 v126, v22, v6, v126
	;;#ASMEND
	;;#ASMSTART
	v_dot2_f32_f16 v126, v23, v7, v126
	;;#ASMEND
	;; [unrolled: 3-line block ×7, first 2 shown]
	s_clause 0x3
	global_load_ushort v139, v[127:128], off
	global_load_ushort v140, v[127:128], off offset:64
	global_load_ushort v141, v[127:128], off offset:128
	;; [unrolled: 1-line block ×3, first 2 shown]
	v_cmp_gt_i32_e32 vcc_lo, 32, v83
	s_lshl_b64 s[0:1], s[0:1], 2
	v_mov_b32_e32 v2, v51
	s_add_u32 s8, s12, s0
	s_addc_u32 s24, s13, s1
	v_cndmask_b32_e32 v3, v70, v83, vcc_lo
	v_cmp_gt_i32_e32 vcc_lo, 32, v77
	v_add_co_u32 v8, s2, s8, v61
	v_add_co_u32 v10, s3, s8, v63
	v_cndmask_b32_e32 v4, v70, v77, vcc_lo
	v_cmp_gt_i32_e32 vcc_lo, 32, v76
	v_lshlrev_b32_e32 v143, 2, v3
	v_add_co_u32 v11, s6, s8, v65
	v_lshlrev_b32_e32 v144, 2, v4
	v_cndmask_b32_e32 v5, v70, v76, vcc_lo
	v_cmp_gt_i32_e32 vcc_lo, 32, v75
	v_add_co_u32 v4, s0, s8, v57
	v_add_co_u32 v12, s7, s8, v67
	v_cndmask_b32_e32 v6, v70, v75, vcc_lo
	v_cmp_gt_i32_e32 vcc_lo, 32, v74
	v_add_co_ci_u32_e64 v16, null, s24, v58, s0
	v_add_co_ci_u32_e64 v20, null, s24, v66, s6
	v_cndmask_b32_e32 v7, v70, v74, vcc_lo
	v_lshlrev_b32_e32 v146, 2, v6
	v_add_co_u32 v3, vcc_lo, s8, v55
	v_add_co_u32 v6, s1, s8, v59
	v_add_co_u32 v13, s8, s8, v53
	v_add_co_ci_u32_e64 v14, null, s24, v54, s8
	v_add_co_ci_u32_e64 v15, null, s24, v56, vcc_lo
	v_add_co_ci_u32_e64 v17, null, s24, v60, s1
	v_add_co_u32 v51, s6, v11, v97
	v_add_co_u32 v11, s8, v13, v97
	v_add_co_ci_u32_e64 v18, null, s24, v62, s2
	v_add_co_ci_u32_e64 v21, null, s24, v68, s7
	v_add_co_u32 v3, vcc_lo, v3, v97
	v_lshlrev_b32_e32 v145, 2, v5
	v_add_co_ci_u32_e64 v19, null, s24, v64, s3
	v_add_co_u32 v5, s0, v4, v97
	v_add_co_u32 v135, s7, v12, v97
	v_add_co_ci_u32_e64 v12, null, 0, v14, s8
	v_lshlrev_b32_e32 v147, 2, v7
	v_add_co_u32 v7, s1, v6, v97
	v_add_co_ci_u32_e64 v4, null, 0, v15, vcc_lo
	v_add_co_u32 v9, s2, v8, v97
	v_add_co_ci_u32_e64 v6, null, 0, v16, s0
	v_add_co_u32 v31, s3, v10, v97
	v_add_co_ci_u32_e64 v8, null, 0, v17, s1
	v_add_co_ci_u32_e64 v10, null, 0, v18, s2
	;; [unrolled: 1-line block ×3, first 2 shown]
	v_mov_b32_e32 v1, v52
	v_add_co_ci_u32_e64 v32, null, 0, v19, s3
	v_add_co_ci_u32_e64 v52, null, 0, v20, s6
	s_waitcnt vmcnt(0)
	s_barrier
	buffer_gl0_inv
	s_clause 0x7
	global_load_dwordx4 v[11:14], v[11:12], off
	global_load_dwordx4 v[15:18], v[3:4], off
	;; [unrolled: 1-line block ×8, first 2 shown]
	v_cvt_f32_f16_e32 v3, v139
	v_cvt_f32_f16_e32 v4, v140
	;; [unrolled: 1-line block ×4, first 2 shown]
	v_add_f32_e32 v7, v119, v3
	v_add_f32_e32 v8, v121, v4
	;; [unrolled: 1-line block ×16, first 2 shown]
	v_max3_f32 v31, v2, v31, v32
	v_max3_f32 v32, v1, v119, v120
	;; [unrolled: 1-line block ×4, first 2 shown]
	ds_bpermute_b32 v51, v143, v31
	ds_bpermute_b32 v52, v143, v32
	s_waitcnt lgkmcnt(1)
	v_max_f32_e32 v51, v51, v51
	s_waitcnt lgkmcnt(0)
	v_max_f32_e32 v52, v52, v52
	v_max_f32_e32 v31, v31, v51
	v_max_f32_e32 v32, v32, v52
	ds_bpermute_b32 v51, v144, v31
	ds_bpermute_b32 v52, v144, v32
	s_waitcnt lgkmcnt(1)
	v_max_f32_e32 v51, v51, v51
	s_waitcnt lgkmcnt(0)
	v_max_f32_e32 v52, v52, v52
	v_max_f32_e32 v31, v31, v51
	v_max_f32_e32 v32, v32, v52
	;; [unrolled: 8-line block ×5, first 2 shown]
	v_sub_f32_e32 v7, v7, v51
	v_sub_f32_e32 v8, v8, v51
	;; [unrolled: 1-line block ×8, first 2 shown]
	v_mul_f32_e32 v31, 0x3fb8aa3b, v7
	v_mul_f32_e32 v32, 0x3fb8aa3b, v8
	;; [unrolled: 1-line block ×8, first 2 shown]
	v_fma_f32 v139, 0x3fb8aa3b, v7, -v31
	v_rndne_f32_e32 v140, v31
	v_fma_f32 v141, 0x3fb8aa3b, v8, -v32
	v_rndne_f32_e32 v142, v32
	;; [unrolled: 2-line block ×8, first 2 shown]
	v_fmac_f32_e32 v139, 0x32a5705f, v7
	v_sub_f32_e32 v31, v31, v140
	v_fmac_f32_e32 v141, 0x32a5705f, v8
	v_sub_f32_e32 v32, v32, v142
	;; [unrolled: 2-line block ×8, first 2 shown]
	v_add_f32_e32 v31, v31, v139
	v_add_f32_e32 v32, v32, v141
	;; [unrolled: 1-line block ×8, first 2 shown]
	v_exp_f32_e32 v31, v31
	v_exp_f32_e32 v32, v32
	;; [unrolled: 1-line block ×8, first 2 shown]
	v_sub_f32_e32 v2, v2, v51
	v_sub_f32_e32 v1, v1, v52
	v_cvt_i32_f32_e32 v140, v140
	v_cvt_i32_f32_e32 v142, v142
	;; [unrolled: 1-line block ×8, first 2 shown]
	v_mul_f32_e32 v121, 0x3fb8aa3b, v2
	v_mul_f32_e32 v126, 0x3fb8aa3b, v1
	v_ldexp_f32 v31, v31, v140
	v_ldexp_f32 v32, v32, v142
	v_cmp_ngt_f32_e32 vcc_lo, 0xc2ce8ed0, v8
	v_ldexp_f32 v119, v119, v144
	v_cmp_ngt_f32_e64 s0, 0xc2ce8ed0, v9
	v_ldexp_f32 v120, v120, v146
	v_cmp_ngt_f32_e64 s1, 0xc2ce8ed0, v10
	;; [unrolled: 2-line block ×4, first 2 shown]
	v_cmp_ngt_f32_e64 s8, 0xc2ce8ed0, v7
	v_ldexp_f32 v124, v124, v154
	v_cmp_ngt_f32_e64 s6, 0xc2ce8ed0, v5
	v_ldexp_f32 v125, v125, v156
	v_cmp_ngt_f32_e64 s7, 0xc2ce8ed0, v6
	v_fma_f32 v147, 0x3fb8aa3b, v2, -v121
	v_rndne_f32_e32 v148, v121
	v_fma_f32 v157, 0x3fb8aa3b, v1, -v126
	v_rndne_f32_e32 v158, v126
	v_cndmask_b32_e64 v31, 0, v31, s8
	v_cndmask_b32_e32 v32, 0, v32, vcc_lo
	v_cmp_nlt_f32_e32 vcc_lo, 0x42b17218, v8
	v_cndmask_b32_e64 v8, 0, v119, s0
	v_cmp_nlt_f32_e64 s0, 0x42b17218, v9
	v_cndmask_b32_e64 v119, 0, v120, s1
	v_cndmask_b32_e64 v120, 0, v122, s2
	v_cmp_nlt_f32_e64 s2, 0x42b17218, v3
	v_cndmask_b32_e64 v3, 0, v123, s3
	v_cmp_nlt_f32_e64 s3, 0x42b17218, v4
	v_cmp_nlt_f32_e64 s8, 0x42b17218, v7
	;; [unrolled: 1-line block ×3, first 2 shown]
	v_cndmask_b32_e64 v122, 0, v124, s6
	v_cmp_nlt_f32_e64 s6, 0x42b17218, v5
	v_cndmask_b32_e64 v123, 0, v125, s7
	v_cmp_nlt_f32_e64 s7, 0x42b17218, v6
	v_fmac_f32_e32 v147, 0x32a5705f, v2
	v_sub_f32_e32 v121, v121, v148
	v_fmac_f32_e32 v157, 0x32a5705f, v1
	v_sub_f32_e32 v126, v126, v158
	v_cndmask_b32_e64 v9, 0x7f800000, v31, s8
	v_cndmask_b32_e32 v10, 0x7f800000, v32, vcc_lo
	v_cndmask_b32_e64 v6, 0x7f800000, v8, s0
	v_cndmask_b32_e64 v7, 0x7f800000, v120, s2
	;; [unrolled: 1-line block ×6, first 2 shown]
	v_add_f32_e32 v121, v121, v147
	v_add_f32_e32 v126, v126, v157
	v_cvt_f16_f32_e32 v31, v9
	v_cvt_f16_f32_e32 v32, v10
	;; [unrolled: 1-line block ×8, first 2 shown]
	v_exp_f32_e32 v121, v121
	v_exp_f32_e32 v126, v126
	v_pack_b32_f16 v31, v31, v122
	v_pack_b32_f16 v32, v32, v123
	;; [unrolled: 1-line block ×4, first 2 shown]
	v_cvt_i32_f32_e32 v148, v148
	v_cvt_i32_f32_e32 v158, v158
	ds_write2_b32 v98, v31, v32 offset1:32
	ds_write2_b32 v98, v119, v120 offset0:64 offset1:96
	s_waitcnt vmcnt(7)
	ds_write_b128 v88, v[11:14]
	s_waitcnt vmcnt(6)
	ds_write_b128 v90, v[15:18]
	;; [unrolled: 2-line block ×8, first 2 shown]
	s_waitcnt lgkmcnt(0)
	s_barrier
	buffer_gl0_inv
	ds_read_b128 v[11:14], v89
	v_ldexp_f32 v121, v121, v148
	v_ldexp_f32 v126, v126, v158
	v_cmp_ngt_f32_e32 vcc_lo, 0xc2ce8ed0, v1
	v_cmp_ngt_f32_e64 s0, 0xc2ce8ed0, v2
	ds_read2_b32 v[19:20], v71 offset1:32
	v_cndmask_b32_e32 v16, 0, v126, vcc_lo
	v_cndmask_b32_e64 v15, 0, v121, s0
	v_cmp_nlt_f32_e32 vcc_lo, 0x42b17218, v1
	v_cmp_nlt_f32_e64 s0, 0x42b17218, v2
	v_cndmask_b32_e32 v1, 0x7f800000, v16, vcc_lo
	v_cndmask_b32_e64 v2, 0x7f800000, v15, s0
	ds_read2_b32 v[21:22], v71 offset0:64 offset1:96
	ds_read_b128 v[15:18], v89 offset:16
	v_cvt_f16_f32_e32 v24, v1
	v_cvt_f16_f32_e32 v23, v2
	s_waitcnt lgkmcnt(3)
	v_mul_u32_u24_sdwa v25, v11, v99 dst_sel:DWORD dst_unused:UNUSED_PAD src0_sel:WORD_0 src1_sel:DWORD
	v_mul_u32_u24_sdwa v11, v11, v99 dst_sel:DWORD dst_unused:UNUSED_PAD src0_sel:WORD_1 src1_sel:DWORD
	v_mul_u32_u24_sdwa v28, v14, v99 dst_sel:DWORD dst_unused:UNUSED_PAD src0_sel:WORD_1 src1_sel:DWORD
	v_mul_u32_u24_sdwa v27, v24, v99 dst_sel:DWORD dst_unused:UNUSED_PAD src0_sel:WORD_0 src1_sel:DWORD
	v_mul_u32_u24_sdwa v26, v23, v99 dst_sel:DWORD dst_unused:UNUSED_PAD src0_sel:WORD_0 src1_sel:DWORD
	s_waitcnt lgkmcnt(2)
	v_pk_mul_f16 v25, v19, v25
	v_pk_mul_f16 v11, v19, v11
	ds_read2_b32 v[23:24], v71 offset0:128 offset1:160
	v_mul_u32_u24_sdwa v19, v12, v99 dst_sel:DWORD dst_unused:UNUSED_PAD src0_sel:WORD_0 src1_sel:DWORD
	v_mul_u32_u24_sdwa v12, v12, v99 dst_sel:DWORD dst_unused:UNUSED_PAD src0_sel:WORD_1 src1_sel:DWORD
	v_pk_fma_f16 v25, v118, v26, v25
	v_pk_fma_f16 v11, v117, v27, v11
	v_mul_u32_u24_sdwa v26, v13, v99 dst_sel:DWORD dst_unused:UNUSED_PAD src0_sel:WORD_0 src1_sel:DWORD
	v_mul_u32_u24_sdwa v13, v13, v99 dst_sel:DWORD dst_unused:UNUSED_PAD src0_sel:WORD_1 src1_sel:DWORD
	v_mul_u32_u24_sdwa v27, v14, v99 dst_sel:DWORD dst_unused:UNUSED_PAD src0_sel:WORD_0 src1_sel:DWORD
	v_pk_fma_f16 v25, v20, v19, v25
	v_pk_fma_f16 v11, v20, v12, v11
	ds_read2_b32 v[19:20], v71 offset0:192 offset1:224
	s_waitcnt lgkmcnt(3)
	v_pk_fma_f16 v25, v21, v26, v25
	v_pk_fma_f16 v21, v21, v13, v11
	ds_read_b128 v[11:14], v89 offset:32
	s_waitcnt lgkmcnt(3)
	v_mul_u32_u24_sdwa v26, v15, v99 dst_sel:DWORD dst_unused:UNUSED_PAD src0_sel:WORD_0 src1_sel:DWORD
	v_mul_u32_u24_sdwa v15, v15, v99 dst_sel:DWORD dst_unused:UNUSED_PAD src0_sel:WORD_1 src1_sel:DWORD
	v_pk_fma_f16 v25, v22, v27, v25
	v_pk_fma_f16 v27, v22, v28, v21
	ds_read2_b32 v[21:22], v100 offset1:32
	v_mul_u32_u24_sdwa v28, v16, v99 dst_sel:DWORD dst_unused:UNUSED_PAD src0_sel:WORD_0 src1_sel:DWORD
	v_mul_u32_u24_sdwa v16, v16, v99 dst_sel:DWORD dst_unused:UNUSED_PAD src0_sel:WORD_1 src1_sel:DWORD
	s_waitcnt lgkmcnt(3)
	v_pk_fma_f16 v25, v23, v26, v25
	v_pk_fma_f16 v15, v23, v15, v27
	v_mul_u32_u24_sdwa v26, v17, v99 dst_sel:DWORD dst_unused:UNUSED_PAD src0_sel:WORD_0 src1_sel:DWORD
	v_mul_u32_u24_sdwa v17, v17, v99 dst_sel:DWORD dst_unused:UNUSED_PAD src0_sel:WORD_1 src1_sel:DWORD
	v_mul_u32_u24_sdwa v27, v18, v99 dst_sel:DWORD dst_unused:UNUSED_PAD src0_sel:WORD_0 src1_sel:DWORD
	v_pk_fma_f16 v25, v24, v28, v25
	v_pk_fma_f16 v15, v24, v16, v15
	ds_read2_b32 v[23:24], v100 offset0:64 offset1:96
	v_mul_u32_u24_sdwa v28, v18, v99 dst_sel:DWORD dst_unused:UNUSED_PAD src0_sel:WORD_1 src1_sel:DWORD
	s_waitcnt lgkmcnt(3)
	v_pk_fma_f16 v25, v19, v26, v25
	v_pk_fma_f16 v19, v19, v17, v15
	ds_read_b128 v[15:18], v89 offset:48
	s_waitcnt lgkmcnt(3)
	v_mul_u32_u24_sdwa v26, v11, v99 dst_sel:DWORD dst_unused:UNUSED_PAD src0_sel:WORD_0 src1_sel:DWORD
	v_mul_u32_u24_sdwa v11, v11, v99 dst_sel:DWORD dst_unused:UNUSED_PAD src0_sel:WORD_1 src1_sel:DWORD
	v_pk_fma_f16 v25, v20, v27, v25
	v_pk_fma_f16 v27, v20, v28, v19
	ds_read2_b32 v[19:20], v100 offset0:128 offset1:160
	v_mul_u32_u24_sdwa v28, v12, v99 dst_sel:DWORD dst_unused:UNUSED_PAD src0_sel:WORD_0 src1_sel:DWORD
	v_mul_u32_u24_sdwa v12, v12, v99 dst_sel:DWORD dst_unused:UNUSED_PAD src0_sel:WORD_1 src1_sel:DWORD
	s_waitcnt lgkmcnt(3)
	v_pk_fma_f16 v25, v21, v26, v25
	v_pk_fma_f16 v11, v21, v11, v27
	v_mul_u32_u24_sdwa v26, v13, v99 dst_sel:DWORD dst_unused:UNUSED_PAD src0_sel:WORD_0 src1_sel:DWORD
	v_mul_u32_u24_sdwa v13, v13, v99 dst_sel:DWORD dst_unused:UNUSED_PAD src0_sel:WORD_1 src1_sel:DWORD
	v_mul_u32_u24_sdwa v27, v14, v99 dst_sel:DWORD dst_unused:UNUSED_PAD src0_sel:WORD_0 src1_sel:DWORD
	v_pk_fma_f16 v25, v22, v28, v25
	v_pk_fma_f16 v11, v22, v12, v11
	ds_read2_b32 v[21:22], v100 offset0:192 offset1:224
	v_mul_u32_u24_sdwa v28, v14, v99 dst_sel:DWORD dst_unused:UNUSED_PAD src0_sel:WORD_1 src1_sel:DWORD
	s_waitcnt lgkmcnt(3)
	v_pk_fma_f16 v25, v23, v26, v25
	v_pk_fma_f16 v23, v23, v13, v11
	ds_read_b128 v[11:14], v89 offset:64
	s_waitcnt lgkmcnt(3)
	v_mul_u32_u24_sdwa v26, v15, v99 dst_sel:DWORD dst_unused:UNUSED_PAD src0_sel:WORD_0 src1_sel:DWORD
	v_mul_u32_u24_sdwa v15, v15, v99 dst_sel:DWORD dst_unused:UNUSED_PAD src0_sel:WORD_1 src1_sel:DWORD
	v_pk_fma_f16 v25, v24, v27, v25
	v_pk_fma_f16 v27, v24, v28, v23
	ds_read2_b32 v[23:24], v101 offset1:32
	v_mul_u32_u24_sdwa v28, v16, v99 dst_sel:DWORD dst_unused:UNUSED_PAD src0_sel:WORD_0 src1_sel:DWORD
	v_mul_u32_u24_sdwa v16, v16, v99 dst_sel:DWORD dst_unused:UNUSED_PAD src0_sel:WORD_1 src1_sel:DWORD
	s_waitcnt lgkmcnt(3)
	v_pk_fma_f16 v25, v19, v26, v25
	v_pk_fma_f16 v15, v19, v15, v27
	v_mul_u32_u24_sdwa v26, v17, v99 dst_sel:DWORD dst_unused:UNUSED_PAD src0_sel:WORD_0 src1_sel:DWORD
	v_mul_u32_u24_sdwa v17, v17, v99 dst_sel:DWORD dst_unused:UNUSED_PAD src0_sel:WORD_1 src1_sel:DWORD
	v_mul_u32_u24_sdwa v27, v18, v99 dst_sel:DWORD dst_unused:UNUSED_PAD src0_sel:WORD_0 src1_sel:DWORD
	v_pk_fma_f16 v25, v20, v28, v25
	v_pk_fma_f16 v15, v20, v16, v15
	ds_read2_b32 v[19:20], v101 offset0:64 offset1:96
	v_mul_u32_u24_sdwa v28, v18, v99 dst_sel:DWORD dst_unused:UNUSED_PAD src0_sel:WORD_1 src1_sel:DWORD
	s_waitcnt lgkmcnt(3)
	v_pk_fma_f16 v25, v21, v26, v25
	v_pk_fma_f16 v21, v21, v17, v15
	ds_read_b128 v[15:18], v89 offset:80
	s_waitcnt lgkmcnt(3)
	v_mul_u32_u24_sdwa v26, v11, v99 dst_sel:DWORD dst_unused:UNUSED_PAD src0_sel:WORD_0 src1_sel:DWORD
	v_mul_u32_u24_sdwa v11, v11, v99 dst_sel:DWORD dst_unused:UNUSED_PAD src0_sel:WORD_1 src1_sel:DWORD
	v_pk_fma_f16 v25, v22, v27, v25
	v_pk_fma_f16 v27, v22, v28, v21
	ds_read2_b32 v[21:22], v101 offset0:128 offset1:160
	v_mul_u32_u24_sdwa v28, v12, v99 dst_sel:DWORD dst_unused:UNUSED_PAD src0_sel:WORD_0 src1_sel:DWORD
	v_mul_u32_u24_sdwa v12, v12, v99 dst_sel:DWORD dst_unused:UNUSED_PAD src0_sel:WORD_1 src1_sel:DWORD
	s_waitcnt lgkmcnt(3)
	v_pk_fma_f16 v25, v23, v26, v25
	v_pk_fma_f16 v11, v23, v11, v27
	v_mul_u32_u24_sdwa v26, v13, v99 dst_sel:DWORD dst_unused:UNUSED_PAD src0_sel:WORD_0 src1_sel:DWORD
	v_mul_u32_u24_sdwa v13, v13, v99 dst_sel:DWORD dst_unused:UNUSED_PAD src0_sel:WORD_1 src1_sel:DWORD
	v_mul_u32_u24_sdwa v27, v14, v99 dst_sel:DWORD dst_unused:UNUSED_PAD src0_sel:WORD_0 src1_sel:DWORD
	v_pk_fma_f16 v25, v24, v28, v25
	v_pk_fma_f16 v11, v24, v12, v11
	ds_read2_b32 v[23:24], v101 offset0:192 offset1:224
	v_mul_u32_u24_sdwa v28, v14, v99 dst_sel:DWORD dst_unused:UNUSED_PAD src0_sel:WORD_1 src1_sel:DWORD
	;; [unrolled: 44-line block ×10, first 2 shown]
	v_mov_b32_e32 v11, v115
	s_waitcnt lgkmcnt(3)
	v_pk_fma_f16 v30, v23, v21, v20
	v_pk_fma_f16 v12, v23, v13, v12
	ds_read_b128 v[19:22], v89 offset:352
	s_waitcnt lgkmcnt(3)
	v_mul_u32_u24_sdwa v13, v15, v99 dst_sel:DWORD dst_unused:UNUSED_PAD src0_sel:WORD_0 src1_sel:DWORD
	v_mul_u32_u24_sdwa v15, v15, v99 dst_sel:DWORD dst_unused:UNUSED_PAD src0_sel:WORD_1 src1_sel:DWORD
	v_pk_fma_f16 v29, v24, v29, v30
	v_pk_fma_f16 v12, v24, v14, v12
	ds_read2_b32 v[23:24], v110 offset1:32
	v_mul_u32_u24_sdwa v14, v16, v99 dst_sel:DWORD dst_unused:UNUSED_PAD src0_sel:WORD_0 src1_sel:DWORD
	v_mul_u32_u24_sdwa v16, v16, v99 dst_sel:DWORD dst_unused:UNUSED_PAD src0_sel:WORD_1 src1_sel:DWORD
	s_waitcnt lgkmcnt(3)
	v_pk_fma_f16 v13, v25, v13, v29
	v_pk_fma_f16 v12, v25, v15, v12
	v_mul_u32_u24_sdwa v15, v17, v99 dst_sel:DWORD dst_unused:UNUSED_PAD src0_sel:WORD_0 src1_sel:DWORD
	v_mul_u32_u24_sdwa v17, v17, v99 dst_sel:DWORD dst_unused:UNUSED_PAD src0_sel:WORD_1 src1_sel:DWORD
	v_mov_b32_e32 v29, v116
	v_pk_fma_f16 v13, v26, v14, v13
	v_pk_fma_f16 v12, v26, v16, v12
	ds_read2_b32 v[25:26], v110 offset0:64 offset1:96
	v_mul_u32_u24_sdwa v16, v18, v99 dst_sel:DWORD dst_unused:UNUSED_PAD src0_sel:WORD_0 src1_sel:DWORD
	v_mul_u32_u24_sdwa v18, v18, v99 dst_sel:DWORD dst_unused:UNUSED_PAD src0_sel:WORD_1 src1_sel:DWORD
	s_waitcnt lgkmcnt(3)
	v_pk_fma_f16 v30, v27, v15, v13
	v_pk_fma_f16 v17, v27, v17, v12
	ds_read_b128 v[12:15], v89 offset:368
	s_waitcnt lgkmcnt(3)
	v_mul_u32_u24_sdwa v31, v19, v99 dst_sel:DWORD dst_unused:UNUSED_PAD src0_sel:WORD_0 src1_sel:DWORD
	v_mul_u32_u24_sdwa v19, v19, v99 dst_sel:DWORD dst_unused:UNUSED_PAD src0_sel:WORD_1 src1_sel:DWORD
	v_pk_fma_f16 v16, v28, v16, v30
	v_pk_fma_f16 v17, v28, v18, v17
	ds_read2_b32 v[27:28], v110 offset0:128 offset1:160
	v_mul_u32_u24_sdwa v18, v20, v99 dst_sel:DWORD dst_unused:UNUSED_PAD src0_sel:WORD_0 src1_sel:DWORD
	v_mul_u32_u24_sdwa v20, v20, v99 dst_sel:DWORD dst_unused:UNUSED_PAD src0_sel:WORD_1 src1_sel:DWORD
	s_waitcnt lgkmcnt(3)
	v_pk_fma_f16 v16, v23, v31, v16
	v_pk_fma_f16 v17, v23, v19, v17
	v_add_f32_e32 v30, v9, v10
	v_mul_u32_u24_sdwa v9, v21, v99 dst_sel:DWORD dst_unused:UNUSED_PAD src0_sel:WORD_0 src1_sel:DWORD
	v_mul_u32_u24_sdwa v10, v21, v99 dst_sel:DWORD dst_unused:UNUSED_PAD src0_sel:WORD_1 src1_sel:DWORD
	v_pk_fma_f16 v16, v24, v18, v16
	v_pk_fma_f16 v17, v24, v20, v17
	ds_read2_b32 v[20:21], v110 offset0:192 offset1:224
	v_mul_u32_u24_sdwa v23, v22, v99 dst_sel:DWORD dst_unused:UNUSED_PAD src0_sel:WORD_0 src1_sel:DWORD
	v_mul_u32_u24_sdwa v22, v22, v99 dst_sel:DWORD dst_unused:UNUSED_PAD src0_sel:WORD_1 src1_sel:DWORD
	s_waitcnt lgkmcnt(3)
	v_pk_fma_f16 v9, v25, v9, v16
	v_pk_fma_f16 v10, v25, v10, v17
	ds_read_b128 v[16:19], v89 offset:384
	s_waitcnt lgkmcnt(3)
	v_mul_u32_u24_sdwa v24, v12, v99 dst_sel:DWORD dst_unused:UNUSED_PAD src0_sel:WORD_0 src1_sel:DWORD
	v_mul_u32_u24_sdwa v12, v12, v99 dst_sel:DWORD dst_unused:UNUSED_PAD src0_sel:WORD_1 src1_sel:DWORD
	v_pk_fma_f16 v9, v26, v23, v9
	v_pk_fma_f16 v10, v26, v22, v10
	ds_read2_b32 v[22:23], v111 offset1:32
	v_mul_u32_u24_sdwa v25, v13, v99 dst_sel:DWORD dst_unused:UNUSED_PAD src0_sel:WORD_0 src1_sel:DWORD
	v_mul_u32_u24_sdwa v13, v13, v99 dst_sel:DWORD dst_unused:UNUSED_PAD src0_sel:WORD_1 src1_sel:DWORD
	s_waitcnt lgkmcnt(3)
	v_pk_fma_f16 v9, v27, v24, v9
	v_pk_fma_f16 v10, v27, v12, v10
	v_add_f32_e32 v26, v7, v8
	v_mul_u32_u24_sdwa v7, v14, v99 dst_sel:DWORD dst_unused:UNUSED_PAD src0_sel:WORD_0 src1_sel:DWORD
	v_mul_u32_u24_sdwa v8, v14, v99 dst_sel:DWORD dst_unused:UNUSED_PAD src0_sel:WORD_1 src1_sel:DWORD
	v_pk_fma_f16 v9, v28, v25, v9
	v_pk_fma_f16 v10, v28, v13, v10
	ds_read2_b32 v[24:25], v111 offset0:64 offset1:96
	v_mul_u32_u24_sdwa v12, v15, v99 dst_sel:DWORD dst_unused:UNUSED_PAD src0_sel:WORD_0 src1_sel:DWORD
	v_mul_u32_u24_sdwa v13, v15, v99 dst_sel:DWORD dst_unused:UNUSED_PAD src0_sel:WORD_1 src1_sel:DWORD
	s_waitcnt lgkmcnt(3)
	v_pk_fma_f16 v14, v20, v7, v9
	v_pk_fma_f16 v15, v20, v8, v10
	ds_read_b128 v[7:10], v89 offset:400
	s_waitcnt lgkmcnt(3)
	v_mul_u32_u24_sdwa v27, v16, v99 dst_sel:DWORD dst_unused:UNUSED_PAD src0_sel:WORD_0 src1_sel:DWORD
	v_mul_u32_u24_sdwa v16, v16, v99 dst_sel:DWORD dst_unused:UNUSED_PAD src0_sel:WORD_1 src1_sel:DWORD
	v_pk_fma_f16 v12, v21, v12, v14
	v_pk_fma_f16 v13, v21, v13, v15
	ds_read2_b32 v[20:21], v111 offset0:128 offset1:160
	v_mul_u32_u24_sdwa v14, v17, v99 dst_sel:DWORD dst_unused:UNUSED_PAD src0_sel:WORD_0 src1_sel:DWORD
	v_mul_u32_u24_sdwa v15, v17, v99 dst_sel:DWORD dst_unused:UNUSED_PAD src0_sel:WORD_1 src1_sel:DWORD
	s_waitcnt lgkmcnt(3)
	v_pk_fma_f16 v12, v22, v27, v12
	v_pk_fma_f16 v13, v22, v16, v13
	v_add_f32_e32 v22, v6, v30
	v_mul_u32_u24_sdwa v6, v18, v99 dst_sel:DWORD dst_unused:UNUSED_PAD src0_sel:WORD_0 src1_sel:DWORD
	v_mul_u32_u24_sdwa v18, v18, v99 dst_sel:DWORD dst_unused:UNUSED_PAD src0_sel:WORD_1 src1_sel:DWORD
	v_pk_fma_f16 v12, v23, v14, v12
	v_pk_fma_f16 v13, v23, v15, v13
	ds_read2_b32 v[16:17], v111 offset0:192 offset1:224
	v_mul_u32_u24_sdwa v23, v19, v99 dst_sel:DWORD dst_unused:UNUSED_PAD src0_sel:WORD_0 src1_sel:DWORD
	v_mul_u32_u24_sdwa v19, v19, v99 dst_sel:DWORD dst_unused:UNUSED_PAD src0_sel:WORD_1 src1_sel:DWORD
	s_waitcnt lgkmcnt(3)
	v_pk_fma_f16 v6, v24, v6, v12
	v_pk_fma_f16 v18, v24, v18, v13
	ds_read_b128 v[12:15], v89 offset:416
	s_waitcnt lgkmcnt(3)
	v_mul_u32_u24_sdwa v24, v7, v99 dst_sel:DWORD dst_unused:UNUSED_PAD src0_sel:WORD_0 src1_sel:DWORD
	v_mul_u32_u24_sdwa v7, v7, v99 dst_sel:DWORD dst_unused:UNUSED_PAD src0_sel:WORD_1 src1_sel:DWORD
	v_pk_fma_f16 v6, v25, v23, v6
	v_pk_fma_f16 v23, v25, v19, v18
	ds_read2_b32 v[18:19], v112 offset1:32
	v_mul_u32_u24_sdwa v25, v8, v99 dst_sel:DWORD dst_unused:UNUSED_PAD src0_sel:WORD_0 src1_sel:DWORD
	v_mul_u32_u24_sdwa v8, v8, v99 dst_sel:DWORD dst_unused:UNUSED_PAD src0_sel:WORD_1 src1_sel:DWORD
	s_waitcnt lgkmcnt(3)
	v_pk_fma_f16 v6, v20, v24, v6
	v_pk_fma_f16 v7, v20, v7, v23
	v_add_f32_e32 v23, v5, v26
	v_mul_u32_u24_sdwa v5, v9, v99 dst_sel:DWORD dst_unused:UNUSED_PAD src0_sel:WORD_0 src1_sel:DWORD
	v_mul_u32_u24_sdwa v9, v9, v99 dst_sel:DWORD dst_unused:UNUSED_PAD src0_sel:WORD_1 src1_sel:DWORD
	v_pk_fma_f16 v6, v21, v25, v6
	v_pk_fma_f16 v7, v21, v8, v7
	ds_read2_b32 v[20:21], v112 offset0:64 offset1:96
	v_mul_u32_u24_sdwa v24, v10, v99 dst_sel:DWORD dst_unused:UNUSED_PAD src0_sel:WORD_0 src1_sel:DWORD
	v_mul_u32_u24_sdwa v10, v10, v99 dst_sel:DWORD dst_unused:UNUSED_PAD src0_sel:WORD_1 src1_sel:DWORD
	s_waitcnt lgkmcnt(3)
	v_pk_fma_f16 v25, v16, v5, v6
	v_pk_fma_f16 v9, v16, v9, v7
	ds_read_b128 v[5:8], v89 offset:432
	s_waitcnt lgkmcnt(3)
	v_mul_u32_u24_sdwa v16, v12, v99 dst_sel:DWORD dst_unused:UNUSED_PAD src0_sel:WORD_0 src1_sel:DWORD
	v_mul_u32_u24_sdwa v12, v12, v99 dst_sel:DWORD dst_unused:UNUSED_PAD src0_sel:WORD_1 src1_sel:DWORD
	v_pk_fma_f16 v24, v17, v24, v25
	v_pk_fma_f16 v17, v17, v10, v9
	ds_read2_b32 v[9:10], v112 offset0:128 offset1:160
	v_mul_u32_u24_sdwa v25, v13, v99 dst_sel:DWORD dst_unused:UNUSED_PAD src0_sel:WORD_0 src1_sel:DWORD
	v_mul_u32_u24_sdwa v13, v13, v99 dst_sel:DWORD dst_unused:UNUSED_PAD src0_sel:WORD_1 src1_sel:DWORD
	s_waitcnt lgkmcnt(3)
	v_pk_fma_f16 v16, v18, v16, v24
	v_pk_fma_f16 v12, v18, v12, v17
	v_add_f32_e32 v115, v4, v22
	v_mul_u32_u24_sdwa v4, v14, v99 dst_sel:DWORD dst_unused:UNUSED_PAD src0_sel:WORD_0 src1_sel:DWORD
	v_mul_u32_u24_sdwa v14, v14, v99 dst_sel:DWORD dst_unused:UNUSED_PAD src0_sel:WORD_1 src1_sel:DWORD
	v_pk_fma_f16 v18, v19, v25, v16
	v_pk_fma_f16 v12, v19, v13, v12
	ds_read2_b32 v[16:17], v112 offset0:192 offset1:224
	v_mul_u32_u24_sdwa v19, v15, v99 dst_sel:DWORD dst_unused:UNUSED_PAD src0_sel:WORD_0 src1_sel:DWORD
	v_mul_u32_u24_sdwa v22, v15, v99 dst_sel:DWORD dst_unused:UNUSED_PAD src0_sel:WORD_1 src1_sel:DWORD
	s_waitcnt lgkmcnt(3)
	v_pk_fma_f16 v4, v20, v4, v18
	v_pk_fma_f16 v18, v20, v14, v12
	ds_read_b128 v[12:15], v89 offset:448
	s_waitcnt lgkmcnt(3)
	v_mul_u32_u24_sdwa v20, v5, v99 dst_sel:DWORD dst_unused:UNUSED_PAD src0_sel:WORD_0 src1_sel:DWORD
	v_mul_u32_u24_sdwa v5, v5, v99 dst_sel:DWORD dst_unused:UNUSED_PAD src0_sel:WORD_1 src1_sel:DWORD
	v_pk_fma_f16 v4, v21, v19, v4
	v_pk_fma_f16 v21, v21, v22, v18
	ds_read2_b32 v[18:19], v113 offset1:32
	v_mul_u32_u24_sdwa v22, v6, v99 dst_sel:DWORD dst_unused:UNUSED_PAD src0_sel:WORD_0 src1_sel:DWORD
	v_mul_u32_u24_sdwa v6, v6, v99 dst_sel:DWORD dst_unused:UNUSED_PAD src0_sel:WORD_1 src1_sel:DWORD
	s_waitcnt lgkmcnt(3)
	v_pk_fma_f16 v4, v9, v20, v4
	v_pk_fma_f16 v5, v9, v5, v21
	v_add_f32_e32 v116, v3, v23
	v_mul_u32_u24_sdwa v3, v7, v99 dst_sel:DWORD dst_unused:UNUSED_PAD src0_sel:WORD_0 src1_sel:DWORD
	v_mul_u32_u24_sdwa v7, v7, v99 dst_sel:DWORD dst_unused:UNUSED_PAD src0_sel:WORD_1 src1_sel:DWORD
	v_pk_fma_f16 v4, v10, v22, v4
	v_pk_fma_f16 v5, v10, v6, v5
	ds_read2_b32 v[20:21], v113 offset0:64 offset1:96
	v_mul_u32_u24_sdwa v9, v8, v99 dst_sel:DWORD dst_unused:UNUSED_PAD src0_sel:WORD_0 src1_sel:DWORD
	v_mul_u32_u24_sdwa v8, v8, v99 dst_sel:DWORD dst_unused:UNUSED_PAD src0_sel:WORD_1 src1_sel:DWORD
	s_waitcnt lgkmcnt(3)
	v_pk_fma_f16 v10, v16, v3, v4
	v_pk_fma_f16 v7, v16, v7, v5
	ds_read_b128 v[3:6], v89 offset:464
	s_waitcnt lgkmcnt(3)
	v_mul_u32_u24_sdwa v22, v12, v99 dst_sel:DWORD dst_unused:UNUSED_PAD src0_sel:WORD_0 src1_sel:DWORD
	v_mul_u32_u24_sdwa v12, v12, v99 dst_sel:DWORD dst_unused:UNUSED_PAD src0_sel:WORD_1 src1_sel:DWORD
	v_pk_fma_f16 v9, v17, v9, v10
	v_pk_fma_f16 v7, v17, v8, v7
	ds_read2_b32 v[16:17], v113 offset0:128 offset1:160
	v_mul_u32_u24_sdwa v8, v13, v99 dst_sel:DWORD dst_unused:UNUSED_PAD src0_sel:WORD_0 src1_sel:DWORD
	v_mul_u32_u24_sdwa v10, v13, v99 dst_sel:DWORD dst_unused:UNUSED_PAD src0_sel:WORD_1 src1_sel:DWORD
	s_waitcnt lgkmcnt(3)
	v_pk_fma_f16 v9, v18, v22, v9
	v_pk_fma_f16 v7, v18, v12, v7
	v_mul_u32_u24_sdwa v12, v14, v99 dst_sel:DWORD dst_unused:UNUSED_PAD src0_sel:WORD_0 src1_sel:DWORD
	v_mul_u32_u24_sdwa v13, v14, v99 dst_sel:DWORD dst_unused:UNUSED_PAD src0_sel:WORD_1 src1_sel:DWORD
	ds_read2_b32 v[22:23], v113 offset0:192 offset1:224
	v_pk_fma_f16 v8, v19, v8, v9
	v_pk_fma_f16 v7, v19, v10, v7
	v_mul_u32_u24_sdwa v14, v15, v99 dst_sel:DWORD dst_unused:UNUSED_PAD src0_sel:WORD_0 src1_sel:DWORD
	v_mul_u32_u24_sdwa v15, v15, v99 dst_sel:DWORD dst_unused:UNUSED_PAD src0_sel:WORD_1 src1_sel:DWORD
	ds_read2_b32 v[18:19], v114 offset1:32
	s_waitcnt lgkmcnt(4)
	v_pk_fma_f16 v12, v20, v12, v8
	v_pk_fma_f16 v13, v20, v13, v7
	ds_read_b128 v[7:10], v89 offset:480
	s_waitcnt lgkmcnt(4)
	v_mul_u32_u24_sdwa v24, v3, v99 dst_sel:DWORD dst_unused:UNUSED_PAD src0_sel:WORD_0 src1_sel:DWORD
	v_mul_u32_u24_sdwa v3, v3, v99 dst_sel:DWORD dst_unused:UNUSED_PAD src0_sel:WORD_1 src1_sel:DWORD
	v_pk_fma_f16 v12, v21, v14, v12
	v_pk_fma_f16 v13, v21, v15, v13
	v_mul_u32_u24_sdwa v14, v4, v99 dst_sel:DWORD dst_unused:UNUSED_PAD src0_sel:WORD_0 src1_sel:DWORD
	v_mul_u32_u24_sdwa v15, v4, v99 dst_sel:DWORD dst_unused:UNUSED_PAD src0_sel:WORD_1 src1_sel:DWORD
	ds_read2_b32 v[20:21], v114 offset0:64 offset1:96
	s_waitcnt lgkmcnt(4)
	v_pk_fma_f16 v12, v16, v24, v12
	v_pk_fma_f16 v13, v16, v3, v13
	v_mul_u32_u24_sdwa v16, v5, v99 dst_sel:DWORD dst_unused:UNUSED_PAD src0_sel:WORD_0 src1_sel:DWORD
	v_mul_u32_u24_sdwa v5, v5, v99 dst_sel:DWORD dst_unused:UNUSED_PAD src0_sel:WORD_1 src1_sel:DWORD
	v_mul_u32_u24_sdwa v25, v6, v99 dst_sel:DWORD dst_unused:UNUSED_PAD src0_sel:WORD_0 src1_sel:DWORD
	v_pk_fma_f16 v24, v17, v14, v12
	v_pk_fma_f16 v17, v17, v15, v13
	v_mul_u32_u24_sdwa v26, v6, v99 dst_sel:DWORD dst_unused:UNUSED_PAD src0_sel:WORD_1 src1_sel:DWORD
	ds_read_b128 v[12:15], v89 offset:496
	ds_read2_b32 v[3:4], v114 offset0:128 offset1:160
	s_waitcnt lgkmcnt(5)
	v_pk_fma_f16 v16, v22, v16, v24
	v_pk_fma_f16 v17, v22, v5, v17
	s_waitcnt lgkmcnt(3)
	v_mul_u32_u24_sdwa v22, v7, v99 dst_sel:DWORD dst_unused:UNUSED_PAD src0_sel:WORD_0 src1_sel:DWORD
	v_mul_u32_u24_sdwa v7, v7, v99 dst_sel:DWORD dst_unused:UNUSED_PAD src0_sel:WORD_1 src1_sel:DWORD
	ds_read2_b32 v[5:6], v114 offset0:192 offset1:224
	v_pk_fma_f16 v16, v23, v25, v16
	v_pk_fma_f16 v17, v23, v26, v17
	v_mul_u32_u24_sdwa v23, v8, v99 dst_sel:DWORD dst_unused:UNUSED_PAD src0_sel:WORD_0 src1_sel:DWORD
	v_mul_u32_u24_sdwa v8, v8, v99 dst_sel:DWORD dst_unused:UNUSED_PAD src0_sel:WORD_1 src1_sel:DWORD
	s_waitcnt lgkmcnt(0)
	v_pk_fma_f16 v16, v18, v22, v16
	v_pk_fma_f16 v7, v18, v7, v17
	v_mul_u32_u24_sdwa v17, v9, v99 dst_sel:DWORD dst_unused:UNUSED_PAD src0_sel:WORD_0 src1_sel:DWORD
	v_mul_u32_u24_sdwa v9, v9, v99 dst_sel:DWORD dst_unused:UNUSED_PAD src0_sel:WORD_1 src1_sel:DWORD
	s_barrier
	v_pk_fma_f16 v16, v19, v23, v16
	v_pk_fma_f16 v7, v19, v8, v7
	v_mul_u32_u24_sdwa v8, v10, v99 dst_sel:DWORD dst_unused:UNUSED_PAD src0_sel:WORD_0 src1_sel:DWORD
	v_mul_u32_u24_sdwa v10, v10, v99 dst_sel:DWORD dst_unused:UNUSED_PAD src0_sel:WORD_1 src1_sel:DWORD
	buffer_gl0_inv
	v_pk_fma_f16 v16, v20, v17, v16
	v_pk_fma_f16 v7, v20, v9, v7
	s_load_dword s0, s[10:11], 0x4
	v_mul_u32_u24_sdwa v9, v12, v99 dst_sel:DWORD dst_unused:UNUSED_PAD src0_sel:WORD_0 src1_sel:DWORD
	v_mul_u32_u24_sdwa v12, v12, v99 dst_sel:DWORD dst_unused:UNUSED_PAD src0_sel:WORD_1 src1_sel:DWORD
	v_pk_fma_f16 v8, v21, v8, v16
	v_pk_fma_f16 v7, v21, v10, v7
	v_fmac_f32_e32 v115, v11, v2
	v_mul_u32_u24_sdwa v2, v13, v99 dst_sel:DWORD dst_unused:UNUSED_PAD src0_sel:WORD_0 src1_sel:DWORD
	v_mul_u32_u24_sdwa v10, v13, v99 dst_sel:DWORD dst_unused:UNUSED_PAD src0_sel:WORD_1 src1_sel:DWORD
	v_pk_fma_f16 v8, v3, v9, v8
	v_pk_fma_f16 v3, v3, v12, v7
	v_mul_u32_u24_sdwa v7, v14, v99 dst_sel:DWORD dst_unused:UNUSED_PAD src0_sel:WORD_0 src1_sel:DWORD
	v_mul_u32_u24_sdwa v9, v14, v99 dst_sel:DWORD dst_unused:UNUSED_PAD src0_sel:WORD_1 src1_sel:DWORD
	v_fmac_f32_e32 v116, v29, v1
	v_pk_fma_f16 v2, v4, v2, v8
	v_pk_fma_f16 v3, v4, v10, v3
	v_mul_u32_u24_sdwa v1, v15, v99 dst_sel:DWORD dst_unused:UNUSED_PAD src0_sel:WORD_0 src1_sel:DWORD
	v_mul_u32_u24_sdwa v4, v15, v99 dst_sel:DWORD dst_unused:UNUSED_PAD src0_sel:WORD_1 src1_sel:DWORD
	v_pk_fma_f16 v2, v5, v7, v2
	v_pk_fma_f16 v3, v5, v9, v3
	s_waitcnt lgkmcnt(0)
	s_lshl_b32 s0, s0, 7
	s_add_i32 s9, s0, s9
	v_pk_fma_f16 v118, v6, v1, v2
	v_pk_fma_f16 v117, v6, v4, v3
	s_cmp_ge_i32 s9, s30
	s_cbranch_scc0 .LBB13_9
; %bb.10:
	v_mov_b32_e32 v4, v70
.LBB13_11:
	v_lshlrev_b32_e32 v8, 1, v0
	v_cmp_lt_i32_e32 vcc_lo, v83, v72
	s_cmp_lg_u64 s[16:17], 0
	s_cselect_b32 s0, -1, 0
	s_cmp_eq_u32 s28, 0
	v_cndmask_b32_e32 v1, v4, v83, vcc_lo
	v_cmp_lt_i32_e32 vcc_lo, v77, v72
	s_cselect_b32 s1, -1, 0
	s_and_b32 s0, s1, s0
	v_lshlrev_b32_e32 v1, 2, v1
	v_cndmask_b32_e32 v3, v4, v77, vcc_lo
	v_cmp_lt_i32_e32 vcc_lo, v76, v72
	ds_bpermute_b32 v2, v1, v115
	ds_bpermute_b32 v1, v1, v116
	v_lshlrev_b32_e32 v3, 2, v3
	v_cndmask_b32_e32 v6, v4, v76, vcc_lo
	v_cmp_lt_i32_e32 vcc_lo, v75, v72
	v_lshlrev_b32_e32 v6, 2, v6
	s_waitcnt lgkmcnt(1)
	v_add_f32_e32 v2, v115, v2
	s_waitcnt lgkmcnt(0)
	v_add_f32_e32 v1, v116, v1
	ds_bpermute_b32 v5, v3, v2
	ds_bpermute_b32 v3, v3, v1
	s_waitcnt lgkmcnt(1)
	v_add_f32_e32 v2, v2, v5
	s_waitcnt lgkmcnt(0)
	v_add_f32_e32 v1, v1, v3
	ds_bpermute_b32 v3, v6, v2
	ds_bpermute_b32 v5, v6, v1
	v_cndmask_b32_e32 v6, v4, v75, vcc_lo
	v_cmp_lt_i32_e32 vcc_lo, v74, v72
	v_lshlrev_b32_e32 v6, 2, v6
	v_cndmask_b32_e32 v4, v4, v74, vcc_lo
	s_and_b32 vcc_lo, exec_lo, s0
	s_mov_b32 s0, 0
	v_lshlrev_b32_e32 v4, 2, v4
	s_waitcnt lgkmcnt(1)
	v_add_f32_e32 v2, v2, v3
	s_waitcnt lgkmcnt(0)
	v_add_f32_e32 v1, v1, v5
	ds_bpermute_b32 v3, v6, v2
	ds_bpermute_b32 v5, v6, v1
	s_waitcnt lgkmcnt(1)
	v_add_f32_e32 v2, v2, v3
	s_waitcnt lgkmcnt(0)
	v_add_f32_e32 v3, v1, v5
	ds_bpermute_b32 v1, v4, v2
	ds_bpermute_b32 v4, v4, v3
	s_waitcnt lgkmcnt(1)
	v_add_f32_e32 v1, v2, v1
	s_waitcnt lgkmcnt(0)
	v_add_f32_e32 v2, v3, v4
	v_add_nc_u32_e32 v3, s33, v69
	s_cbranch_vccnz .LBB13_14
; %bb.12:
	v_mov_b32_e32 v5, v2
	v_add_nc_u32_e32 v6, s33, v69
	v_mov_b32_e32 v4, v1
	s_andn2_b32 vcc_lo, exec_lo, s0
	s_cbranch_vccz .LBB13_15
; %bb.13:
	v_mov_b32_e32 v3, v6
	s_branch .LBB13_16
.LBB13_14:
                                        ; implicit-def: $vgpr6
                                        ; implicit-def: $vgpr4_vgpr5
.LBB13_15:
	v_ashrrev_i32_e32 v4, 31, v3
	v_max_f32_e32 v6, v51, v51
	v_max_f32_e32 v9, v52, v52
	v_lshlrev_b64 v[4:5], 2, v[3:4]
	v_add_co_u32 v4, vcc_lo, s16, v4
	v_add_co_ci_u32_e64 v5, null, s17, v5, vcc_lo
	global_load_dwordx2 v[4:5], v[4:5], off
	s_waitcnt vmcnt(0)
	v_max_f32_e32 v7, v4, v4
	v_max_f32_e32 v10, v5, v5
	;; [unrolled: 1-line block ×4, first 2 shown]
	v_sub_f32_e32 v9, v51, v6
	v_sub_f32_e32 v10, v52, v7
	;; [unrolled: 1-line block ×4, first 2 shown]
	v_mov_b32_e32 v52, v7
	v_mul_f32_e32 v11, 0x3fb8aa3b, v9
	v_mul_f32_e32 v13, 0x3fb8aa3b, v10
	;; [unrolled: 1-line block ×4, first 2 shown]
	v_cmp_ngt_f32_e32 vcc_lo, 0xc2ce8ed0, v9
	v_fma_f32 v15, 0x3fb8aa3b, v9, -v11
	v_rndne_f32_e32 v16, v11
	v_fma_f32 v19, 0x3fb8aa3b, v10, -v13
	v_rndne_f32_e32 v20, v13
	v_fma_f32 v17, 0x3fb8aa3b, v4, -v12
	v_fmac_f32_e32 v15, 0x32a5705f, v9
	v_sub_f32_e32 v11, v11, v16
	v_rndne_f32_e32 v18, v12
	v_fmac_f32_e32 v19, 0x32a5705f, v10
	v_sub_f32_e32 v13, v13, v20
	v_fmac_f32_e32 v17, 0x32a5705f, v4
	v_add_f32_e32 v11, v11, v15
	v_sub_f32_e32 v12, v12, v18
	v_cvt_i32_f32_e32 v15, v16
	v_add_f32_e32 v13, v13, v19
	v_fma_f32 v21, 0x3fb8aa3b, v5, -v14
	v_exp_f32_e32 v11, v11
	v_add_f32_e32 v12, v12, v17
	v_rndne_f32_e32 v22, v14
	v_exp_f32_e32 v13, v13
	v_cvt_i32_f32_e32 v17, v20
	v_fmac_f32_e32 v21, 0x32a5705f, v5
	v_exp_f32_e32 v12, v12
	v_sub_f32_e32 v14, v14, v22
	v_cvt_i32_f32_e32 v16, v18
	v_cvt_i32_f32_e32 v18, v22
	v_ldexp_f32 v11, v11, v15
	v_mov_b32_e32 v19, 0x10001
	v_add_f32_e32 v14, v14, v21
	v_ldexp_f32 v13, v13, v17
	v_mov_b32_e32 v51, v6
	v_cndmask_b32_e32 v11, 0, v11, vcc_lo
	v_cmp_ngt_f32_e32 vcc_lo, 0xc2ce8ed0, v10
	v_ldexp_f32 v12, v12, v16
	v_exp_f32_e32 v14, v14
	v_cndmask_b32_e32 v13, 0, v13, vcc_lo
	v_cmp_ngt_f32_e32 vcc_lo, 0xc2ce8ed0, v4
	v_cndmask_b32_e32 v12, 0, v12, vcc_lo
	v_cmp_nlt_f32_e32 vcc_lo, 0x42b17218, v9
	v_ldexp_f32 v14, v14, v18
	v_cndmask_b32_e32 v9, 0x7f800000, v11, vcc_lo
	v_cmp_nlt_f32_e32 vcc_lo, 0x42b17218, v10
	v_cndmask_b32_e32 v10, 0x7f800000, v13, vcc_lo
	v_cmp_ngt_f32_e32 vcc_lo, 0xc2ce8ed0, v5
	v_cvt_f16_f32_e32 v13, v10
	v_cndmask_b32_e32 v11, 0, v14, vcc_lo
	v_cmp_nlt_f32_e32 vcc_lo, 0x42b17218, v4
	v_cndmask_b32_e32 v4, 0x7f800000, v12, vcc_lo
	v_cmp_nlt_f32_e32 vcc_lo, 0x42b17218, v5
	v_cvt_f16_f32_e32 v12, v9
	v_fmac_f32_e32 v4, v1, v9
	v_cndmask_b32_e32 v5, 0x7f800000, v11, vcc_lo
	v_mul_u32_u24_sdwa v9, v12, v19 dst_sel:DWORD dst_unused:UNUSED_PAD src0_sel:WORD_0 src1_sel:DWORD
	v_mul_u32_u24_sdwa v11, v13, v19 dst_sel:DWORD dst_unused:UNUSED_PAD src0_sel:WORD_0 src1_sel:DWORD
	v_mov_b32_e32 v1, v4
	v_fmac_f32_e32 v5, v2, v10
	v_pk_mul_f16 v118, v118, v9
	v_pk_mul_f16 v117, v117, v11
	v_mov_b32_e32 v2, v5
.LBB13_16:
	s_load_dword s1, s[4:5], 0xd4
	v_mov_b32_e32 v9, 1.0
	s_waitcnt lgkmcnt(0)
	s_cmp_lg_u32 s1, 1
	s_cselect_b32 s3, -1, 0
	s_cmp_eq_u32 s1, 1
	s_cselect_b32 s2, -1, 0
	s_and_b32 vcc_lo, exec_lo, s3
	s_cbranch_vccnz .LBB13_18
; %bb.17:
	v_div_scale_f32 v6, null, v1, v1, 1.0
	v_rcp_f32_e32 v7, v6
	v_fma_f32 v9, -v6, v7, 1.0
	v_fmac_f32_e32 v7, v9, v7
	v_div_scale_f32 v9, vcc_lo, 1.0, v1, 1.0
	v_mul_f32_e32 v10, v9, v7
	v_fma_f32 v11, -v6, v10, v9
	v_fmac_f32_e32 v10, v11, v7
	v_fma_f32 v6, -v6, v10, v9
	v_div_fmas_f32 v6, v6, v7, v10
	v_div_fixup_f32 v9, v6, v1, 1.0
.LBB13_18:
	v_mad_u64_u32 v[6:7], null, s29, s26, v[33:34]
	v_mov_b32_e32 v11, 0
	v_cvt_f32_f16_e32 v1, v118
	v_cmp_eq_u32_e32 vcc_lo, 0, v0
	v_mul_f32_e32 v0, v9, v1
	v_mad_u64_u32 v[6:7], null, v6, s27, v[3:4]
	v_cvt_f32_f16_sdwa v3, v118 dst_sel:DWORD dst_unused:UNUSED_PAD src0_sel:WORD_1
	v_mul_f32_e32 v1, v9, v3
	v_mad_u64_u32 v[6:7], null, s1, v6, s[28:29]
	v_lshl_add_u32 v10, v6, 6, v8
	v_lshlrev_b64 v[10:11], 2, v[10:11]
	v_add_co_u32 v9, s0, s20, v10
	v_add_co_ci_u32_e64 v10, null, s21, v11, s0
	s_and_b32 s0, vcc_lo, s3
	global_store_dwordx2 v[9:10], v[0:1], off
	s_and_saveexec_b32 s3, s0
	s_cbranch_execz .LBB13_20
; %bb.19:
	v_ashrrev_i32_e32 v7, 31, v6
	v_mov_b32_e32 v3, v51
	v_lshlrev_b64 v[0:1], 3, v[6:7]
	v_add_co_u32 v0, vcc_lo, s22, v0
	v_add_co_ci_u32_e64 v1, null, s23, v1, vcc_lo
	global_store_dwordx2 v[0:1], v[3:4], off
.LBB13_20:
	s_or_b32 exec_lo, exec_lo, s3
	v_mov_b32_e32 v1, 1.0
	s_andn2_b32 vcc_lo, exec_lo, s2
	s_cbranch_vccnz .LBB13_22
; %bb.21:
	v_div_scale_f32 v0, null, v2, v2, 1.0
	v_rcp_f32_e32 v1, v0
	v_fma_f32 v3, -v0, v1, 1.0
	v_fmac_f32_e32 v1, v3, v1
	v_div_scale_f32 v3, vcc_lo, 1.0, v2, 1.0
	v_mul_f32_e32 v4, v3, v1
	v_fma_f32 v7, -v0, v4, v3
	v_fmac_f32_e32 v4, v7, v1
	v_fma_f32 v0, -v0, v4, v3
	v_div_fmas_f32 v0, v0, v1, v4
	v_div_fixup_f32 v1, v0, v2, 1.0
.LBB13_22:
	v_add_nc_u32_e32 v0, s1, v6
	v_mov_b32_e32 v3, 0
	v_cvt_f32_f16_e32 v4, v117
	v_cvt_f32_f16_sdwa v7, v117 dst_sel:DWORD dst_unused:UNUSED_PAD src0_sel:WORD_1
	v_lshl_add_u32 v2, v0, 6, v8
	v_mul_f32_e32 v6, v1, v4
	v_mul_f32_e32 v7, v1, v7
	v_lshlrev_b64 v[2:3], 2, v[2:3]
	v_add_co_u32 v1, vcc_lo, s20, v2
	v_add_co_ci_u32_e64 v2, null, s21, v3, vcc_lo
	global_store_dwordx2 v[1:2], v[6:7], off
	s_and_saveexec_b32 s1, s0
	s_cbranch_execz .LBB13_24
; %bb.23:
	v_ashrrev_i32_e32 v1, 31, v0
	v_mov_b32_e32 v4, v52
	v_lshlrev_b64 v[0:1], 3, v[0:1]
	v_add_co_u32 v0, vcc_lo, s22, v0
	v_add_co_ci_u32_e64 v1, null, s23, v1, vcc_lo
	global_store_dwordx2 v[0:1], v[4:5], off
.LBB13_24:
	s_endpgm
	.section	.rodata,"a",@progbits
	.p2align	6, 0x0
	.amdhsa_kernel _ZL15flash_attn_tileILi64ELi64ELi1ELi8ELb0EEvPKcS1_S1_S1_S1_PKiPfP15HIP_vector_typeIfLj2EEffffjfiS5_IjLj3EEiiiiiiiiiiiliiliiiiil
		.amdhsa_group_segment_fixed_size 21504
		.amdhsa_private_segment_fixed_size 0
		.amdhsa_kernarg_size 464
		.amdhsa_user_sgpr_count 6
		.amdhsa_user_sgpr_private_segment_buffer 1
		.amdhsa_user_sgpr_dispatch_ptr 0
		.amdhsa_user_sgpr_queue_ptr 0
		.amdhsa_user_sgpr_kernarg_segment_ptr 1
		.amdhsa_user_sgpr_dispatch_id 0
		.amdhsa_user_sgpr_flat_scratch_init 0
		.amdhsa_user_sgpr_private_segment_size 0
		.amdhsa_wavefront_size32 1
		.amdhsa_uses_dynamic_stack 0
		.amdhsa_system_sgpr_private_segment_wavefront_offset 0
		.amdhsa_system_sgpr_workgroup_id_x 1
		.amdhsa_system_sgpr_workgroup_id_y 1
		.amdhsa_system_sgpr_workgroup_id_z 1
		.amdhsa_system_sgpr_workgroup_info 0
		.amdhsa_system_vgpr_workitem_id 1
		.amdhsa_next_free_vgpr 159
		.amdhsa_next_free_sgpr 40
		.amdhsa_reserve_vcc 1
		.amdhsa_reserve_flat_scratch 0
		.amdhsa_float_round_mode_32 0
		.amdhsa_float_round_mode_16_64 0
		.amdhsa_float_denorm_mode_32 3
		.amdhsa_float_denorm_mode_16_64 3
		.amdhsa_dx10_clamp 1
		.amdhsa_ieee_mode 1
		.amdhsa_fp16_overflow 0
		.amdhsa_workgroup_processor_mode 1
		.amdhsa_memory_ordered 1
		.amdhsa_forward_progress 1
		.amdhsa_shared_vgpr_count 0
		.amdhsa_exception_fp_ieee_invalid_op 0
		.amdhsa_exception_fp_denorm_src 0
		.amdhsa_exception_fp_ieee_div_zero 0
		.amdhsa_exception_fp_ieee_overflow 0
		.amdhsa_exception_fp_ieee_underflow 0
		.amdhsa_exception_fp_ieee_inexact 0
		.amdhsa_exception_int_div_zero 0
	.end_amdhsa_kernel
	.section	.text._ZL15flash_attn_tileILi64ELi64ELi1ELi8ELb0EEvPKcS1_S1_S1_S1_PKiPfP15HIP_vector_typeIfLj2EEffffjfiS5_IjLj3EEiiiiiiiiiiiliiliiiiil,"axG",@progbits,_ZL15flash_attn_tileILi64ELi64ELi1ELi8ELb0EEvPKcS1_S1_S1_S1_PKiPfP15HIP_vector_typeIfLj2EEffffjfiS5_IjLj3EEiiiiiiiiiiiliiliiiiil,comdat
.Lfunc_end13:
	.size	_ZL15flash_attn_tileILi64ELi64ELi1ELi8ELb0EEvPKcS1_S1_S1_S1_PKiPfP15HIP_vector_typeIfLj2EEffffjfiS5_IjLj3EEiiiiiiiiiiiliiliiiiil, .Lfunc_end13-_ZL15flash_attn_tileILi64ELi64ELi1ELi8ELb0EEvPKcS1_S1_S1_S1_PKiPfP15HIP_vector_typeIfLj2EEffffjfiS5_IjLj3EEiiiiiiiiiiiliiliiiiil
                                        ; -- End function
	.set _ZL15flash_attn_tileILi64ELi64ELi1ELi8ELb0EEvPKcS1_S1_S1_S1_PKiPfP15HIP_vector_typeIfLj2EEffffjfiS5_IjLj3EEiiiiiiiiiiiliiliiiiil.num_vgpr, 159
	.set _ZL15flash_attn_tileILi64ELi64ELi1ELi8ELb0EEvPKcS1_S1_S1_S1_PKiPfP15HIP_vector_typeIfLj2EEffffjfiS5_IjLj3EEiiiiiiiiiiiliiliiiiil.num_agpr, 0
	.set _ZL15flash_attn_tileILi64ELi64ELi1ELi8ELb0EEvPKcS1_S1_S1_S1_PKiPfP15HIP_vector_typeIfLj2EEffffjfiS5_IjLj3EEiiiiiiiiiiiliiliiiiil.numbered_sgpr, 40
	.set _ZL15flash_attn_tileILi64ELi64ELi1ELi8ELb0EEvPKcS1_S1_S1_S1_PKiPfP15HIP_vector_typeIfLj2EEffffjfiS5_IjLj3EEiiiiiiiiiiiliiliiiiil.num_named_barrier, 0
	.set _ZL15flash_attn_tileILi64ELi64ELi1ELi8ELb0EEvPKcS1_S1_S1_S1_PKiPfP15HIP_vector_typeIfLj2EEffffjfiS5_IjLj3EEiiiiiiiiiiiliiliiiiil.private_seg_size, 0
	.set _ZL15flash_attn_tileILi64ELi64ELi1ELi8ELb0EEvPKcS1_S1_S1_S1_PKiPfP15HIP_vector_typeIfLj2EEffffjfiS5_IjLj3EEiiiiiiiiiiiliiliiiiil.uses_vcc, 1
	.set _ZL15flash_attn_tileILi64ELi64ELi1ELi8ELb0EEvPKcS1_S1_S1_S1_PKiPfP15HIP_vector_typeIfLj2EEffffjfiS5_IjLj3EEiiiiiiiiiiiliiliiiiil.uses_flat_scratch, 0
	.set _ZL15flash_attn_tileILi64ELi64ELi1ELi8ELb0EEvPKcS1_S1_S1_S1_PKiPfP15HIP_vector_typeIfLj2EEffffjfiS5_IjLj3EEiiiiiiiiiiiliiliiiiil.has_dyn_sized_stack, 0
	.set _ZL15flash_attn_tileILi64ELi64ELi1ELi8ELb0EEvPKcS1_S1_S1_S1_PKiPfP15HIP_vector_typeIfLj2EEffffjfiS5_IjLj3EEiiiiiiiiiiiliiliiiiil.has_recursion, 0
	.set _ZL15flash_attn_tileILi64ELi64ELi1ELi8ELb0EEvPKcS1_S1_S1_S1_PKiPfP15HIP_vector_typeIfLj2EEffffjfiS5_IjLj3EEiiiiiiiiiiiliiliiiiil.has_indirect_call, 0
	.section	.AMDGPU.csdata,"",@progbits
; Kernel info:
; codeLenInByte = 16720
; TotalNumSgprs: 42
; NumVgprs: 159
; ScratchSize: 0
; MemoryBound: 0
; FloatMode: 240
; IeeeMode: 1
; LDSByteSize: 21504 bytes/workgroup (compile time only)
; SGPRBlocks: 0
; VGPRBlocks: 19
; NumSGPRsForWavesPerEU: 42
; NumVGPRsForWavesPerEU: 159
; Occupancy: 6
; WaveLimiterHint : 1
; COMPUTE_PGM_RSRC2:SCRATCH_EN: 0
; COMPUTE_PGM_RSRC2:USER_SGPR: 6
; COMPUTE_PGM_RSRC2:TRAP_HANDLER: 0
; COMPUTE_PGM_RSRC2:TGID_X_EN: 1
; COMPUTE_PGM_RSRC2:TGID_Y_EN: 1
; COMPUTE_PGM_RSRC2:TGID_Z_EN: 1
; COMPUTE_PGM_RSRC2:TIDIG_COMP_CNT: 1
	.section	.text._ZL25flash_attn_mask_to_KV_maxILi1EEvPK7__half2Piiii,"axG",@progbits,_ZL25flash_attn_mask_to_KV_maxILi1EEvPK7__half2Piiii,comdat
	.globl	_ZL25flash_attn_mask_to_KV_maxILi1EEvPK7__half2Piiii ; -- Begin function _ZL25flash_attn_mask_to_KV_maxILi1EEvPK7__half2Piiii
	.p2align	8
	.type	_ZL25flash_attn_mask_to_KV_maxILi1EEvPK7__half2Piiii,@function
_ZL25flash_attn_mask_to_KV_maxILi1EEvPK7__half2Piiii: ; @_ZL25flash_attn_mask_to_KV_maxILi1EEvPK7__half2Piiii
; %bb.0:
	s_load_dwordx4 s[8:11], s[4:5], 0x0
	s_mov_b32 s0, exec_lo
	v_cmpx_gt_u32_e32 32, v0
; %bb.1:
	v_lshlrev_b32_e32 v1, 2, v0
	v_mov_b32_e32 v2, 1
	ds_write_b32 v1, v2
; %bb.2:
	s_or_b32 exec_lo, exec_lo, s0
	s_clause 0x1
	s_load_dwordx4 s[12:15], s[4:5], 0x10
	s_load_dword s1, s[4:5], 0x20
	v_and_b32_e32 v1, 31, v0
	v_lshrrev_b32_e32 v3, 3, v0
	v_mov_b32_e32 v2, 0
	v_mov_b32_e32 v4, 0x204
	s_waitcnt lgkmcnt(0)
	v_lshlrev_b32_e32 v5, 2, v1
	s_barrier
	buffer_gl0_inv
	s_mul_i32 s0, s14, s7
	s_mul_i32 s2, s13, s6
	s_add_i32 s2, s0, s2
	v_cmp_eq_u32_e64 s0, 0, v1
	s_ashr_i32 s3, s2, 31
	s_lshl_b64 s[4:5], s[2:3], 2
	s_add_u32 s3, s8, s4
	s_addc_u32 s4, s9, s5
	s_lshl_b32 s5, s12, 8
	s_branch .LBB14_4
	.p2align	6
.LBB14_3:                               ;   in Loop: Header=BB14_4 Depth=1
	s_or_b32 exec_lo, exec_lo, s9
	s_waitcnt lgkmcnt(0)
	s_barrier
	buffer_gl0_inv
	ds_read_b32 v1, v5
	s_waitcnt lgkmcnt(0)
	s_barrier
	buffer_gl0_inv
	v_cmp_ne_u32_e32 vcc_lo, 0, v1
	s_cmp_lg_u32 vcc_lo, exec_lo
	s_cselect_b32 s8, -1, 0
	s_and_b32 vcc_lo, exec_lo, s8
	s_cbranch_vccnz .LBB14_8
.LBB14_4:                               ; =>This Inner Loop Header: Depth=1
	s_mov_b32 s2, s5
	s_addk_i32 s5, 0xff00
	s_cmp_lt_i32 s5, 0
	s_cbranch_scc1 .LBB14_7
; %bb.5:                                ;   in Loop: Header=BB14_4 Depth=1
	s_lshr_b32 s9, s5, 1
	s_mov_b32 s8, exec_lo
	v_add_nc_u32_e32 v1, s9, v0
	v_lshlrev_b64 v[6:7], 2, v[1:2]
	v_add_co_u32 v6, vcc_lo, s3, v6
	v_add_co_ci_u32_e64 v7, null, s4, v7, vcc_lo
	global_load_dword v1, v[6:7], off
	s_waitcnt vmcnt(0)
	v_cmp_class_f16_e64 s9, v1, 0x204
	v_cmp_class_f16_sdwa s12, v1, v4 src0_sel:WORD_1 src1_sel:DWORD
	s_and_b32 s9, s9, s12
	v_cndmask_b32_e64 v1, 0, 1, s9
	v_cmp_ne_u32_e32 vcc_lo, 0, v1
	s_and_saveexec_b32 s9, s0
	s_cbranch_execz .LBB14_3
; %bb.6:                                ;   in Loop: Header=BB14_4 Depth=1
	s_cmp_eq_u32 vcc_lo, s8
	s_cselect_b32 s8, -1, 0
	v_cndmask_b32_e64 v1, 0, 1, s8
	ds_write_b32 v3, v1
	s_branch .LBB14_3
.LBB14_7:                               ;   in Loop: Header=BB14_4 Depth=1
	s_cbranch_execz .LBB14_4
.LBB14_8:
	s_mov_b32 s0, exec_lo
	v_cmpx_eq_u32_e32 0, v0
	s_cbranch_execz .LBB14_10
; %bb.9:
	s_mul_i32 s0, s1, s7
	v_mov_b32_e32 v0, 0
	s_add_i32 s0, s0, s6
	v_mov_b32_e32 v1, s2
	s_ashr_i32 s1, s0, 31
	s_lshl_b64 s[0:1], s[0:1], 2
	s_add_u32 s0, s10, s0
	s_addc_u32 s1, s11, s1
	global_store_dword v0, v1, s[0:1]
.LBB14_10:
	s_endpgm
	.section	.rodata,"a",@progbits
	.p2align	6, 0x0
	.amdhsa_kernel _ZL25flash_attn_mask_to_KV_maxILi1EEvPK7__half2Piiii
		.amdhsa_group_segment_fixed_size 128
		.amdhsa_private_segment_fixed_size 0
		.amdhsa_kernarg_size 288
		.amdhsa_user_sgpr_count 6
		.amdhsa_user_sgpr_private_segment_buffer 1
		.amdhsa_user_sgpr_dispatch_ptr 0
		.amdhsa_user_sgpr_queue_ptr 0
		.amdhsa_user_sgpr_kernarg_segment_ptr 1
		.amdhsa_user_sgpr_dispatch_id 0
		.amdhsa_user_sgpr_flat_scratch_init 0
		.amdhsa_user_sgpr_private_segment_size 0
		.amdhsa_wavefront_size32 1
		.amdhsa_uses_dynamic_stack 0
		.amdhsa_system_sgpr_private_segment_wavefront_offset 0
		.amdhsa_system_sgpr_workgroup_id_x 1
		.amdhsa_system_sgpr_workgroup_id_y 1
		.amdhsa_system_sgpr_workgroup_id_z 0
		.amdhsa_system_sgpr_workgroup_info 0
		.amdhsa_system_vgpr_workitem_id 0
		.amdhsa_next_free_vgpr 8
		.amdhsa_next_free_sgpr 16
		.amdhsa_reserve_vcc 1
		.amdhsa_reserve_flat_scratch 0
		.amdhsa_float_round_mode_32 0
		.amdhsa_float_round_mode_16_64 0
		.amdhsa_float_denorm_mode_32 3
		.amdhsa_float_denorm_mode_16_64 3
		.amdhsa_dx10_clamp 1
		.amdhsa_ieee_mode 1
		.amdhsa_fp16_overflow 0
		.amdhsa_workgroup_processor_mode 1
		.amdhsa_memory_ordered 1
		.amdhsa_forward_progress 1
		.amdhsa_shared_vgpr_count 0
		.amdhsa_exception_fp_ieee_invalid_op 0
		.amdhsa_exception_fp_denorm_src 0
		.amdhsa_exception_fp_ieee_div_zero 0
		.amdhsa_exception_fp_ieee_overflow 0
		.amdhsa_exception_fp_ieee_underflow 0
		.amdhsa_exception_fp_ieee_inexact 0
		.amdhsa_exception_int_div_zero 0
	.end_amdhsa_kernel
	.section	.text._ZL25flash_attn_mask_to_KV_maxILi1EEvPK7__half2Piiii,"axG",@progbits,_ZL25flash_attn_mask_to_KV_maxILi1EEvPK7__half2Piiii,comdat
.Lfunc_end14:
	.size	_ZL25flash_attn_mask_to_KV_maxILi1EEvPK7__half2Piiii, .Lfunc_end14-_ZL25flash_attn_mask_to_KV_maxILi1EEvPK7__half2Piiii
                                        ; -- End function
	.set _ZL25flash_attn_mask_to_KV_maxILi1EEvPK7__half2Piiii.num_vgpr, 8
	.set _ZL25flash_attn_mask_to_KV_maxILi1EEvPK7__half2Piiii.num_agpr, 0
	.set _ZL25flash_attn_mask_to_KV_maxILi1EEvPK7__half2Piiii.numbered_sgpr, 16
	.set _ZL25flash_attn_mask_to_KV_maxILi1EEvPK7__half2Piiii.num_named_barrier, 0
	.set _ZL25flash_attn_mask_to_KV_maxILi1EEvPK7__half2Piiii.private_seg_size, 0
	.set _ZL25flash_attn_mask_to_KV_maxILi1EEvPK7__half2Piiii.uses_vcc, 1
	.set _ZL25flash_attn_mask_to_KV_maxILi1EEvPK7__half2Piiii.uses_flat_scratch, 0
	.set _ZL25flash_attn_mask_to_KV_maxILi1EEvPK7__half2Piiii.has_dyn_sized_stack, 0
	.set _ZL25flash_attn_mask_to_KV_maxILi1EEvPK7__half2Piiii.has_recursion, 0
	.set _ZL25flash_attn_mask_to_KV_maxILi1EEvPK7__half2Piiii.has_indirect_call, 0
	.section	.AMDGPU.csdata,"",@progbits
; Kernel info:
; codeLenInByte = 452
; TotalNumSgprs: 18
; NumVgprs: 8
; ScratchSize: 0
; MemoryBound: 0
; FloatMode: 240
; IeeeMode: 1
; LDSByteSize: 128 bytes/workgroup (compile time only)
; SGPRBlocks: 0
; VGPRBlocks: 0
; NumSGPRsForWavesPerEU: 18
; NumVGPRsForWavesPerEU: 8
; Occupancy: 16
; WaveLimiterHint : 0
; COMPUTE_PGM_RSRC2:SCRATCH_EN: 0
; COMPUTE_PGM_RSRC2:USER_SGPR: 6
; COMPUTE_PGM_RSRC2:TRAP_HANDLER: 0
; COMPUTE_PGM_RSRC2:TGID_X_EN: 1
; COMPUTE_PGM_RSRC2:TGID_Y_EN: 1
; COMPUTE_PGM_RSRC2:TGID_Z_EN: 0
; COMPUTE_PGM_RSRC2:TIDIG_COMP_CNT: 0
	.section	.text._ZL33flash_attn_stream_k_fixup_uniformILi64ELi1ELi8EEvPfPK15HIP_vector_typeIfLj2EEiiiiiiS1_IjLj3EES5_S5_,"axG",@progbits,_ZL33flash_attn_stream_k_fixup_uniformILi64ELi1ELi8EEvPfPK15HIP_vector_typeIfLj2EEiiiiiiS1_IjLj3EES5_S5_,comdat
	.globl	_ZL33flash_attn_stream_k_fixup_uniformILi64ELi1ELi8EEvPfPK15HIP_vector_typeIfLj2EEiiiiiiS1_IjLj3EES5_S5_ ; -- Begin function _ZL33flash_attn_stream_k_fixup_uniformILi64ELi1ELi8EEvPfPK15HIP_vector_typeIfLj2EEiiiiiiS1_IjLj3EES5_S5_
	.p2align	8
	.type	_ZL33flash_attn_stream_k_fixup_uniformILi64ELi1ELi8EEvPfPK15HIP_vector_typeIfLj2EEiiiiiiS1_IjLj3EES5_S5_,@function
_ZL33flash_attn_stream_k_fixup_uniformILi64ELi1ELi8EEvPfPK15HIP_vector_typeIfLj2EEiiiiiiS1_IjLj3EES5_S5_: ; @_ZL33flash_attn_stream_k_fixup_uniformILi64ELi1ELi8EEvPfPK15HIP_vector_typeIfLj2EEiiiiiiS1_IjLj3EES5_S5_
; %bb.0:
	s_clause 0x1
	s_load_dwordx8 s[12:19], s[4:5], 0x1c
	s_load_dwordx4 s[0:3], s[4:5], 0x3c
	s_waitcnt lgkmcnt(0)
	s_mul_hi_u32 s9, s15, s6
	s_add_i32 s9, s6, s9
	s_lshr_b32 s9, s9, s16
	s_mul_i32 s10, s9, s17
	s_sub_i32 s16, s6, s10
	s_load_dwordx2 s[10:11], s[4:5], 0x10
	s_mul_hi_u32 s15, s16, s18
	s_add_i32 s15, s16, s15
	s_lshr_b32 s15, s15, s19
	s_mul_i32 s0, s15, s0
	s_sub_i32 s0, s16, s0
	s_mul_hi_u32 s1, s0, s1
	s_add_i32 s1, s0, s1
	s_lshr_b32 s1, s1, s2
	s_mul_i32 s2, s1, s3
	s_lshl_b32 s17, s1, 3
	s_sub_i32 s16, s0, s2
	s_add_i32 s16, s16, s7
	s_waitcnt lgkmcnt(0)
	s_cmp_lt_i32 s16, s10
	s_cselect_b32 s0, -1, 0
	s_add_i32 s17, s17, s8
	s_cmp_lt_i32 s17, s13
	s_cselect_b32 s1, -1, 0
	s_and_b32 s0, s0, s1
	s_andn2_b32 vcc_lo, exec_lo, s0
	s_cbranch_vccnz .LBB15_6
; %bb.1:
	s_mul_i32 s9, s9, s10
	s_load_dwordx4 s[0:3], s[4:5], 0x0
	s_mul_i32 s15, s15, s13
	s_add_i32 s4, s16, s9
	s_add_i32 s5, s17, s15
	s_mul_i32 s4, s4, s11
	s_add_i32 s5, s5, s4
	s_mul_i32 s4, s14, s6
	v_lshl_or_b32 v1, s5, 6, v0
	s_add_i32 s10, s4, s14
	v_ashrrev_i32_e32 v2, 31, v1
	v_lshlrev_b64 v[1:2], 2, v[1:2]
	s_waitcnt lgkmcnt(0)
	v_add_co_u32 v1, vcc_lo, s0, v1
	v_add_co_ci_u32_e64 v2, null, s1, v2, vcc_lo
	s_add_i32 s0, s7, s10
	s_lshl_b32 s0, s0, 3
	global_load_dword v5, v[1:2], off
	s_add_i32 s0, s0, s8
	s_add_i32 s0, s0, -8
	s_ashr_i32 s1, s0, 31
	s_lshl_b64 s[0:1], s[0:1], 3
	s_add_u32 s0, s2, s0
	s_addc_u32 s1, s3, s1
	s_add_i32 s5, s10, -2
	s_load_dword s11, s[0:1], 0x4
	s_cmp_lt_i32 s5, s4
	s_cbranch_scc1 .LBB15_4
; %bb.2:
	s_lshl_b32 s16, s12, 5
	s_load_dword s13, s[0:1], 0x0
	s_ashr_i32 s17, s16, 31
	s_waitcnt lgkmcnt(0)
	v_mov_b32_e32 v6, s11
	s_lshl_b64 s[0:1], s[16:17], 2
	s_add_u32 s5, s2, s0
	s_addc_u32 s9, s3, s1
	s_add_i32 s6, s6, 1
	s_lshl_b32 s0, s8, 6
	s_lshl_b32 s1, s7, 9
	s_mul_i32 s6, s14, s6
	s_add_i32 s0, s0, s1
	s_lshl_b32 s1, s6, 9
	s_add_i32 s6, s10, -1
	s_add_i32 s0, s0, s1
	s_add_i32 s1, s7, s12
	v_or_b32_e32 v0, s0, v0
	s_add_i32 s1, s1, s10
	s_lshl_b32 s0, s1, 3
	v_add_nc_u32_e32 v3, 0xfffffc00, v0
	v_mov_b32_e32 v0, s13
	s_add_i32 s0, s8, s0
	s_add_i32 s0, s0, -16
.LBB15_3:                               ; =>This Inner Loop Header: Depth=1
	v_ashrrev_i32_e32 v4, 31, v3
	s_ashr_i32 s1, s0, 31
	s_lshl_b64 s[10:11], s[0:1], 3
	s_add_u32 s10, s2, s10
	v_lshlrev_b64 v[7:8], 2, v[3:4]
	s_addc_u32 s11, s3, s11
	v_add_nc_u32_e32 v3, 0xfffffe00, v3
	s_add_i32 s6, s6, -1
	s_add_i32 s0, s0, -8
	s_cmp_le_i32 s6, s4
	v_add_co_u32 v7, vcc_lo, s5, v7
	v_add_co_ci_u32_e64 v8, null, s9, v8, vcc_lo
	s_load_dwordx2 s[10:11], s[10:11], 0x0
	global_load_dword v4, v[7:8], off
	v_max_f32_e32 v7, v0, v0
	s_waitcnt lgkmcnt(0)
	v_max_f32_e64 v8, s10, s10
	v_max_f32_e32 v7, v7, v8
	v_sub_f32_e32 v8, s10, v7
	v_sub_f32_e32 v0, v0, v7
	v_mul_f32_e32 v9, 0x3fb8aa3b, v8
	v_mul_f32_e32 v12, 0x3fb8aa3b, v0
	v_cmp_ngt_f32_e32 vcc_lo, 0xc2ce8ed0, v8
	v_fma_f32 v10, 0x3fb8aa3b, v8, -v9
	v_rndne_f32_e32 v11, v9
	v_fma_f32 v13, 0x3fb8aa3b, v0, -v12
	v_rndne_f32_e32 v14, v12
	v_fmac_f32_e32 v10, 0x32a5705f, v8
	v_sub_f32_e32 v9, v9, v11
	v_fmac_f32_e32 v13, 0x32a5705f, v0
	v_cvt_i32_f32_e32 v11, v11
	v_add_f32_e32 v9, v9, v10
	v_sub_f32_e32 v10, v12, v14
	v_exp_f32_e32 v9, v9
	v_add_f32_e32 v10, v10, v13
	v_exp_f32_e32 v10, v10
	v_ldexp_f32 v9, v9, v11
	v_cvt_i32_f32_e32 v11, v14
	v_cndmask_b32_e32 v9, 0, v9, vcc_lo
	v_cmp_nlt_f32_e32 vcc_lo, 0x42b17218, v8
	v_ldexp_f32 v10, v10, v11
	v_mov_b32_e32 v11, v6
	v_cndmask_b32_e32 v9, 0x7f800000, v9, vcc_lo
	v_cmp_ngt_f32_e32 vcc_lo, 0xc2ce8ed0, v0
	v_cndmask_b32_e32 v10, 0, v10, vcc_lo
	v_cmp_le_f32_e32 vcc_lo, 0xc1a00000, v8
	v_cndmask_b32_e32 v8, 0, v9, vcc_lo
	v_cmp_nlt_f32_e32 vcc_lo, 0x42b17218, v0
	s_waitcnt vmcnt(1)
	v_mov_b32_e32 v9, v5
	v_cndmask_b32_e32 v5, 0x7f800000, v10, vcc_lo
	v_mul_f32_e32 v10, s11, v8
	v_cmp_le_f32_e32 vcc_lo, 0xc1a00000, v0
	v_mov_b32_e32 v0, v7
	v_mov_b32_e32 v6, v10
	v_cndmask_b32_e32 v12, 0, v5, vcc_lo
	v_fmac_f32_e32 v6, v11, v12
	s_waitcnt vmcnt(0)
	v_mul_f32_e32 v5, v4, v8
	v_fmac_f32_e32 v5, v9, v12
	s_cbranch_scc0 .LBB15_3
	s_branch .LBB15_5
.LBB15_4:
	s_waitcnt lgkmcnt(0)
	v_mov_b32_e32 v6, s11
.LBB15_5:
	s_waitcnt vmcnt(0)
	v_div_scale_f32 v0, null, v6, v6, v5
	v_rcp_f32_e32 v3, v0
	v_fma_f32 v4, -v0, v3, 1.0
	v_fmac_f32_e32 v3, v4, v3
	v_div_scale_f32 v4, vcc_lo, v5, v6, v5
	v_mul_f32_e32 v7, v4, v3
	v_fma_f32 v8, -v0, v7, v4
	v_fmac_f32_e32 v7, v8, v3
	v_fma_f32 v0, -v0, v7, v4
	v_div_fmas_f32 v0, v0, v3, v7
	v_div_fixup_f32 v0, v0, v6, v5
	global_store_dword v[1:2], v0, off
.LBB15_6:
	s_endpgm
	.section	.rodata,"a",@progbits
	.p2align	6, 0x0
	.amdhsa_kernel _ZL33flash_attn_stream_k_fixup_uniformILi64ELi1ELi8EEvPfPK15HIP_vector_typeIfLj2EEiiiiiiS1_IjLj3EES5_S5_
		.amdhsa_group_segment_fixed_size 0
		.amdhsa_private_segment_fixed_size 0
		.amdhsa_kernarg_size 76
		.amdhsa_user_sgpr_count 6
		.amdhsa_user_sgpr_private_segment_buffer 1
		.amdhsa_user_sgpr_dispatch_ptr 0
		.amdhsa_user_sgpr_queue_ptr 0
		.amdhsa_user_sgpr_kernarg_segment_ptr 1
		.amdhsa_user_sgpr_dispatch_id 0
		.amdhsa_user_sgpr_flat_scratch_init 0
		.amdhsa_user_sgpr_private_segment_size 0
		.amdhsa_wavefront_size32 1
		.amdhsa_uses_dynamic_stack 0
		.amdhsa_system_sgpr_private_segment_wavefront_offset 0
		.amdhsa_system_sgpr_workgroup_id_x 1
		.amdhsa_system_sgpr_workgroup_id_y 1
		.amdhsa_system_sgpr_workgroup_id_z 1
		.amdhsa_system_sgpr_workgroup_info 0
		.amdhsa_system_vgpr_workitem_id 0
		.amdhsa_next_free_vgpr 15
		.amdhsa_next_free_sgpr 20
		.amdhsa_reserve_vcc 1
		.amdhsa_reserve_flat_scratch 0
		.amdhsa_float_round_mode_32 0
		.amdhsa_float_round_mode_16_64 0
		.amdhsa_float_denorm_mode_32 3
		.amdhsa_float_denorm_mode_16_64 3
		.amdhsa_dx10_clamp 1
		.amdhsa_ieee_mode 1
		.amdhsa_fp16_overflow 0
		.amdhsa_workgroup_processor_mode 1
		.amdhsa_memory_ordered 1
		.amdhsa_forward_progress 1
		.amdhsa_shared_vgpr_count 0
		.amdhsa_exception_fp_ieee_invalid_op 0
		.amdhsa_exception_fp_denorm_src 0
		.amdhsa_exception_fp_ieee_div_zero 0
		.amdhsa_exception_fp_ieee_overflow 0
		.amdhsa_exception_fp_ieee_underflow 0
		.amdhsa_exception_fp_ieee_inexact 0
		.amdhsa_exception_int_div_zero 0
	.end_amdhsa_kernel
	.section	.text._ZL33flash_attn_stream_k_fixup_uniformILi64ELi1ELi8EEvPfPK15HIP_vector_typeIfLj2EEiiiiiiS1_IjLj3EES5_S5_,"axG",@progbits,_ZL33flash_attn_stream_k_fixup_uniformILi64ELi1ELi8EEvPfPK15HIP_vector_typeIfLj2EEiiiiiiS1_IjLj3EES5_S5_,comdat
.Lfunc_end15:
	.size	_ZL33flash_attn_stream_k_fixup_uniformILi64ELi1ELi8EEvPfPK15HIP_vector_typeIfLj2EEiiiiiiS1_IjLj3EES5_S5_, .Lfunc_end15-_ZL33flash_attn_stream_k_fixup_uniformILi64ELi1ELi8EEvPfPK15HIP_vector_typeIfLj2EEiiiiiiS1_IjLj3EES5_S5_
                                        ; -- End function
	.set _ZL33flash_attn_stream_k_fixup_uniformILi64ELi1ELi8EEvPfPK15HIP_vector_typeIfLj2EEiiiiiiS1_IjLj3EES5_S5_.num_vgpr, 15
	.set _ZL33flash_attn_stream_k_fixup_uniformILi64ELi1ELi8EEvPfPK15HIP_vector_typeIfLj2EEiiiiiiS1_IjLj3EES5_S5_.num_agpr, 0
	.set _ZL33flash_attn_stream_k_fixup_uniformILi64ELi1ELi8EEvPfPK15HIP_vector_typeIfLj2EEiiiiiiS1_IjLj3EES5_S5_.numbered_sgpr, 20
	.set _ZL33flash_attn_stream_k_fixup_uniformILi64ELi1ELi8EEvPfPK15HIP_vector_typeIfLj2EEiiiiiiS1_IjLj3EES5_S5_.num_named_barrier, 0
	.set _ZL33flash_attn_stream_k_fixup_uniformILi64ELi1ELi8EEvPfPK15HIP_vector_typeIfLj2EEiiiiiiS1_IjLj3EES5_S5_.private_seg_size, 0
	.set _ZL33flash_attn_stream_k_fixup_uniformILi64ELi1ELi8EEvPfPK15HIP_vector_typeIfLj2EEiiiiiiS1_IjLj3EES5_S5_.uses_vcc, 1
	.set _ZL33flash_attn_stream_k_fixup_uniformILi64ELi1ELi8EEvPfPK15HIP_vector_typeIfLj2EEiiiiiiS1_IjLj3EES5_S5_.uses_flat_scratch, 0
	.set _ZL33flash_attn_stream_k_fixup_uniformILi64ELi1ELi8EEvPfPK15HIP_vector_typeIfLj2EEiiiiiiS1_IjLj3EES5_S5_.has_dyn_sized_stack, 0
	.set _ZL33flash_attn_stream_k_fixup_uniformILi64ELi1ELi8EEvPfPK15HIP_vector_typeIfLj2EEiiiiiiS1_IjLj3EES5_S5_.has_recursion, 0
	.set _ZL33flash_attn_stream_k_fixup_uniformILi64ELi1ELi8EEvPfPK15HIP_vector_typeIfLj2EEiiiiiiS1_IjLj3EES5_S5_.has_indirect_call, 0
	.section	.AMDGPU.csdata,"",@progbits
; Kernel info:
; codeLenInByte = 824
; TotalNumSgprs: 22
; NumVgprs: 15
; ScratchSize: 0
; MemoryBound: 0
; FloatMode: 240
; IeeeMode: 1
; LDSByteSize: 0 bytes/workgroup (compile time only)
; SGPRBlocks: 0
; VGPRBlocks: 1
; NumSGPRsForWavesPerEU: 22
; NumVGPRsForWavesPerEU: 15
; Occupancy: 16
; WaveLimiterHint : 0
; COMPUTE_PGM_RSRC2:SCRATCH_EN: 0
; COMPUTE_PGM_RSRC2:USER_SGPR: 6
; COMPUTE_PGM_RSRC2:TRAP_HANDLER: 0
; COMPUTE_PGM_RSRC2:TGID_X_EN: 1
; COMPUTE_PGM_RSRC2:TGID_Y_EN: 1
; COMPUTE_PGM_RSRC2:TGID_Z_EN: 1
; COMPUTE_PGM_RSRC2:TIDIG_COMP_CNT: 0
	.section	.text._ZL33flash_attn_stream_k_fixup_generalILi64ELi1ELi8EEvPfPK15HIP_vector_typeIfLj2EEiiiiS1_IjLj3EES5_S5_S5_,"axG",@progbits,_ZL33flash_attn_stream_k_fixup_generalILi64ELi1ELi8EEvPfPK15HIP_vector_typeIfLj2EEiiiiS1_IjLj3EES5_S5_S5_,comdat
	.globl	_ZL33flash_attn_stream_k_fixup_generalILi64ELi1ELi8EEvPfPK15HIP_vector_typeIfLj2EEiiiiS1_IjLj3EES5_S5_S5_ ; -- Begin function _ZL33flash_attn_stream_k_fixup_generalILi64ELi1ELi8EEvPfPK15HIP_vector_typeIfLj2EEiiiiS1_IjLj3EES5_S5_S5_
	.p2align	8
	.type	_ZL33flash_attn_stream_k_fixup_generalILi64ELi1ELi8EEvPfPK15HIP_vector_typeIfLj2EEiiiiS1_IjLj3EES5_S5_S5_,@function
_ZL33flash_attn_stream_k_fixup_generalILi64ELi1ELi8EEvPfPK15HIP_vector_typeIfLj2EEiiiiS1_IjLj3EES5_S5_S5_: ; @_ZL33flash_attn_stream_k_fixup_generalILi64ELi1ELi8EEvPfPK15HIP_vector_typeIfLj2EEiiiiS1_IjLj3EES5_S5_S5_
; %bb.0:
	s_clause 0x1
	s_load_dwordx4 s[0:3], s[4:5], 0x10
	s_load_dword s9, s[4:5], 0x50
	s_mov_b32 s16, 0
	s_waitcnt lgkmcnt(0)
	s_mul_hi_i32 s17, s3, s6
	s_mul_i32 s18, s3, s6
	s_cmp_lg_u64 s[16:17], 0
	s_cbranch_scc0 .LBB16_21
; %bb.1:
	s_add_u32 s10, s9, 0
	s_addc_u32 s11, 0, 0
	s_xor_b64 s[10:11], s[10:11], 0
	v_cvt_f32_u32_e32 v1, s10
	v_cvt_f32_u32_e32 v2, s11
	s_sub_u32 s14, 0, s10
	s_subb_u32 s15, 0, s11
	v_fmamk_f32 v1, v2, 0x4f800000, v1
	v_rcp_f32_e32 v1, v1
	v_mul_f32_e32 v1, 0x5f7ffffc, v1
	v_mul_f32_e32 v2, 0x2f800000, v1
	v_trunc_f32_e32 v2, v2
	v_fmamk_f32 v1, v2, 0xcf800000, v1
	v_cvt_u32_f32_e32 v2, v2
	v_cvt_u32_f32_e32 v1, v1
	v_readfirstlane_b32 s12, v2
	v_readfirstlane_b32 s13, v1
	s_mul_i32 s19, s14, s12
	s_mul_hi_u32 s21, s14, s13
	s_mul_i32 s20, s15, s13
	s_add_i32 s19, s21, s19
	s_mul_i32 s22, s14, s13
	s_add_i32 s19, s19, s20
	s_mul_hi_u32 s21, s13, s22
	s_mul_i32 s24, s13, s19
	s_mul_hi_u32 s23, s12, s22
	s_mul_i32 s20, s12, s22
	s_mul_hi_u32 s22, s13, s19
	s_add_u32 s21, s21, s24
	s_addc_u32 s22, 0, s22
	s_mul_hi_u32 s25, s12, s19
	s_add_u32 s20, s21, s20
	s_mul_i32 s19, s12, s19
	s_addc_u32 s20, s22, s23
	s_addc_u32 s21, s25, 0
	s_add_u32 s19, s20, s19
	s_addc_u32 s20, 0, s21
	s_add_u32 s13, s13, s19
	s_cselect_b32 s19, -1, 0
	s_mul_hi_u32 s21, s14, s13
	s_cmp_lg_u32 s19, 0
	s_mul_i32 s19, s14, s13
	s_addc_u32 s12, s12, s20
	s_mul_i32 s15, s15, s13
	s_mul_i32 s14, s14, s12
	s_mul_hi_u32 s20, s13, s19
	s_add_i32 s14, s21, s14
	s_mul_hi_u32 s21, s12, s19
	s_add_i32 s14, s14, s15
	s_mul_i32 s15, s12, s19
	s_mul_i32 s23, s13, s14
	s_mul_hi_u32 s22, s13, s14
	s_add_u32 s20, s20, s23
	s_addc_u32 s22, 0, s22
	s_mul_hi_u32 s19, s12, s14
	s_add_u32 s15, s20, s15
	s_mul_i32 s14, s12, s14
	s_addc_u32 s15, s22, s21
	s_addc_u32 s19, s19, 0
	s_add_u32 s14, s15, s14
	s_addc_u32 s15, 0, s19
	s_add_u32 s19, s13, s14
	s_cselect_b32 s13, -1, 0
	s_cmp_lg_u32 s13, 0
	s_addc_u32 s20, s12, s15
	s_ashr_i32 s12, s17, 31
	s_add_u32 s14, s18, s12
	s_mov_b32 s13, s12
	s_addc_u32 s15, s17, s12
	s_xor_b64 s[14:15], s[14:15], s[12:13]
	s_mul_i32 s21, s14, s20
	s_mul_hi_u32 s22, s14, s19
	s_mul_hi_u32 s17, s14, s20
	s_mul_hi_u32 s24, s15, s19
	s_mul_i32 s19, s15, s19
	s_add_u32 s21, s22, s21
	s_addc_u32 s17, 0, s17
	s_mul_hi_u32 s23, s15, s20
	s_add_u32 s19, s21, s19
	s_mul_i32 s20, s15, s20
	s_addc_u32 s17, s17, s24
	s_addc_u32 s19, s23, 0
	s_add_u32 s17, s17, s20
	s_addc_u32 s19, 0, s19
	s_mul_hi_u32 s20, s10, s17
	s_mul_i32 s21, s10, s19
	s_mul_i32 s22, s11, s17
	s_add_i32 s20, s20, s21
	s_mul_i32 s21, s10, s17
	s_add_i32 s20, s20, s22
	s_sub_i32 s22, s15, s20
	s_sub_u32 s14, s14, s21
	s_cselect_b32 s21, -1, 0
	s_cmp_lg_u32 s21, 0
	s_subb_u32 s22, s22, s11
	s_sub_u32 s23, s14, s10
	s_cselect_b32 s24, -1, 0
	s_cmp_lg_u32 s24, 0
	s_subb_u32 s22, s22, 0
	s_cmp_ge_u32 s22, s11
	s_cselect_b32 s24, -1, 0
	s_cmp_ge_u32 s23, s10
	s_cselect_b32 s23, -1, 0
	s_cmp_eq_u32 s22, s11
	s_cselect_b32 s22, s23, s24
	s_add_u32 s23, s17, 1
	s_addc_u32 s24, s19, 0
	s_add_u32 s25, s17, 2
	s_addc_u32 s26, s19, 0
	s_cmp_lg_u32 s22, 0
	s_cselect_b32 s22, s25, s23
	s_cselect_b32 s23, s26, s24
	s_cmp_lg_u32 s21, 0
	s_subb_u32 s15, s15, s20
	s_cmp_ge_u32 s15, s11
	s_cselect_b32 s20, -1, 0
	s_cmp_ge_u32 s14, s10
	s_cselect_b32 s10, -1, 0
	s_cmp_eq_u32 s15, s11
	s_cselect_b32 s10, s10, s20
	s_cmp_lg_u32 s10, 0
	s_cselect_b32 s11, s23, s19
	s_cselect_b32 s10, s22, s17
	s_xor_b64 s[12:13], s[12:13], 0
	s_xor_b64 s[10:11], s[10:11], s[12:13]
	s_sub_u32 s10, s10, s12
	s_load_dwordx4 s[12:15], s[4:5], 0x44
	s_andn2_b32 vcc_lo, exec_lo, s16
	s_cbranch_vccnz .LBB16_3
.LBB16_2:
	v_cvt_f32_u32_e32 v1, s9
	s_sub_i32 s11, 0, s9
	v_rcp_iflag_f32_e32 v1, v1
	v_mul_f32_e32 v1, 0x4f7ffffe, v1
	v_cvt_u32_f32_e32 v1, v1
	v_readfirstlane_b32 s10, v1
	s_mul_i32 s11, s11, s10
	s_mul_hi_u32 s11, s10, s11
	s_add_i32 s10, s10, s11
	s_mul_hi_u32 s10, s18, s10
	s_mul_i32 s11, s10, s9
	s_waitcnt lgkmcnt(0)
	s_add_i32 s15, s10, 1
	s_sub_i32 s11, s18, s11
	s_sub_i32 s16, s11, s9
	s_cmp_ge_u32 s11, s9
	s_cselect_b32 s10, s15, s10
	s_cselect_b32 s11, s16, s11
	s_add_i32 s15, s10, 1
	s_cmp_ge_u32 s11, s9
	s_cselect_b32 s10, s15, s10
.LBB16_3:
	s_add_i32 s11, s6, 1
	s_mov_b32 s16, 0
	s_mul_hi_i32 s17, s3, s11
	s_mul_i32 s11, s3, s11
	s_cmp_lg_u64 s[16:17], 0
	s_cbranch_scc0 .LBB16_22
; %bb.4:
	s_add_u32 s18, s9, 0
	s_addc_u32 s19, 0, 0
	s_xor_b64 s[18:19], s[18:19], 0
	v_cvt_f32_u32_e32 v1, s18
	v_cvt_f32_u32_e32 v2, s19
	s_sub_u32 s21, 0, s18
	s_subb_u32 s22, 0, s19
	v_fmamk_f32 v1, v2, 0x4f800000, v1
	v_rcp_f32_e32 v1, v1
	v_mul_f32_e32 v1, 0x5f7ffffc, v1
	v_mul_f32_e32 v2, 0x2f800000, v1
	v_trunc_f32_e32 v2, v2
	v_fmamk_f32 v1, v2, 0xcf800000, v1
	v_cvt_u32_f32_e32 v2, v2
	v_cvt_u32_f32_e32 v1, v1
	s_waitcnt lgkmcnt(0)
	v_readfirstlane_b32 s15, v2
	v_readfirstlane_b32 s20, v1
	s_mul_i32 s23, s21, s15
	s_mul_hi_u32 s25, s21, s20
	s_mul_i32 s24, s22, s20
	s_add_i32 s23, s25, s23
	s_mul_i32 s26, s21, s20
	s_add_i32 s23, s23, s24
	s_mul_hi_u32 s25, s20, s26
	s_mul_i32 s28, s20, s23
	s_mul_hi_u32 s27, s15, s26
	s_mul_i32 s24, s15, s26
	s_mul_hi_u32 s26, s20, s23
	s_add_u32 s25, s25, s28
	s_addc_u32 s26, 0, s26
	s_mul_hi_u32 s29, s15, s23
	s_add_u32 s24, s25, s24
	s_mul_i32 s23, s15, s23
	s_addc_u32 s24, s26, s27
	s_addc_u32 s25, s29, 0
	s_add_u32 s23, s24, s23
	s_addc_u32 s24, 0, s25
	s_add_u32 s20, s20, s23
	s_cselect_b32 s23, -1, 0
	s_mul_hi_u32 s25, s21, s20
	s_cmp_lg_u32 s23, 0
	s_mul_i32 s23, s21, s20
	s_addc_u32 s15, s15, s24
	s_mul_i32 s22, s22, s20
	s_mul_i32 s21, s21, s15
	s_mul_hi_u32 s24, s20, s23
	s_add_i32 s21, s25, s21
	s_mul_hi_u32 s25, s15, s23
	s_add_i32 s21, s21, s22
	s_mul_i32 s22, s15, s23
	s_mul_i32 s27, s20, s21
	s_mul_hi_u32 s26, s20, s21
	s_add_u32 s24, s24, s27
	s_addc_u32 s26, 0, s26
	s_mul_hi_u32 s23, s15, s21
	s_add_u32 s22, s24, s22
	s_mul_i32 s21, s15, s21
	s_addc_u32 s22, s26, s25
	s_addc_u32 s23, s23, 0
	s_add_u32 s21, s22, s21
	s_addc_u32 s22, 0, s23
	s_add_u32 s24, s20, s21
	s_cselect_b32 s20, -1, 0
	s_cmp_lg_u32 s20, 0
	s_addc_u32 s15, s15, s22
	s_ashr_i32 s20, s17, 31
	s_add_u32 s22, s11, s20
	s_mov_b32 s21, s20
	s_addc_u32 s23, s17, s20
	s_xor_b64 s[22:23], s[22:23], s[20:21]
	s_mul_i32 s25, s22, s15
	s_mul_hi_u32 s26, s22, s24
	s_mul_hi_u32 s17, s22, s15
	;; [unrolled: 1-line block ×3, first 2 shown]
	s_mul_i32 s24, s23, s24
	s_add_u32 s25, s26, s25
	s_addc_u32 s17, 0, s17
	s_mul_hi_u32 s27, s23, s15
	s_add_u32 s24, s25, s24
	s_mul_i32 s15, s23, s15
	s_addc_u32 s17, s17, s28
	s_addc_u32 s24, s27, 0
	s_add_u32 s15, s17, s15
	s_addc_u32 s17, 0, s24
	s_mul_hi_u32 s24, s18, s15
	s_mul_i32 s25, s18, s17
	s_mul_i32 s26, s19, s15
	s_add_i32 s24, s24, s25
	s_mul_i32 s25, s18, s15
	s_add_i32 s24, s24, s26
	s_sub_i32 s26, s23, s24
	s_sub_u32 s22, s22, s25
	s_cselect_b32 s25, -1, 0
	s_cmp_lg_u32 s25, 0
	s_subb_u32 s26, s26, s19
	s_sub_u32 s27, s22, s18
	s_cselect_b32 s28, -1, 0
	s_cmp_lg_u32 s28, 0
	s_subb_u32 s26, s26, 0
	s_cmp_ge_u32 s26, s19
	s_cselect_b32 s28, -1, 0
	s_cmp_ge_u32 s27, s18
	s_cselect_b32 s27, -1, 0
	s_cmp_eq_u32 s26, s19
	s_cselect_b32 s26, s27, s28
	s_add_u32 s27, s15, 1
	s_addc_u32 s28, s17, 0
	s_add_u32 s29, s15, 2
	s_addc_u32 s30, s17, 0
	s_cmp_lg_u32 s26, 0
	s_cselect_b32 s26, s29, s27
	s_cselect_b32 s27, s30, s28
	s_cmp_lg_u32 s25, 0
	s_subb_u32 s23, s23, s24
	s_cmp_ge_u32 s23, s19
	s_cselect_b32 s24, -1, 0
	s_cmp_ge_u32 s22, s18
	s_cselect_b32 s18, -1, 0
	s_cmp_eq_u32 s23, s19
	s_cselect_b32 s18, s18, s24
	s_cmp_lg_u32 s18, 0
	s_cselect_b32 s19, s27, s17
	s_cselect_b32 s18, s26, s15
	s_xor_b64 s[20:21], s[20:21], 0
	s_xor_b64 s[18:19], s[18:19], s[20:21]
	s_sub_u32 s18, s18, s20
	s_andn2_b32 vcc_lo, exec_lo, s16
	s_cbranch_vccnz .LBB16_6
.LBB16_5:
	v_cvt_f32_u32_e32 v1, s9
	s_sub_i32 s16, 0, s9
	v_rcp_iflag_f32_e32 v1, v1
	v_mul_f32_e32 v1, 0x4f7ffffe, v1
	v_cvt_u32_f32_e32 v1, v1
	s_waitcnt lgkmcnt(0)
	v_readfirstlane_b32 s15, v1
	s_mul_i32 s16, s16, s15
	s_mul_hi_u32 s16, s15, s16
	s_add_i32 s15, s15, s16
	s_mul_hi_u32 s15, s11, s15
	s_mul_i32 s16, s15, s9
	s_sub_i32 s11, s11, s16
	s_add_i32 s16, s15, 1
	s_sub_i32 s17, s11, s9
	s_cmp_ge_u32 s11, s9
	s_cselect_b32 s15, s16, s15
	s_cselect_b32 s11, s17, s11
	s_add_i32 s16, s15, 1
	s_cmp_ge_u32 s11, s9
	s_cselect_b32 s18, s16, s15
.LBB16_6:
	s_cmp_eq_u32 s10, s18
	s_waitcnt lgkmcnt(0)
	s_mul_hi_u32 s11, s10, s12
	s_cselect_b32 s15, -1, 0
	s_add_i32 s11, s11, s10
	s_lshr_b32 s11, s11, s13
	s_mul_i32 s16, s11, s14
	s_cmp_eq_u32 s16, s10
	s_mul_hi_u32 s16, s18, s12
	s_cselect_b32 s17, -1, 0
	s_add_i32 s16, s16, s18
	s_lshr_b32 s16, s16, s13
	s_cmp_eq_u32 s11, s16
	s_mul_i32 s16, s16, s14
	s_cselect_b32 s19, -1, 0
	s_cmp_lg_u32 s16, s18
	s_cselect_b32 s16, -1, 0
	s_or_b32 s15, s15, s17
	s_and_b32 s16, s19, s16
	s_or_b32 s15, s15, s16
	s_and_b32 vcc_lo, exec_lo, s15
	s_cbranch_vccnz .LBB16_24
; %bb.7:
	s_load_dwordx8 s[16:23], s[4:5], 0x20
	s_waitcnt lgkmcnt(0)
	s_mul_hi_u32 s15, s10, s16
	s_load_dword s16, s[4:5], 0x40
	s_add_i32 s15, s15, s10
	s_lshr_b32 s15, s15, s17
	s_mul_i32 s17, s15, s18
	s_sub_i32 s17, s10, s17
	s_mul_hi_u32 s18, s17, s19
	s_add_i32 s18, s17, s18
	s_lshr_b32 s20, s18, s20
	s_mul_i32 s18, s20, s21
	s_sub_i32 s17, s17, s18
	s_mul_hi_u32 s18, s17, s22
	s_add_i32 s18, s17, s18
	s_lshr_b32 s18, s18, s23
	s_waitcnt lgkmcnt(0)
	s_mul_i32 s16, s18, s16
	s_lshl_b32 s22, s18, 3
	s_sub_i32 s16, s17, s16
	s_mul_hi_u32 s17, s16, s12
	s_add_i32 s16, s16, s17
	s_lshr_b32 s21, s16, s13
	s_add_i32 s21, s21, s7
	s_cmp_lt_i32 s21, s0
	s_cselect_b32 s16, -1, 0
	s_add_i32 s22, s22, s8
	s_cmp_lt_i32 s22, s2
	s_cselect_b32 s17, -1, 0
	s_and_b32 s16, s16, s17
	s_andn2_b32 vcc_lo, exec_lo, s16
	s_cbranch_vccnz .LBB16_24
; %bb.8:
	s_load_dwordx4 s[16:19], s[4:5], 0x0
	s_mov_b32 s4, 0
	s_lshl_b32 s24, s9, 5
	s_mov_b32 s25, s4
	s_mul_i32 s0, s15, s0
	s_lshl_b64 s[24:25], s[24:25], 2
	s_mul_i32 s20, s20, s2
	v_cvt_f32_u32_e32 v4, s9
	v_rcp_iflag_f32_e32 v4, v4
	s_waitcnt lgkmcnt(0)
	s_add_u32 s2, s18, s24
	s_addc_u32 s15, s19, s25
	s_add_i32 s0, s21, s0
	s_add_i32 s5, s22, s20
	s_mul_i32 s0, s0, s1
	v_mul_f32_e32 v4, 0x4f7ffffe, v4
	s_add_i32 s5, s5, s0
	s_add_i32 s0, s7, s6
	v_lshl_or_b32 v1, s5, 6, v0
	s_lshl_b32 s0, s0, 3
	v_lshl_or_b32 v0, s8, 6, v0
	s_add_i32 s0, s0, s8
	v_cvt_u32_f32_e32 v4, v4
	v_ashrrev_i32_e32 v2, 31, v1
	s_ashr_i32 s1, s0, 31
	s_lshl_b64 s[0:1], s[0:1], 3
	v_lshlrev_b64 v[1:2], 2, v[1:2]
	s_add_u32 s0, s18, s0
	s_addc_u32 s1, s19, s1
	s_add_i32 s20, s6, -1
	s_load_dwordx2 s[0:1], s[0:1], 0x0
	s_sub_i32 s6, 0, s9
	v_add_co_u32 v1, vcc_lo, s16, v1
	v_add_co_ci_u32_e64 v2, null, s17, v2, vcc_lo
	global_load_dword v3, v[1:2], off
	s_waitcnt lgkmcnt(0)
	v_mov_b32_e32 v5, s1
	v_mov_b32_e32 v6, s0
.LBB16_9:                               ; =>This Inner Loop Header: Depth=1
	s_mul_hi_i32 s5, s20, s3
	s_mul_i32 s16, s20, s3
	s_cmp_lg_u64 s[4:5], 0
	s_mov_b32 s17, -1
                                        ; implicit-def: $sgpr0_sgpr1
	s_cbranch_scc0 .LBB16_11
; %bb.10:                               ;   in Loop: Header=BB16_9 Depth=1
	s_add_u32 s0, s9, 0
	s_addc_u32 s1, 0, 0
	s_xor_b64 s[0:1], s[0:1], 0
	v_cvt_f32_u32_e32 v7, s0
	v_cvt_f32_u32_e32 v8, s1
	s_sub_u32 s22, 0, s0
	s_subb_u32 s23, 0, s1
	v_fmac_f32_e32 v7, 0x4f800000, v8
	v_rcp_f32_e32 v7, v7
	v_mul_f32_e32 v7, 0x5f7ffffc, v7
	v_mul_f32_e32 v8, 0x2f800000, v7
	v_trunc_f32_e32 v8, v8
	v_fmac_f32_e32 v7, 0xcf800000, v8
	v_cvt_u32_f32_e32 v8, v8
	v_cvt_u32_f32_e32 v7, v7
	v_readfirstlane_b32 s17, v8
	v_readfirstlane_b32 s21, v7
	s_mul_i32 s24, s22, s17
	s_mul_hi_u32 s26, s22, s21
	s_mul_i32 s25, s23, s21
	s_add_i32 s24, s26, s24
	s_mul_i32 s27, s22, s21
	s_add_i32 s24, s24, s25
	s_mul_hi_u32 s26, s21, s27
	s_mul_i32 s29, s21, s24
	s_mul_hi_u32 s28, s17, s27
	s_mul_i32 s25, s17, s27
	s_mul_hi_u32 s27, s21, s24
	s_add_u32 s26, s26, s29
	s_addc_u32 s27, 0, s27
	s_mul_hi_u32 s30, s17, s24
	s_add_u32 s25, s26, s25
	s_mul_i32 s24, s17, s24
	s_addc_u32 s25, s27, s28
	s_addc_u32 s26, s30, 0
	s_add_u32 s24, s25, s24
	s_addc_u32 s25, 0, s26
	s_add_u32 s21, s21, s24
	s_cselect_b32 s24, -1, 0
	s_mul_hi_u32 s26, s22, s21
	s_cmp_lg_u32 s24, 0
	s_mul_i32 s24, s22, s21
	s_addc_u32 s17, s17, s25
	s_mul_i32 s23, s23, s21
	s_mul_i32 s22, s22, s17
	s_mul_hi_u32 s25, s21, s24
	s_add_i32 s22, s26, s22
	s_mul_hi_u32 s26, s17, s24
	s_add_i32 s22, s22, s23
	s_mul_i32 s23, s17, s24
	s_mul_i32 s28, s21, s22
	s_mul_hi_u32 s27, s21, s22
	s_add_u32 s25, s25, s28
	s_addc_u32 s27, 0, s27
	s_mul_hi_u32 s24, s17, s22
	s_add_u32 s23, s25, s23
	s_mul_i32 s22, s17, s22
	s_addc_u32 s23, s27, s26
	s_addc_u32 s24, s24, 0
	s_add_u32 s22, s23, s22
	s_addc_u32 s23, 0, s24
	s_add_u32 s21, s21, s22
	s_cselect_b32 s22, -1, 0
	s_cmp_lg_u32 s22, 0
	s_addc_u32 s17, s17, s23
	s_ashr_i32 s22, s5, 31
	s_add_u32 s24, s16, s22
	s_mov_b32 s23, s22
	s_addc_u32 s25, s5, s22
	s_xor_b64 s[24:25], s[24:25], s[22:23]
	s_mul_i32 s26, s24, s17
	s_mul_hi_u32 s27, s24, s21
	s_mul_hi_u32 s5, s24, s17
	;; [unrolled: 1-line block ×3, first 2 shown]
	s_mul_i32 s21, s25, s21
	s_add_u32 s26, s27, s26
	s_addc_u32 s5, 0, s5
	s_mul_hi_u32 s28, s25, s17
	s_add_u32 s21, s26, s21
	s_mul_i32 s17, s25, s17
	s_addc_u32 s5, s5, s29
	s_addc_u32 s21, s28, 0
	s_add_u32 s5, s5, s17
	s_addc_u32 s17, 0, s21
	s_mul_hi_u32 s21, s0, s5
	s_mul_i32 s26, s0, s17
	s_mul_i32 s27, s1, s5
	s_add_i32 s21, s21, s26
	s_mul_i32 s26, s0, s5
	s_add_i32 s21, s21, s27
	s_sub_i32 s27, s25, s21
	s_sub_u32 s24, s24, s26
	s_cselect_b32 s26, -1, 0
	s_cmp_lg_u32 s26, 0
	s_subb_u32 s27, s27, s1
	s_sub_u32 s28, s24, s0
	s_cselect_b32 s29, -1, 0
	s_cmp_lg_u32 s29, 0
	s_subb_u32 s27, s27, 0
	s_cmp_ge_u32 s27, s1
	s_cselect_b32 s29, -1, 0
	s_cmp_ge_u32 s28, s0
	s_cselect_b32 s28, -1, 0
	s_cmp_eq_u32 s27, s1
	s_cselect_b32 s27, s28, s29
	s_add_u32 s28, s5, 1
	s_addc_u32 s29, s17, 0
	s_add_u32 s30, s5, 2
	s_addc_u32 s31, s17, 0
	s_cmp_lg_u32 s27, 0
	s_cselect_b32 s27, s30, s28
	s_cselect_b32 s28, s31, s29
	s_cmp_lg_u32 s26, 0
	s_subb_u32 s21, s25, s21
	s_cmp_ge_u32 s21, s1
	s_cselect_b32 s25, -1, 0
	s_cmp_ge_u32 s24, s0
	s_cselect_b32 s0, -1, 0
	s_cmp_eq_u32 s21, s1
	s_cselect_b32 s0, s0, s25
	s_cmp_lg_u32 s0, 0
	s_cselect_b32 s1, s28, s17
	s_cselect_b32 s0, s27, s5
	s_xor_b64 s[22:23], s[22:23], 0
	s_mov_b32 s17, 0
	s_xor_b64 s[0:1], s[0:1], s[22:23]
	s_sub_u32 s0, s0, s22
.LBB16_11:                              ;   in Loop: Header=BB16_9 Depth=1
	s_andn2_b32 vcc_lo, exec_lo, s17
	s_cbranch_vccnz .LBB16_13
; %bb.12:                               ;   in Loop: Header=BB16_9 Depth=1
	v_readfirstlane_b32 s0, v4
	s_mul_i32 s1, s6, s0
	s_mul_hi_u32 s1, s0, s1
	s_add_i32 s0, s0, s1
	s_mul_hi_u32 s0, s16, s0
	s_mul_i32 s1, s0, s9
	s_add_i32 s5, s0, 1
	s_sub_i32 s1, s16, s1
	s_sub_i32 s16, s1, s9
	s_cmp_ge_u32 s1, s9
	s_cselect_b32 s0, s5, s0
	s_cselect_b32 s1, s16, s1
	s_add_i32 s5, s0, 1
	s_cmp_ge_u32 s1, s9
	s_cselect_b32 s0, s5, s0
.LBB16_13:                              ;   in Loop: Header=BB16_9 Depth=1
	s_cmp_lg_u32 s10, s0
	s_mov_b32 s16, -1
                                        ; implicit-def: $sgpr5
                                        ; implicit-def: $vgpr8
                                        ; implicit-def: $vgpr7
                                        ; implicit-def: $vgpr9
                                        ; implicit-def: $sgpr1
                                        ; implicit-def: $sgpr21
	s_cbranch_scc0 .LBB16_18
; %bb.14:                               ;   in Loop: Header=BB16_9 Depth=1
	s_add_i32 s22, s20, s7
	s_mov_b32 s17, s4
	s_add_i32 s1, s22, s9
	s_mov_b32 s21, s10
	s_lshl_b32 s1, s1, 3
	s_add_i32 s16, s1, s8
	s_mul_hi_u32 s1, s0, s12
	s_lshl_b64 s[16:17], s[16:17], 3
	s_add_u32 s16, s18, s16
	s_addc_u32 s17, s19, s17
	s_add_i32 s1, s1, s0
	s_lshr_b32 s1, s1, s13
	s_mul_i32 s5, s1, s14
	s_cmp_eq_u32 s5, s0
	s_cselect_b32 s5, -1, 0
	s_cmp_lt_u32 s1, s11
	s_cselect_b32 s1, -1, 0
	s_or_b32 s1, s1, s5
	s_mov_b32 s5, -1
	s_and_b32 vcc_lo, exec_lo, s1
	s_mov_b32 s1, s20
	s_cbranch_vccnz .LBB16_16
; %bb.15:                               ;   in Loop: Header=BB16_9 Depth=1
	s_add_i32 s1, s20, -1
	s_mov_b32 s5, 0
	s_mov_b32 s21, s0
.LBB16_16:                              ;   in Loop: Header=BB16_9 Depth=1
	v_lshl_add_u32 v7, s22, 9, v0
	s_load_dwordx2 s[16:17], s[16:17], 0x0
	v_ashrrev_i32_e32 v8, 31, v7
	v_lshlrev_b64 v[7:8], 2, v[7:8]
	v_add_co_u32 v7, vcc_lo, s2, v7
	v_add_co_ci_u32_e64 v8, null, s15, v8, vcc_lo
	s_waitcnt lgkmcnt(0)
	v_max_f32_e64 v9, s16, s16
	global_load_dword v8, v[7:8], off
	v_max_f32_e32 v7, v6, v6
	v_max_f32_e32 v7, v7, v9
	v_sub_f32_e32 v9, s16, v7
	v_sub_f32_e32 v10, v6, v7
	v_mul_f32_e32 v11, 0x3fb8aa3b, v9
	v_mul_f32_e32 v12, 0x3fb8aa3b, v10
	v_cmp_ngt_f32_e32 vcc_lo, 0xc2ce8ed0, v9
	v_fma_f32 v13, 0x3fb8aa3b, v9, -v11
	v_rndne_f32_e32 v14, v11
	v_fma_f32 v15, 0x3fb8aa3b, v10, -v12
	v_rndne_f32_e32 v16, v12
	v_fmac_f32_e32 v13, 0x32a5705f, v9
	v_sub_f32_e32 v11, v11, v14
	v_fmac_f32_e32 v15, 0x32a5705f, v10
	v_sub_f32_e32 v12, v12, v16
	v_add_f32_e32 v11, v11, v13
	v_cvt_i32_f32_e32 v13, v14
	v_add_f32_e32 v12, v12, v15
	v_cvt_i32_f32_e32 v14, v16
	v_exp_f32_e32 v11, v11
	v_exp_f32_e32 v12, v12
	v_ldexp_f32 v11, v11, v13
	v_ldexp_f32 v12, v12, v14
	v_cndmask_b32_e32 v11, 0, v11, vcc_lo
	v_cmp_ngt_f32_e32 vcc_lo, 0xc2ce8ed0, v10
	v_cndmask_b32_e32 v12, 0, v12, vcc_lo
	v_cmp_nlt_f32_e32 vcc_lo, 0x42b17218, v9
	v_cndmask_b32_e32 v11, 0x7f800000, v11, vcc_lo
	v_cmp_nlt_f32_e32 vcc_lo, 0x42b17218, v10
	v_cndmask_b32_e32 v12, 0x7f800000, v12, vcc_lo
	v_cmp_le_f32_e32 vcc_lo, 0xc1a00000, v9
	v_cndmask_b32_e32 v9, 0, v11, vcc_lo
	v_cmp_le_f32_e32 vcc_lo, 0xc1a00000, v10
	v_cndmask_b32_e32 v10, 0, v12, vcc_lo
	s_waitcnt vmcnt(0)
	v_mul_f32_e32 v8, v8, v9
	v_mul_f32_e32 v9, s17, v9
	v_fmac_f32_e32 v8, v3, v10
	v_fmac_f32_e32 v9, v5, v10
	s_cbranch_execz .LBB16_19
.LBB16_17:                              ;   in Loop: Header=BB16_9 Depth=1
	s_andn2_b32 vcc_lo, exec_lo, s5
	s_cbranch_vccnz .LBB16_20
	s_branch .LBB16_23
.LBB16_18:                              ;   in Loop: Header=BB16_9 Depth=1
	s_andn2_b32 vcc_lo, exec_lo, s16
	s_cbranch_vccnz .LBB16_17
.LBB16_19:                              ;   in Loop: Header=BB16_9 Depth=1
	v_mov_b32_e32 v9, v5
	v_mov_b32_e32 v7, v6
	s_waitcnt vmcnt(0)
	v_mov_b32_e32 v8, v3
	s_add_i32 s1, s20, -1
	s_mov_b32 s21, s10
	s_cbranch_execz .LBB16_23
.LBB16_20:                              ;   in Loop: Header=BB16_9 Depth=1
	v_mov_b32_e32 v5, v9
	v_mov_b32_e32 v6, v7
	s_waitcnt vmcnt(0)
	v_mov_b32_e32 v3, v8
	s_mov_b32 s10, s21
	s_mov_b32 s20, s1
	s_branch .LBB16_9
.LBB16_21:
                                        ; implicit-def: $sgpr10_sgpr11
	s_load_dwordx4 s[12:15], s[4:5], 0x44
	s_branch .LBB16_2
.LBB16_22:
                                        ; implicit-def: $sgpr18_sgpr19
	s_branch .LBB16_5
.LBB16_23:
	v_div_scale_f32 v0, null, v9, v9, v8
	s_waitcnt vmcnt(0)
	v_rcp_f32_e32 v3, v0
	v_fma_f32 v4, -v0, v3, 1.0
	v_fmac_f32_e32 v3, v4, v3
	v_div_scale_f32 v4, vcc_lo, v8, v9, v8
	v_mul_f32_e32 v5, v4, v3
	v_fma_f32 v6, -v0, v5, v4
	v_fmac_f32_e32 v5, v6, v3
	v_fma_f32 v0, -v0, v5, v4
	v_div_fmas_f32 v0, v0, v3, v5
	v_div_fixup_f32 v0, v0, v9, v8
	global_store_dword v[1:2], v0, off
.LBB16_24:
	s_endpgm
	.section	.rodata,"a",@progbits
	.p2align	6, 0x0
	.amdhsa_kernel _ZL33flash_attn_stream_k_fixup_generalILi64ELi1ELi8EEvPfPK15HIP_vector_typeIfLj2EEiiiiS1_IjLj3EES5_S5_S5_
		.amdhsa_group_segment_fixed_size 0
		.amdhsa_private_segment_fixed_size 0
		.amdhsa_kernarg_size 336
		.amdhsa_user_sgpr_count 6
		.amdhsa_user_sgpr_private_segment_buffer 1
		.amdhsa_user_sgpr_dispatch_ptr 0
		.amdhsa_user_sgpr_queue_ptr 0
		.amdhsa_user_sgpr_kernarg_segment_ptr 1
		.amdhsa_user_sgpr_dispatch_id 0
		.amdhsa_user_sgpr_flat_scratch_init 0
		.amdhsa_user_sgpr_private_segment_size 0
		.amdhsa_wavefront_size32 1
		.amdhsa_uses_dynamic_stack 0
		.amdhsa_system_sgpr_private_segment_wavefront_offset 0
		.amdhsa_system_sgpr_workgroup_id_x 1
		.amdhsa_system_sgpr_workgroup_id_y 1
		.amdhsa_system_sgpr_workgroup_id_z 1
		.amdhsa_system_sgpr_workgroup_info 0
		.amdhsa_system_vgpr_workitem_id 0
		.amdhsa_next_free_vgpr 17
		.amdhsa_next_free_sgpr 32
		.amdhsa_reserve_vcc 1
		.amdhsa_reserve_flat_scratch 0
		.amdhsa_float_round_mode_32 0
		.amdhsa_float_round_mode_16_64 0
		.amdhsa_float_denorm_mode_32 3
		.amdhsa_float_denorm_mode_16_64 3
		.amdhsa_dx10_clamp 1
		.amdhsa_ieee_mode 1
		.amdhsa_fp16_overflow 0
		.amdhsa_workgroup_processor_mode 1
		.amdhsa_memory_ordered 1
		.amdhsa_forward_progress 1
		.amdhsa_shared_vgpr_count 0
		.amdhsa_exception_fp_ieee_invalid_op 0
		.amdhsa_exception_fp_denorm_src 0
		.amdhsa_exception_fp_ieee_div_zero 0
		.amdhsa_exception_fp_ieee_overflow 0
		.amdhsa_exception_fp_ieee_underflow 0
		.amdhsa_exception_fp_ieee_inexact 0
		.amdhsa_exception_int_div_zero 0
	.end_amdhsa_kernel
	.section	.text._ZL33flash_attn_stream_k_fixup_generalILi64ELi1ELi8EEvPfPK15HIP_vector_typeIfLj2EEiiiiS1_IjLj3EES5_S5_S5_,"axG",@progbits,_ZL33flash_attn_stream_k_fixup_generalILi64ELi1ELi8EEvPfPK15HIP_vector_typeIfLj2EEiiiiS1_IjLj3EES5_S5_S5_,comdat
.Lfunc_end16:
	.size	_ZL33flash_attn_stream_k_fixup_generalILi64ELi1ELi8EEvPfPK15HIP_vector_typeIfLj2EEiiiiS1_IjLj3EES5_S5_S5_, .Lfunc_end16-_ZL33flash_attn_stream_k_fixup_generalILi64ELi1ELi8EEvPfPK15HIP_vector_typeIfLj2EEiiiiS1_IjLj3EES5_S5_S5_
                                        ; -- End function
	.set _ZL33flash_attn_stream_k_fixup_generalILi64ELi1ELi8EEvPfPK15HIP_vector_typeIfLj2EEiiiiS1_IjLj3EES5_S5_S5_.num_vgpr, 17
	.set _ZL33flash_attn_stream_k_fixup_generalILi64ELi1ELi8EEvPfPK15HIP_vector_typeIfLj2EEiiiiS1_IjLj3EES5_S5_S5_.num_agpr, 0
	.set _ZL33flash_attn_stream_k_fixup_generalILi64ELi1ELi8EEvPfPK15HIP_vector_typeIfLj2EEiiiiS1_IjLj3EES5_S5_S5_.numbered_sgpr, 32
	.set _ZL33flash_attn_stream_k_fixup_generalILi64ELi1ELi8EEvPfPK15HIP_vector_typeIfLj2EEiiiiS1_IjLj3EES5_S5_S5_.num_named_barrier, 0
	.set _ZL33flash_attn_stream_k_fixup_generalILi64ELi1ELi8EEvPfPK15HIP_vector_typeIfLj2EEiiiiS1_IjLj3EES5_S5_S5_.private_seg_size, 0
	.set _ZL33flash_attn_stream_k_fixup_generalILi64ELi1ELi8EEvPfPK15HIP_vector_typeIfLj2EEiiiiS1_IjLj3EES5_S5_S5_.uses_vcc, 1
	.set _ZL33flash_attn_stream_k_fixup_generalILi64ELi1ELi8EEvPfPK15HIP_vector_typeIfLj2EEiiiiS1_IjLj3EES5_S5_S5_.uses_flat_scratch, 0
	.set _ZL33flash_attn_stream_k_fixup_generalILi64ELi1ELi8EEvPfPK15HIP_vector_typeIfLj2EEiiiiS1_IjLj3EES5_S5_S5_.has_dyn_sized_stack, 0
	.set _ZL33flash_attn_stream_k_fixup_generalILi64ELi1ELi8EEvPfPK15HIP_vector_typeIfLj2EEiiiiS1_IjLj3EES5_S5_S5_.has_recursion, 0
	.set _ZL33flash_attn_stream_k_fixup_generalILi64ELi1ELi8EEvPfPK15HIP_vector_typeIfLj2EEiiiiS1_IjLj3EES5_S5_S5_.has_indirect_call, 0
	.section	.AMDGPU.csdata,"",@progbits
; Kernel info:
; codeLenInByte = 2924
; TotalNumSgprs: 34
; NumVgprs: 17
; ScratchSize: 0
; MemoryBound: 0
; FloatMode: 240
; IeeeMode: 1
; LDSByteSize: 0 bytes/workgroup (compile time only)
; SGPRBlocks: 0
; VGPRBlocks: 2
; NumSGPRsForWavesPerEU: 34
; NumVGPRsForWavesPerEU: 17
; Occupancy: 16
; WaveLimiterHint : 0
; COMPUTE_PGM_RSRC2:SCRATCH_EN: 0
; COMPUTE_PGM_RSRC2:USER_SGPR: 6
; COMPUTE_PGM_RSRC2:TRAP_HANDLER: 0
; COMPUTE_PGM_RSRC2:TGID_X_EN: 1
; COMPUTE_PGM_RSRC2:TGID_Y_EN: 1
; COMPUTE_PGM_RSRC2:TGID_Z_EN: 1
; COMPUTE_PGM_RSRC2:TIDIG_COMP_CNT: 0
	.section	.text._ZL15flash_attn_tileILi64ELi64ELi16ELi4ELb0EEvPKcS1_S1_S1_S1_PKiPfP15HIP_vector_typeIfLj2EEffffjfiS5_IjLj3EEiiiiiiiiiiiliiliiiiil,"axG",@progbits,_ZL15flash_attn_tileILi64ELi64ELi16ELi4ELb0EEvPKcS1_S1_S1_S1_PKiPfP15HIP_vector_typeIfLj2EEffffjfiS5_IjLj3EEiiiiiiiiiiiliiliiiiil,comdat
	.globl	_ZL15flash_attn_tileILi64ELi64ELi16ELi4ELb0EEvPKcS1_S1_S1_S1_PKiPfP15HIP_vector_typeIfLj2EEffffjfiS5_IjLj3EEiiiiiiiiiiiliiliiiiil ; -- Begin function _ZL15flash_attn_tileILi64ELi64ELi16ELi4ELb0EEvPKcS1_S1_S1_S1_PKiPfP15HIP_vector_typeIfLj2EEffffjfiS5_IjLj3EEiiiiiiiiiiiliiliiiiil
	.p2align	8
	.type	_ZL15flash_attn_tileILi64ELi64ELi16ELi4ELb0EEvPKcS1_S1_S1_S1_PKiPfP15HIP_vector_typeIfLj2EEffffjfiS5_IjLj3EEiiiiiiiiiiiliiliiiiil,@function
_ZL15flash_attn_tileILi64ELi64ELi16ELi4ELb0EEvPKcS1_S1_S1_S1_PKiPfP15HIP_vector_typeIfLj2EEffffjfiS5_IjLj3EEiiiiiiiiiiiliiliiiiil: ; @_ZL15flash_attn_tileILi64ELi64ELi16ELi4ELb0EEvPKcS1_S1_S1_S1_PKiPfP15HIP_vector_typeIfLj2EEffffjfiS5_IjLj3EEiiiiiiiiiiiliiliiiiil
; %bb.0:
	s_mov_b64 s[46:47], s[2:3]
	s_mov_b64 s[44:45], s[0:1]
	s_clause 0x1
	s_load_dwordx4 s[0:3], s[4:5], 0x5c
	s_load_dwordx2 s[34:35], s[4:5], 0x80
	s_add_u32 s44, s44, s9
	s_addc_u32 s45, s45, 0
	s_mov_b32 s28, s7
	v_mov_b32_e32 v78, v0
	s_mov_b64 s[36:37], 0
	s_waitcnt lgkmcnt(0)
	s_ashr_i32 s7, s3, 31
	s_lshr_b32 s7, s7, 30
	s_add_i32 s7, s3, s7
	s_ashr_i32 s7, s7, 2
	v_cvt_f32_u32_e32 v0, s7
	s_sub_i32 s10, 0, s7
	v_rcp_iflag_f32_e32 v0, v0
	v_mul_f32_e32 v0, 0x4f7ffffe, v0
	v_cvt_u32_f32_e32 v0, v0
	v_readfirstlane_b32 s9, v0
	s_mul_i32 s10, s10, s9
	s_mul_hi_u32 s10, s9, s10
	s_add_i32 s9, s9, s10
	s_mul_hi_u32 s9, s8, s9
	s_mul_i32 s10, s9, s7
	s_add_i32 s11, s9, 1
	s_sub_i32 s10, s8, s10
	s_sub_i32 s12, s10, s7
	s_cmp_ge_u32 s10, s7
	s_cselect_b32 s9, s11, s9
	s_cselect_b32 s10, s12, s10
	s_add_i32 s11, s9, 1
	s_cmp_ge_u32 s10, s7
	s_cselect_b32 s7, s11, s9
	s_abs_i32 s9, s35
	s_lshl_b32 s8, s8, 2
	v_cvt_f32_u32_e32 v0, s9
	s_sub_i32 s11, 0, s9
	s_mul_i32 s12, s7, s3
	s_abs_i32 s13, s3
	s_sub_i32 s30, s8, s12
	v_rcp_iflag_f32_e32 v0, v0
	v_mul_f32_e32 v0, 0x4f7ffffe, v0
	v_cvt_u32_f32_e32 v0, v0
	v_readfirstlane_b32 s10, v0
	s_mul_i32 s11, s11, s10
	s_mul_hi_u32 s11, s10, s11
	s_add_i32 s10, s10, s11
	s_mul_hi_u32 s8, s13, s10
	s_xor_b32 s10, s3, s35
	s_mul_i32 s11, s8, s9
	s_ashr_i32 s10, s10, 31
	s_sub_i32 s11, s13, s11
	s_add_i32 s12, s8, 1
	s_sub_i32 s13, s11, s9
	s_cmp_ge_u32 s11, s9
	s_cselect_b32 s8, s12, s8
	s_cselect_b32 s11, s13, s11
	s_add_i32 s12, s8, 1
	s_cmp_ge_u32 s11, s9
	s_cselect_b32 s8, s12, s8
	s_xor_b32 s8, s8, s10
	s_sub_i32 s31, s8, s10
	s_clause 0x1
	s_load_dwordx16 s[8:23], s[4:5], 0x0
	s_load_dwordx2 s[38:39], s[4:5], 0xb8
	s_abs_i32 s29, s31
	v_cvt_f32_u32_e32 v0, s29
	v_rcp_iflag_f32_e32 v0, v0
	v_mul_f32_e32 v0, 0x4f7ffffe, v0
	s_waitcnt lgkmcnt(0)
	s_cmp_eq_u64 s[14:15], 0
	v_cvt_u32_f32_e32 v0, v0
	v_readfirstlane_b32 s33, v0
	s_cbranch_scc1 .LBB17_2
; %bb.1:
	s_abs_i32 s26, s38
	s_abs_i32 s27, s7
	v_cvt_f32_u32_e32 v0, s26
	s_sub_i32 s25, 0, s26
	v_rcp_iflag_f32_e32 v0, v0
	v_mul_f32_e32 v0, 0x4f7ffffe, v0
	v_cvt_u32_f32_e32 v0, v0
	v_readfirstlane_b32 s24, v0
	s_mul_i32 s25, s25, s24
	s_mul_hi_u32 s25, s24, s25
	s_add_i32 s24, s24, s25
	s_mul_hi_u32 s35, s27, s24
	s_load_dwordx2 s[24:25], s[4:5], 0xc8
	s_mul_i32 s35, s35, s26
	s_sub_i32 s27, s27, s35
	s_ashr_i32 s35, s7, 31
	s_sub_i32 s36, s27, s26
	s_cmp_ge_u32 s27, s26
	s_cselect_b32 s27, s36, s27
	s_sub_i32 s36, s27, s26
	s_cmp_ge_u32 s27, s26
	s_cselect_b32 s26, s36, s27
	s_xor_b32 s26, s26, s35
	s_sub_i32 s26, s26, s35
	s_ashr_i32 s27, s26, 31
	s_waitcnt lgkmcnt(0)
	s_mul_hi_u32 s35, s24, s26
	s_mul_i32 s27, s24, s27
	s_mul_i32 s25, s25, s26
	s_add_i32 s27, s35, s27
	s_mul_i32 s24, s24, s26
	s_add_i32 s27, s27, s25
	s_add_u32 s36, s14, s24
	s_addc_u32 s37, s15, s27
.LBB17_2:
	v_lshlrev_b32_e32 v180, 2, v1
	s_lshl_b32 s14, s6, 4
	s_load_dwordx4 s[24:27], s[4:5], 0x70
	v_lshlrev_b32_e32 v10, 4, v1
	v_lshlrev_b32_e32 v13, 3, v78
	v_add_nc_u32_e32 v181, s14, v180
	v_or_b32_e32 v9, 4, v10
	v_or_b32_e32 v11, 5, v10
	v_mul_hi_u32 v0, v181, s0
	v_or_b32_e32 v12, 6, v10
	v_or_b32_e32 v44, 8, v10
	v_lshrrev_b32_e32 v176, 2, v9
	v_lshrrev_b32_e32 v175, 2, v11
	v_or_b32_e32 v45, 9, v10
	v_lshrrev_b32_e32 v171, 2, v12
	v_lshrrev_b32_e32 v168, 2, v44
	v_add_nc_u32_e32 v0, v181, v0
	v_add_nc_u32_e32 v179, s14, v176
	v_add_nc_u32_e32 v177, s14, v175
	v_add_nc_u32_e32 v174, s14, v171
	s_waitcnt lgkmcnt(0)
	s_mul_i32 s15, s7, s26
	v_lshrrev_b32_e32 v0, s1, v0
	s_mul_i32 s26, s30, s25
	s_ashr_i32 s27, s15, 31
	s_add_u32 s8, s8, s15
	s_addc_u32 s9, s9, s27
	v_mul_lo_u32 v0, v0, s2
	s_ashr_i32 s27, s26, 31
	s_add_u32 s15, s8, s26
	s_mov_b32 s40, s24
	s_addc_u32 s26, s9, s27
	s_ashr_i32 s41, s24, 31
	s_and_b32 s24, s25, -4
	s_lshr_b64 s[8:9], s[40:41], 2
	v_sub_nc_u32_e32 v8, v181, v0
	v_mul_hi_u32 v0, v179, s0
	s_lshr_b32 s9, s41, 2
	s_mov_b32 s40, s25
	s_ashr_i32 s41, s25, 31
	v_mad_u64_u32 v[2:3], null, s8, v8, 0
	s_lshr_b64 s[42:43], s[40:41], 2
	s_add_u32 s27, s15, s24
	v_add_nc_u32_e32 v4, v179, v0
	s_addc_u32 s35, s26, s41
	s_lshl_b64 s[24:25], s[42:43], 3
	s_mul_i32 s38, s41, 12
	v_mov_b32_e32 v0, v3
	v_lshrrev_b32_e32 v5, s1, v4
	s_add_u32 s24, s15, s24
	s_addc_u32 s25, s26, s25
	s_mul_hi_u32 s40, s42, 12
	v_mad_u64_u32 v[3:4], null, s9, v8, v[0:1]
	v_mul_lo_u32 v4, v5, s2
	v_mul_hi_u32 v0, v177, s0
	v_mul_hi_u32 v20, v174, s0
	s_add_i32 s40, s40, s38
	s_mul_i32 s38, s42, 12
	v_add_nc_u32_e32 v172, s14, v168
	v_lshlrev_b64 v[2:3], 2, v[2:3]
	s_add_u32 s38, s15, s38
	v_sub_nc_u32_e32 v19, v179, v4
	s_addc_u32 s40, s26, s40
	v_lshrrev_b32_e32 v167, 2, v45
	v_or_b32_e32 v46, 10, v10
	v_add_co_u32 v4, vcc_lo, s15, v2
	v_add_co_ci_u32_e64 v5, null, s26, v3, vcc_lo
	v_add_co_u32 v6, vcc_lo, s27, v2
	v_add_co_ci_u32_e64 v7, null, s35, v3, vcc_lo
	;; [unrolled: 2-line block ×3, first 2 shown]
	v_add_co_u32 v4, vcc_lo, v4, v13
	v_mad_u64_u32 v[15:16], null, s8, v19, 0
	v_add_co_ci_u32_e64 v5, null, 0, v5, vcc_lo
	v_add_co_u32 v6, vcc_lo, v6, v13
	v_add_co_ci_u32_e64 v7, null, 0, v7, vcc_lo
	v_add_co_u32 v17, vcc_lo, v14, v13
	v_add_nc_u32_e32 v14, v177, v0
	v_mov_b32_e32 v0, v16
	v_add_co_ci_u32_e64 v18, null, 0, v18, vcc_lo
	v_add_co_u32 v21, vcc_lo, s38, v2
	v_lshrrev_b32_e32 v16, s1, v14
	v_or_b32_e32 v14, 7, v10
	v_add_co_ci_u32_e64 v22, null, s40, v3, vcc_lo
	v_mad_u64_u32 v[2:3], null, s9, v19, v[0:1]
	v_mul_lo_u32 v16, v16, s2
	v_add_nc_u32_e32 v0, v174, v20
	v_lshrrev_b32_e32 v170, 2, v14
	v_add_co_u32 v19, vcc_lo, v21, v13
	v_add_co_ci_u32_e64 v20, null, 0, v22, vcc_lo
	v_lshrrev_b32_e32 v0, s1, v0
	v_sub_nc_u32_e32 v25, v177, v16
	v_add_nc_u32_e32 v173, s14, v170
	v_mov_b32_e32 v16, v2
	s_clause 0x3
	global_load_dwordx2 v[23:24], v[4:5], off
	global_load_dwordx2 v[6:7], v[6:7], off
	;; [unrolled: 1-line block ×4, first 2 shown]
	v_mul_lo_u32 v26, v0, s2
	v_mad_u64_u32 v[21:22], null, s8, v25, 0
	v_mul_hi_u32 v27, v173, s0
	v_lshlrev_b64 v[15:16], 2, v[15:16]
	v_add_nc_u32_e32 v169, s14, v167
	v_lshrrev_b32_e32 v165, 2, v46
	v_or_b32_e32 v47, 11, v10
	v_sub_nc_u32_e32 v26, v174, v26
	v_mov_b32_e32 v0, v22
	v_add_co_u32 v15, vcc_lo, s15, v15
	v_add_nc_u32_e32 v20, v173, v27
	v_add_co_ci_u32_e64 v16, null, s26, v16, vcc_lo
	v_mad_u64_u32 v[17:18], null, s9, v25, v[0:1]
	v_mad_u64_u32 v[18:19], null, s8, v26, 0
	v_lshrrev_b32_e32 v20, s1, v20
	v_mul_hi_u32 v25, v172, s0
	v_add_co_u32 v15, vcc_lo, v15, v13
	v_mov_b32_e32 v22, v17
	v_mul_lo_u32 v17, v20, s2
	v_mov_b32_e32 v0, v19
	v_add_co_ci_u32_e64 v16, null, 0, v16, vcc_lo
	v_lshlrev_b64 v[19:20], 2, v[21:22]
	v_add_nc_u32_e32 v166, s14, v165
	v_mad_u64_u32 v[21:22], null, s9, v26, v[0:1]
	v_sub_nc_u32_e32 v22, v173, v17
	v_lshrrev_b32_e32 v158, 2, v47
	v_add_co_u32 v0, vcc_lo, s27, v19
	v_add_co_ci_u32_e64 v17, null, s35, v20, vcc_lo
	v_add_nc_u32_e32 v20, v172, v25
	v_mad_u64_u32 v[25:26], null, s8, v22, 0
	v_mov_b32_e32 v19, v21
	v_add_nc_u32_e32 v160, s14, v158
	v_lshrrev_b32_e32 v27, s1, v20
	v_add_co_u32 v20, vcc_lo, v0, v13
	v_add_co_ci_u32_e64 v21, null, 0, v17, vcc_lo
	v_mov_b32_e32 v0, v26
	v_lshlrev_b64 v[17:18], 2, v[18:19]
	v_mul_lo_u32 v19, v27, s2
	v_mul_hi_u32 v33, v160, s0
	v_or_b32_e32 v48, 12, v10
	v_mad_u64_u32 v[26:27], null, s9, v22, v[0:1]
	v_mul_hi_u32 v0, v169, s0
	v_add_co_u32 v22, vcc_lo, s24, v17
	v_sub_nc_u32_e32 v19, v172, v19
	v_add_co_ci_u32_e64 v28, null, s25, v18, vcc_lo
	v_add_co_u32 v27, vcc_lo, v22, v13
	v_add_nc_u32_e32 v0, v169, v0
	v_mad_u64_u32 v[17:18], null, s8, v19, 0
	v_lshlrev_b64 v[25:26], 2, v[25:26]
	v_add_co_ci_u32_e64 v28, null, 0, v28, vcc_lo
	v_lshrrev_b32_e32 v29, s1, v0
	v_lshrrev_b32_e32 v157, 2, v48
	v_or_b32_e32 v49, 13, v10
	v_mov_b32_e32 v0, v18
	v_add_co_u32 v25, vcc_lo, s38, v25
	v_mul_lo_u32 v22, v29, s2
	v_mul_hi_u32 v29, v166, s0
	v_mad_u64_u32 v[18:19], null, s9, v19, v[0:1]
	v_add_co_ci_u32_e64 v26, null, s40, v26, vcc_lo
	v_add_co_u32 v25, vcc_lo, v25, v13
	v_sub_nc_u32_e32 v31, v169, v22
	v_add_nc_u32_e32 v0, v166, v29
	v_add_co_ci_u32_e64 v26, null, 0, v26, vcc_lo
	s_clause 0x3
	global_load_dwordx2 v[15:16], v[15:16], off
	global_load_dwordx2 v[19:20], v[20:21], off
	;; [unrolled: 1-line block ×4, first 2 shown]
	v_mad_u64_u32 v[29:30], null, s8, v31, 0
	v_lshrrev_b32_e32 v0, s1, v0
	v_lshlrev_b64 v[17:18], 2, v[17:18]
	v_add_nc_u32_e32 v159, s14, v157
	v_lshrrev_b32_e32 v155, 2, v49
	v_or_b32_e32 v50, 14, v10
	v_mul_lo_u32 v32, v0, s2
	v_mov_b32_e32 v0, v30
	v_add_nc_u32_e32 v30, v160, v33
	v_add_co_u32 v17, vcc_lo, s15, v17
	v_add_co_ci_u32_e64 v18, null, s26, v18, vcc_lo
	v_mad_u64_u32 v[27:28], null, s9, v31, v[0:1]
	v_sub_nc_u32_e32 v34, v166, v32
	v_lshrrev_b32_e32 v28, s1, v30
	v_add_co_u32 v17, vcc_lo, v17, v13
	v_add_co_ci_u32_e64 v18, null, 0, v18, vcc_lo
	v_mad_u64_u32 v[31:32], null, s8, v34, 0
	v_mov_b32_e32 v30, v27
	v_add_nc_u32_e32 v156, s14, v155
	v_lshrrev_b32_e32 v141, 2, v50
	v_or_b32_e32 v10, 15, v10
	s_cmp_eq_u64 s[18:19], 0
	v_mov_b32_e32 v0, v32
	v_mul_lo_u32 v32, v28, s2
	v_lshlrev_b64 v[27:28], 2, v[29:30]
	v_add_nc_u32_e32 v142, s14, v141
	v_lshrrev_b32_e32 v139, 2, v10
	v_mad_u64_u32 v[29:30], null, s9, v34, v[0:1]
	v_mul_hi_u32 v0, v159, s0
	v_add_co_u32 v30, vcc_lo, s27, v27
	v_sub_nc_u32_e32 v33, v160, v32
	v_add_co_ci_u32_e64 v34, null, s35, v28, vcc_lo
	v_mov_b32_e32 v32, v29
	v_add_co_u32 v29, vcc_lo, v30, v13
	v_mad_u64_u32 v[27:28], null, s8, v33, 0
	v_add_nc_u32_e32 v35, v159, v0
	v_lshlrev_b64 v[31:32], 2, v[31:32]
	v_add_co_ci_u32_e64 v30, null, 0, v34, vcc_lo
	v_mul_hi_u32 v34, v156, s0
	v_add_nc_u32_e32 v140, s14, v139
	v_mov_b32_e32 v0, v28
	v_lshrrev_b32_e32 v28, s1, v35
	v_add_co_u32 v35, vcc_lo, s24, v31
	v_add_co_ci_u32_e64 v36, null, s25, v32, vcc_lo
	v_mad_u64_u32 v[31:32], null, s9, v33, v[0:1]
	v_mul_lo_u32 v0, v28, s2
	v_add_nc_u32_e32 v28, v156, v34
	v_add_co_u32 v32, vcc_lo, v35, v13
	v_add_co_ci_u32_e64 v33, null, 0, v36, vcc_lo
	v_mul_hi_u32 v36, v142, s0
	v_mul_hi_u32 v39, v140, s0
	v_sub_nc_u32_e32 v37, v159, v0
	v_lshrrev_b32_e32 v0, s1, v28
	v_mov_b32_e32 v28, v31
	s_clause 0x2
	global_load_dwordx2 v[17:18], v[17:18], off
	global_load_dwordx2 v[29:30], v[29:30], off
	;; [unrolled: 1-line block ×3, first 2 shown]
	v_mad_u64_u32 v[34:35], null, s8, v37, 0
	v_mul_lo_u32 v38, v0, s2
	v_add_nc_u32_e32 v36, v142, v36
	v_lshlrev_b64 v[27:28], 2, v[27:28]
	v_mov_b32_e32 v0, v35
	v_lshrrev_b32_e32 v33, s1, v36
	v_sub_nc_u32_e32 v40, v156, v38
	v_add_nc_u32_e32 v38, v140, v39
	v_mad_u64_u32 v[35:36], null, s9, v37, v[0:1]
	v_mul_lo_u32 v0, v33, s2
	v_mad_u64_u32 v[36:37], null, s8, v40, 0
	v_lshrrev_b32_e32 v33, s1, v38
	v_add_co_u32 v38, vcc_lo, s38, v27
	v_add_co_ci_u32_e64 v39, null, s40, v28, vcc_lo
	v_sub_nc_u32_e32 v43, v142, v0
	v_mov_b32_e32 v0, v37
	v_mul_lo_u32 v37, v33, s2
	v_lshlrev_b64 v[33:34], 2, v[34:35]
	v_add_co_u32 v38, vcc_lo, v38, v13
	v_mad_u64_u32 v[27:28], null, s8, v43, 0
	v_mad_u64_u32 v[40:41], null, s9, v40, v[0:1]
	v_sub_nc_u32_e32 v51, v140, v37
	v_add_co_ci_u32_e64 v39, null, 0, v39, vcc_lo
	v_mov_b32_e32 v0, v28
	v_mad_u64_u32 v[41:42], null, s8, v51, 0
	v_add_co_u32 v28, vcc_lo, s15, v33
	v_add_co_ci_u32_e64 v35, null, s26, v34, vcc_lo
	v_mad_u64_u32 v[33:34], null, s9, v43, v[0:1]
	v_mov_b32_e32 v37, v40
	v_mov_b32_e32 v0, v42
	v_add_co_u32 v34, vcc_lo, v28, v13
	v_add_co_ci_u32_e64 v35, null, 0, v35, vcc_lo
	v_lshlrev_b64 v[36:37], 2, v[36:37]
	v_mad_u64_u32 v[42:43], null, s9, v51, v[0:1]
	v_mov_b32_e32 v28, v33
	s_clause 0x1
	global_load_dwordx2 v[38:39], v[38:39], off
	global_load_dwordx2 v[34:35], v[34:35], off
	v_add_co_u32 v0, vcc_lo, s27, v36
	v_lshlrev_b64 v[27:28], 2, v[27:28]
	v_add_co_ci_u32_e64 v33, null, s35, v37, vcc_lo
	v_lshlrev_b64 v[40:41], 2, v[41:42]
	v_add_co_u32 v36, vcc_lo, v0, v13
	v_add_co_ci_u32_e64 v37, null, 0, v33, vcc_lo
	v_add_co_u32 v0, vcc_lo, s24, v27
	v_add_co_ci_u32_e64 v28, null, s25, v28, vcc_lo
	;; [unrolled: 2-line block ×5, first 2 shown]
	s_clause 0x2
	global_load_dwordx2 v[36:37], v[36:37], off
	global_load_dwordx2 v[27:28], v[27:28], off
	;; [unrolled: 1-line block ×3, first 2 shown]
	s_load_dword s8, s[4:5], 0x40
	v_lshl_or_b32 v0, v78, 2, 0x4400
	v_lshlrev_b32_e32 v1, 11, v1
	v_lshl_add_u32 v9, v9, 7, v0
	v_add_nc_u32_e32 v13, v0, v1
	v_lshl_add_u32 v11, v11, 7, v0
	v_lshl_add_u32 v12, v12, 7, v0
	;; [unrolled: 1-line block ×5, first 2 shown]
	s_waitcnt vmcnt(15) lgkmcnt(0)
	v_fma_mixlo_f16 v24, s8, v24, 0
	s_waitcnt vmcnt(14)
	v_fma_mixlo_f16 v7, s8, v7, 0
	s_waitcnt vmcnt(13)
	;; [unrolled: 2-line block ×3, first 2 shown]
	v_fma_mixlo_f16 v3, s8, v3, 0
	v_fma_mixlo_f16 v23, s8, v23, 0
	v_fma_mixlo_f16 v6, s8, v6, 0
	v_fma_mixlo_f16 v4, s8, v4, 0
	v_lshlrev_b32_e32 v24, 16, v24
	v_lshlrev_b32_e32 v7, 16, v7
	;; [unrolled: 1-line block ×3, first 2 shown]
	v_fma_mixlo_f16 v2, s8, v2, 0
	v_lshlrev_b32_e32 v3, 16, v3
	v_or_b32_sdwa v23, v24, v23 dst_sel:DWORD dst_unused:UNUSED_PAD src0_sel:DWORD src1_sel:WORD_0
	v_or_b32_sdwa v6, v7, v6 dst_sel:DWORD dst_unused:UNUSED_PAD src0_sel:DWORD src1_sel:WORD_0
	;; [unrolled: 1-line block ×4, first 2 shown]
	ds_write2_b32 v13, v23, v6 offset1:32
	ds_write2_b32 v13, v4, v2 offset0:64 offset1:96
	s_waitcnt vmcnt(11)
	v_fma_mixlo_f16 v5, s8, v16, 0
	v_fma_mixlo_f16 v3, s8, v15, 0
	s_waitcnt vmcnt(10)
	v_fma_mixlo_f16 v15, s8, v20, 0
	v_fma_mixlo_f16 v7, s8, v19, 0
	;; [unrolled: 3-line block ×3, first 2 shown]
	s_waitcnt vmcnt(8)
	v_fma_mixlo_f16 v21, s8, v26, 0
	v_lshlrev_b32_e32 v2, 16, v5
	v_lshlrev_b32_e32 v4, 16, v15
	;; [unrolled: 1-line block ×3, first 2 shown]
	v_fma_mixlo_f16 v20, s8, v25, 0
	v_lshlrev_b32_e32 v6, 16, v21
	v_or_b32_sdwa v2, v2, v3 dst_sel:DWORD dst_unused:UNUSED_PAD src0_sel:DWORD src1_sel:WORD_0
	v_or_b32_sdwa v3, v4, v7 dst_sel:DWORD dst_unused:UNUSED_PAD src0_sel:DWORD src1_sel:WORD_0
	;; [unrolled: 1-line block ×4, first 2 shown]
	s_waitcnt vmcnt(7)
	v_fma_mixlo_f16 v18, s8, v18, 0
	s_waitcnt vmcnt(6)
	v_fma_mixlo_f16 v24, s8, v30, 0
	v_fma_mixlo_f16 v17, s8, v17, 0
	;; [unrolled: 1-line block ×3, first 2 shown]
	s_waitcnt vmcnt(5)
	v_fma_mixlo_f16 v26, s8, v32, 0
	v_lshlrev_b32_e32 v13, 16, v18
	v_lshlrev_b32_e32 v15, 16, v24
	v_fma_mixlo_f16 v25, s8, v31, 0
	v_lshlrev_b32_e32 v18, 16, v26
	v_or_b32_sdwa v6, v13, v17 dst_sel:DWORD dst_unused:UNUSED_PAD src0_sel:DWORD src1_sel:WORD_0
	v_or_b32_sdwa v7, v15, v22 dst_sel:DWORD dst_unused:UNUSED_PAD src0_sel:DWORD src1_sel:WORD_0
	ds_write_b32 v9, v2
	ds_write_b32 v11, v3
	;; [unrolled: 1-line block ×6, first 2 shown]
	v_lshl_add_u32 v3, v46, 7, v0
	v_or_b32_sdwa v5, v18, v25 dst_sel:DWORD dst_unused:UNUSED_PAD src0_sel:DWORD src1_sel:WORD_0
	ds_write_b32 v3, v5
	v_lshl_add_u32 v3, v47, 7, v0
	v_lshl_add_u32 v5, v48, 7, v0
	s_waitcnt vmcnt(4)
	v_fma_mixlo_f16 v2, s8, v39, 0
	v_fma_mixlo_f16 v6, s8, v38, 0
	s_waitcnt vmcnt(3)
	v_fma_mixlo_f16 v4, s8, v35, 0
	v_fma_mixlo_f16 v7, s8, v34, 0
	v_lshlrev_b32_e32 v2, 16, v2
	v_lshlrev_b32_e32 v4, 16, v4
	v_or_b32_sdwa v2, v2, v6 dst_sel:DWORD dst_unused:UNUSED_PAD src0_sel:DWORD src1_sel:WORD_0
	v_or_b32_sdwa v4, v4, v7 dst_sel:DWORD dst_unused:UNUSED_PAD src0_sel:DWORD src1_sel:WORD_0
	v_lshl_add_u32 v7, v49, 7, v0
	s_waitcnt vmcnt(2)
	v_fma_mixlo_f16 v6, s8, v37, 0
	s_waitcnt vmcnt(1)
	v_fma_mixlo_f16 v9, s8, v28, 0
	;; [unrolled: 2-line block ×3, first 2 shown]
	v_fma_mixlo_f16 v11, s8, v36, 0
	v_fma_mixlo_f16 v13, s8, v27, 0
	v_lshlrev_b32_e32 v6, 16, v6
	v_lshlrev_b32_e32 v9, 16, v9
	v_fma_mixlo_f16 v14, s8, v40, 0
	v_lshlrev_b32_e32 v12, 16, v12
	v_or_b32_sdwa v6, v6, v11 dst_sel:DWORD dst_unused:UNUSED_PAD src0_sel:DWORD src1_sel:WORD_0
	v_lshl_add_u32 v11, v50, 7, v0
	v_or_b32_sdwa v9, v9, v13 dst_sel:DWORD dst_unused:UNUSED_PAD src0_sel:DWORD src1_sel:WORD_0
	v_lshl_add_u32 v0, v10, 7, v0
	v_or_b32_sdwa v10, v12, v14 dst_sel:DWORD dst_unused:UNUSED_PAD src0_sel:DWORD src1_sel:WORD_0
	ds_write_b32 v3, v2
	ds_write_b32 v5, v4
	;; [unrolled: 1-line block ×5, first 2 shown]
	s_waitcnt lgkmcnt(0)
	s_barrier
	buffer_gl0_inv
	s_cbranch_scc1 .LBB17_4
; %bb.3:
	s_load_dword s8, s[4:5], 0xd0
	s_mov_b32 s9, 0
	s_waitcnt lgkmcnt(0)
	s_mul_i32 s8, s8, s7
	s_add_i32 s8, s8, s6
	s_lshl_b64 s[8:9], s[8:9], 2
	s_add_u32 s8, s18, s8
	s_addc_u32 s9, s19, s9
	s_load_dword s34, s[8:9], 0x0
.LBB17_4:
	v_mbcnt_lo_u32_b32 v115, -1, 0
	s_lshl_b32 s6, s28, 6
	s_waitcnt lgkmcnt(0)
	s_cmp_lt_i32 s6, s34
	s_cbranch_scc1 .LBB17_7
; %bb.5:
	v_mbcnt_lo_u32_b32 v17, -1, 0
	v_mov_b32_e32 v23, 32
	v_xor_b32_e32 v121, 16, v17
	v_xor_b32_e32 v122, 8, v17
	;; [unrolled: 1-line block ×5, first 2 shown]
	s_cbranch_execz .LBB17_8
; %bb.6:
	v_mov_b32_e32 v1, 0xfeffffff
	v_mov_b32_e32 v164, 0
	;; [unrolled: 1-line block ×48, first 2 shown]
	s_branch .LBB17_11
.LBB17_7:
                                        ; implicit-def: $vgpr17
                                        ; implicit-def: $vgpr23
                                        ; implicit-def: $vgpr121
                                        ; implicit-def: $vgpr122
                                        ; implicit-def: $vgpr100
                                        ; implicit-def: $vgpr103
                                        ; implicit-def: $vgpr86
.LBB17_8:
	buffer_store_dword v179, off, s[44:47], 0 offset:132 ; 4-byte Folded Spill
	buffer_store_dword v177, off, s[44:47], 0 offset:128 ; 4-byte Folded Spill
	;; [unrolled: 1-line block ×24, first 2 shown]
	s_clause 0x1
	s_load_dwordx4 s[24:27], s[4:5], 0x98
	s_load_dwordx2 s[18:19], s[4:5], 0x8c
	v_add_nc_u32_e32 v12, 1, v181
	s_sub_i32 s8, 0, s29
	s_ashr_i32 s38, s39, 1
	s_mul_i32 s8, s8, s33
	s_ashr_i32 s39, s7, 31
	v_mul_hi_u32 v5, s0, v12
	s_mul_hi_u32 s8, s33, s8
	s_abs_i32 s15, s30
	s_add_i32 s33, s33, s8
	v_add_nc_u32_e32 v14, 2, v181
	s_mul_hi_u32 s33, s15, s33
	s_ashr_i32 s35, s30, 31
	s_ashr_i32 s31, s31, 31
	s_load_dwordx2 s[40:41], s[4:5], 0xa8
	s_mul_i32 s42, s33, s29
	v_mul_hi_u32 v6, s0, v14
	v_add_nc_u32_e32 v9, v12, v5
	v_add_nc_u32_e32 v15, 3, v181
	s_waitcnt lgkmcnt(0)
	s_ashr_i32 s8, s26, 2
	s_ashr_i32 s9, s18, 2
	s_mul_hi_u32 s18, s24, s7
	s_mul_i32 s26, s24, s39
	s_mul_i32 s25, s25, s7
	s_add_i32 s18, s18, s26
	s_mul_i32 s24, s24, s7
	s_add_i32 s18, s18, s25
	s_add_u32 s10, s10, s24
	s_addc_u32 s11, s11, s18
	s_sub_i32 s15, s15, s42
	s_xor_b32 s18, s35, s31
	s_add_i32 s24, s33, 1
	s_sub_i32 s25, s15, s29
	s_cmp_ge_u32 s15, s29
	v_lshrrev_b32_e32 v11, s1, v9
	s_cselect_b32 s24, s24, s33
	s_cselect_b32 s15, s25, s15
	s_add_i32 s25, s24, 1
	v_mul_hi_u32 v7, s0, v15
	v_add_nc_u32_e32 v10, v14, v6
	s_cmp_ge_u32 s15, s29
	v_mul_lo_u32 v17, v11, s2
	v_lshrrev_b32_e32 v0, 3, v78
	s_cselect_b32 s15, s25, s24
	v_lshrrev_b32_e32 v10, s1, v10
	s_xor_b32 s15, s15, s18
	v_mul_lo_u32 v8, v8, s38
	s_sub_i32 s15, s15, s18
	v_add_nc_u32_e32 v0, v0, v180
	v_add_nc_u32_e32 v7, v15, v7
	s_mul_i32 s19, s15, s19
	v_mul_lo_u32 v18, v10, s2
	v_sub_nc_u32_e32 v12, v12, v17
	s_mul_hi_u32 s24, s40, s7
	s_mul_i32 s18, s40, s39
	s_ashr_i32 s26, s19, 31
	s_add_u32 s10, s10, s19
	s_mul_i32 s25, s41, s7
	s_addc_u32 s11, s11, s26
	s_add_i32 s18, s24, s18
	v_mul_lo_u32 v2, s9, v0
	v_lshrrev_b32_e32 v13, s1, v7
	s_mul_i32 s19, s40, s7
	s_add_i32 s18, s18, s25
	s_mul_i32 s15, s15, s27
	buffer_store_dword v8, off, s[44:47], 0 ; 4-byte Folded Spill
	v_mul_lo_u32 v8, v12, s38
	s_add_u32 s12, s12, s19
	s_addc_u32 s13, s13, s18
	s_ashr_i32 s18, s15, 31
	s_add_u32 s12, s12, s15
	v_mul_lo_u32 v20, v13, s2
	v_sub_nc_u32_e32 v14, v14, v18
	s_addc_u32 s13, s13, s18
	s_lshl_b32 s0, s9, 4
	buffer_store_dword v8, off, s[44:47], 0 offset:4 ; 4-byte Folded Spill
	v_add_nc_u32_e32 v4, s0, v2
	v_mul_lo_u32 v8, v14, s38
	v_mul_lo_u32 v11, s8, v0
	v_sub_nc_u32_e32 v17, v15, v20
	v_ashrrev_i32_e32 v3, 31, v2
	v_add_nc_u32_e32 v6, s0, v4
	v_lshlrev_b32_e32 v123, 2, v78
	v_ashrrev_i32_e32 v5, 31, v4
	buffer_store_dword v180, off, s[44:47], 0 offset:136 ; 4-byte Folded Spill
	buffer_store_dword v8, off, s[44:47], 0 offset:8 ; 4-byte Folded Spill
	v_add_nc_u32_e32 v9, s0, v6
	s_lshl_b32 s0, s8, 4
	v_mul_lo_u32 v8, v17, s38
	v_add_nc_u32_e32 v13, s0, v11
	v_lshlrev_b64 v[2:3], 2, v[2:3]
	v_and_b32_e32 v19, 28, v123
	buffer_store_dword v181, off, s[44:47], 0 offset:140 ; 4-byte Folded Spill
	v_ashrrev_i32_e32 v7, 31, v6
	v_add_nc_u32_e32 v15, s0, v13
	v_ashrrev_i32_e32 v10, 31, v9
	buffer_store_dword v8, off, s[44:47], 0 offset:12 ; 4-byte Folded Spill
	buffer_store_dword v2, off, s[44:47], 0 offset:16 ; 4-byte Folded Spill
	;; [unrolled: 1-line block ×3, first 2 shown]
	v_lshlrev_b64 v[2:3], 2, v[4:5]
	v_lshlrev_b32_e32 v16, 2, v19
	v_add_nc_u32_e32 v17, s0, v15
	buffer_store_dword v2, off, s[44:47], 0 offset:24 ; 4-byte Folded Spill
	buffer_store_dword v3, off, s[44:47], 0 offset:28 ; 4-byte Folded Spill
	v_lshlrev_b64 v[2:3], 2, v[6:7]
	v_mad_u32_u24 v124, 0x90, v0, v16
	v_lshl_or_b32 v131, v0, 7, v16
	v_ashrrev_i32_e32 v12, 31, v11
	v_ashrrev_i32_e32 v14, 31, v13
	;; [unrolled: 1-line block ×4, first 2 shown]
	v_add_nc_u32_e32 v132, 0x2400, v1
	v_lshlrev_b32_e32 v0, 4, v78
	buffer_store_dword v2, off, s[44:47], 0 offset:32 ; 4-byte Folded Spill
	buffer_store_dword v3, off, s[44:47], 0 offset:36 ; 4-byte Folded Spill
	v_lshlrev_b64 v[140:141], 2, v[9:10]
	v_lshlrev_b64 v[111:112], 2, v[11:12]
	;; [unrolled: 1-line block ×5, first 2 shown]
	v_mov_b32_e32 v143, 0
	v_add_nc_u32_e32 v125, 0x4400, v1
	v_mul_u32_u24_e32 v126, 0x90, v78
	v_mov_b32_e32 v1, 0xfeffffff
	v_lshlrev_b32_e32 v133, 2, v19
	v_xor_b32_e32 v121, 16, v115
	v_xor_b32_e32 v122, 8, v115
	;; [unrolled: 1-line block ×5, first 2 shown]
	v_add_nc_u32_e32 v134, v132, v0
	v_mov_b32_e32 v135, 0x10001
	v_add_nc_u32_e32 v0, 0x400, v123
	v_add_nc_u32_e32 v114, 0xc00, v123
	;; [unrolled: 1-line block ×6, first 2 shown]
	v_mov_b32_e32 v144, 0
	v_mov_b32_e32 v145, 0
	v_mov_b32_e32 v146, 0
	v_mov_b32_e32 v147, 0
	v_mov_b32_e32 v148, 0
	v_mov_b32_e32 v149, 0
	v_mov_b32_e32 v150, 0
	v_mov_b32_e32 v151, 0
	v_mov_b32_e32 v152, 0
	v_mov_b32_e32 v153, 0
	v_mov_b32_e32 v154, 0
	v_mov_b32_e32 v161, 0
	v_mov_b32_e32 v162, 0
	v_mov_b32_e32 v163, 0
	v_mov_b32_e32 v164, 0
	v_mov_b32_e32 v2, 0xfeffffff
	v_mov_b32_e32 v3, 0xfeffffff
	v_mov_b32_e32 v4, 0xfeffffff
	v_mov_b32_e32 v5, 0xfeffffff
	v_mov_b32_e32 v6, 0xfeffffff
	v_mov_b32_e32 v7, 0xfeffffff
	v_mov_b32_e32 v8, 0xfeffffff
	v_mov_b32_e32 v9, 0xfeffffff
	v_mov_b32_e32 v10, 0xfeffffff
	v_mov_b32_e32 v11, 0xfeffffff
	v_mov_b32_e32 v12, 0xfeffffff
	v_mov_b32_e32 v13, 0xfeffffff
	v_mov_b32_e32 v14, 0xfeffffff
	v_mov_b32_e32 v15, 0xfeffffff
	v_mov_b32_e32 v16, 0xfeffffff
	v_mov_b32_e32 v25, 0
	v_mov_b32_e32 v26, 0
	v_mov_b32_e32 v27, 0
	v_mov_b32_e32 v28, 0
	v_mov_b32_e32 v29, 0
	v_mov_b32_e32 v30, 0
	v_mov_b32_e32 v31, 0
	v_mov_b32_e32 v32, 0
	v_mov_b32_e32 v33, 0
	v_mov_b32_e32 v34, 0
	v_mov_b32_e32 v35, 0
	v_mov_b32_e32 v36, 0
	v_mov_b32_e32 v37, 0
	v_mov_b32_e32 v38, 0
	v_mov_b32_e32 v39, 0
	v_mov_b32_e32 v116, 0
	s_add_u32 s0, s4, 0xd0
	s_addc_u32 s1, s5, 0
.LBB17_9:                               ; =>This Inner Loop Header: Depth=1
	v_mov_b32_e32 v188, v2
	v_mov_b32_e32 v189, v1
	s_clause 0x1
	buffer_load_dword v1, off, s[44:47], 0 offset:16
	buffer_load_dword v2, off, s[44:47], 0 offset:20
	s_mul_hi_i32 s19, s6, s9
	s_mul_i32 s18, s6, s9
	v_mov_b32_e32 v184, v4
	s_lshl_b64 s[18:19], s[18:19], 2
	v_mov_b32_e32 v186, v3
	s_add_u32 s15, s10, s18
	s_addc_u32 s18, s11, s19
	v_mov_b32_e32 v182, v5
	v_add_nc_u32_e32 v5, 0x900, v124
	v_mov_b32_e32 v155, v39
	v_mov_b32_e32 v157, v38
	;; [unrolled: 1-line block ×42, first 2 shown]
	s_mul_hi_i32 s19, s6, s8
	s_waitcnt vmcnt(1)
	v_add_co_u32 v1, vcc_lo, s15, v1
	s_waitcnt vmcnt(0)
	v_add_co_ci_u32_e64 v2, null, s18, v2, vcc_lo
	v_add_co_u32 v1, vcc_lo, v1, v133
	v_add_co_ci_u32_e64 v2, null, 0, v2, vcc_lo
	global_load_dwordx4 v[1:4], v[1:2], off
	s_waitcnt vmcnt(0)
	ds_write_b128 v124, v[1:4]
	s_clause 0x1
	buffer_load_dword v1, off, s[44:47], 0 offset:24
	buffer_load_dword v2, off, s[44:47], 0 offset:28
	s_waitcnt vmcnt(1)
	v_add_co_u32 v1, vcc_lo, s15, v1
	s_waitcnt vmcnt(0)
	v_add_co_ci_u32_e64 v2, null, s18, v2, vcc_lo
	v_add_co_u32 v1, vcc_lo, v1, v133
	v_add_co_ci_u32_e64 v2, null, 0, v2, vcc_lo
	global_load_dwordx4 v[1:4], v[1:2], off
	s_waitcnt vmcnt(0)
	ds_write_b128 v5, v[1:4]
	s_clause 0x1
	buffer_load_dword v1, off, s[44:47], 0 offset:32
	buffer_load_dword v2, off, s[44:47], 0 offset:36
	v_add_nc_u32_e32 v5, 0x1200, v124
	s_waitcnt vmcnt(1)
	v_add_co_u32 v1, vcc_lo, s15, v1
	s_waitcnt vmcnt(0)
	v_add_co_ci_u32_e64 v2, null, s18, v2, vcc_lo
	v_add_co_u32 v1, vcc_lo, v1, v133
	v_add_co_ci_u32_e64 v2, null, 0, v2, vcc_lo
	global_load_dwordx4 v[1:4], v[1:2], off
	s_waitcnt vmcnt(0)
	ds_write_b128 v5, v[1:4]
	v_add_co_u32 v1, vcc_lo, s15, v140
	v_add_co_ci_u32_e64 v2, null, s18, v141, vcc_lo
	v_add_nc_u32_e32 v5, 0x1b00, v124
	v_add_co_u32 v1, vcc_lo, v1, v133
	v_add_co_ci_u32_e64 v2, null, 0, v2, vcc_lo
	v_cmp_gt_i32_e32 vcc_lo, 32, v121
	s_mul_i32 s18, s6, s8
	global_load_dwordx4 v[1:4], v[1:2], off
	s_lshl_b64 s[18:19], s[18:19], 2
	s_add_u32 s15, s12, s18
	s_addc_u32 s18, s13, s19
	s_waitcnt vmcnt(0)
	ds_write_b128 v5, v[1:4]
	s_waitcnt lgkmcnt(0)
	s_waitcnt_vscnt null, 0x0
	s_barrier
	buffer_gl0_inv
	ds_read_b128 v[69:72], v126
	ds_read_b128 v[1:4], v126 offset:4608
	ds_read_b128 v[65:68], v125
	ds_read_b128 v[61:64], v125 offset:128
	ds_read_b128 v[57:60], v125 offset:256
	;; [unrolled: 1-line block ×15, first 2 shown]
	s_waitcnt lgkmcnt(15)
	;;#ASMSTART
	v_dot2_f32_f16 v109, v69, v65, v109
	;;#ASMEND
	;;#ASMSTART
	v_dot2_f32_f16 v109, v70, v66, v109
	;;#ASMEND
	;;#ASMSTART
	v_dot2_f32_f16 v109, v71, v67, v109
	;;#ASMEND
	;;#ASMSTART
	v_dot2_f32_f16 v109, v72, v68, v109
	;;#ASMEND
	s_waitcnt lgkmcnt(14)
	;;#ASMSTART
	v_dot2_f32_f16 v110, v69, v61, v110
	;;#ASMEND
	;;#ASMSTART
	v_dot2_f32_f16 v110, v70, v62, v110
	;;#ASMEND
	;;#ASMSTART
	v_dot2_f32_f16 v110, v71, v63, v110
	;;#ASMEND
	;;#ASMSTART
	v_dot2_f32_f16 v110, v72, v64, v110
	;;#ASMEND
	;; [unrolled: 13-line block ×15, first 2 shown]
	s_waitcnt lgkmcnt(0)
	;;#ASMSTART
	v_dot2_f32_f16 v190, v69, v5, v190
	;;#ASMEND
	;;#ASMSTART
	v_dot2_f32_f16 v190, v70, v6, v190
	;;#ASMEND
	;;#ASMSTART
	v_dot2_f32_f16 v190, v71, v7, v190
	;;#ASMEND
	v_mov_b32_e32 v69, 0
	;;#ASMSTART
	v_dot2_f32_f16 v190, v72, v8, v190
	;;#ASMEND
	;;#ASMSTART
	v_dot2_f32_f16 v69, v1, v65, v69
	;;#ASMEND
	;;#ASMSTART
	v_dot2_f32_f16 v69, v2, v66, v69
	;;#ASMEND
	;;#ASMSTART
	v_dot2_f32_f16 v69, v3, v67, v69
	;;#ASMEND
	v_mov_b32_e32 v65, 0
	;;#ASMSTART
	v_dot2_f32_f16 v69, v4, v68, v69
	;;#ASMEND
	;; [unrolled: 13-line block ×4, first 2 shown]
	;;#ASMSTART
	v_dot2_f32_f16 v57, v1, v53, v57
	;;#ASMEND
	;;#ASMSTART
	v_dot2_f32_f16 v57, v2, v54, v57
	;;#ASMEND
	;;#ASMSTART
	v_dot2_f32_f16 v57, v3, v55, v57
	;;#ASMEND
	;;#ASMSTART
	v_dot2_f32_f16 v57, v4, v56, v57
	;;#ASMEND
	v_mov_b32_e32 v56, 0
	;;#ASMSTART
	v_dot2_f32_f16 v56, v1, v49, v56
	;;#ASMEND
	;;#ASMSTART
	v_dot2_f32_f16 v56, v2, v50, v56
	;;#ASMEND
	;;#ASMSTART
	v_dot2_f32_f16 v56, v3, v51, v56
	;;#ASMEND
	v_mov_b32_e32 v55, 0
	;;#ASMSTART
	v_dot2_f32_f16 v56, v4, v52, v56
	;;#ASMEND
	;;#ASMSTART
	v_dot2_f32_f16 v55, v1, v45, v55
	;;#ASMEND
	;;#ASMSTART
	v_dot2_f32_f16 v55, v2, v46, v55
	;;#ASMEND
	;;#ASMSTART
	v_dot2_f32_f16 v55, v3, v47, v55
	;;#ASMEND
	v_mov_b32_e32 v53, 0
	;;#ASMSTART
	v_dot2_f32_f16 v55, v4, v48, v55
	;;#ASMEND
	;; [unrolled: 13-line block ×11, first 2 shown]
	;;#ASMSTART
	v_dot2_f32_f16 v45, v1, v5, v45
	;;#ASMEND
	;;#ASMSTART
	v_dot2_f32_f16 v45, v2, v6, v45
	;;#ASMEND
	;; [unrolled: 3-line block ×4, first 2 shown]
	ds_read_b128 v[127:130], v126 offset:16
	ds_read_b128 v[1:4], v126 offset:4624
	;; [unrolled: 1-line block ×5, first 2 shown]
	v_mov_b32_e32 v58, v78
	ds_read_b128 v[78:81], v125 offset:400
	ds_read_b128 v[82:85], v125 offset:528
	;; [unrolled: 1-line block ×13, first 2 shown]
	s_waitcnt lgkmcnt(15)
	;;#ASMSTART
	v_dot2_f32_f16 v109, v127, v136, v109
	;;#ASMEND
	;;#ASMSTART
	v_dot2_f32_f16 v109, v128, v137, v109
	;;#ASMEND
	;;#ASMSTART
	v_dot2_f32_f16 v109, v129, v138, v109
	;;#ASMEND
	;;#ASMSTART
	v_dot2_f32_f16 v109, v130, v139, v109
	;;#ASMEND
	s_waitcnt lgkmcnt(14)
	;;#ASMSTART
	v_dot2_f32_f16 v110, v127, v70, v110
	;;#ASMEND
	;;#ASMSTART
	v_dot2_f32_f16 v110, v128, v71, v110
	;;#ASMEND
	;;#ASMSTART
	v_dot2_f32_f16 v110, v129, v72, v110
	;;#ASMEND
	;;#ASMSTART
	v_dot2_f32_f16 v110, v130, v73, v110
	;;#ASMEND
	;; [unrolled: 13-line block ×16, first 2 shown]
	;;#ASMSTART
	v_dot2_f32_f16 v69, v1, v136, v69
	;;#ASMEND
	;;#ASMSTART
	v_dot2_f32_f16 v69, v2, v137, v69
	;;#ASMEND
	;; [unrolled: 3-line block ×64, first 2 shown]
	ds_read_b128 v[70:73], v126 offset:32
	ds_read_b128 v[1:4], v126 offset:4640
	;; [unrolled: 1-line block ×18, first 2 shown]
	s_waitcnt lgkmcnt(15)
	;;#ASMSTART
	v_dot2_f32_f16 v109, v70, v74, v109
	;;#ASMEND
	;;#ASMSTART
	v_dot2_f32_f16 v109, v71, v75, v109
	;;#ASMEND
	;;#ASMSTART
	v_dot2_f32_f16 v109, v72, v76, v109
	;;#ASMEND
	;;#ASMSTART
	v_dot2_f32_f16 v109, v73, v77, v109
	;;#ASMEND
	s_waitcnt lgkmcnt(14)
	;;#ASMSTART
	v_dot2_f32_f16 v110, v70, v78, v110
	;;#ASMEND
	;;#ASMSTART
	v_dot2_f32_f16 v110, v71, v79, v110
	;;#ASMEND
	;;#ASMSTART
	v_dot2_f32_f16 v110, v72, v80, v110
	;;#ASMEND
	;;#ASMSTART
	v_dot2_f32_f16 v110, v73, v81, v110
	;;#ASMEND
	;; [unrolled: 13-line block ×16, first 2 shown]
	;;#ASMSTART
	v_dot2_f32_f16 v69, v1, v74, v69
	;;#ASMEND
	;;#ASMSTART
	v_dot2_f32_f16 v69, v2, v75, v69
	;;#ASMEND
	;; [unrolled: 3-line block ×64, first 2 shown]
	ds_read_b128 v[70:73], v126 offset:48
	ds_read_b128 v[1:4], v126 offset:4656
	;; [unrolled: 1-line block ×18, first 2 shown]
	s_waitcnt lgkmcnt(15)
	;;#ASMSTART
	v_dot2_f32_f16 v109, v70, v74, v109
	;;#ASMEND
	;;#ASMSTART
	v_dot2_f32_f16 v109, v71, v75, v109
	;;#ASMEND
	;;#ASMSTART
	v_dot2_f32_f16 v109, v72, v76, v109
	;;#ASMEND
	;;#ASMSTART
	v_dot2_f32_f16 v109, v73, v77, v109
	;;#ASMEND
	s_waitcnt lgkmcnt(14)
	;;#ASMSTART
	v_dot2_f32_f16 v110, v70, v78, v110
	;;#ASMEND
	;;#ASMSTART
	v_dot2_f32_f16 v110, v71, v79, v110
	;;#ASMEND
	;;#ASMSTART
	v_dot2_f32_f16 v110, v72, v80, v110
	;;#ASMEND
	;;#ASMSTART
	v_dot2_f32_f16 v110, v73, v81, v110
	;;#ASMEND
	;; [unrolled: 13-line block ×16, first 2 shown]
	;;#ASMSTART
	v_dot2_f32_f16 v69, v1, v74, v69
	;;#ASMEND
	;;#ASMSTART
	v_dot2_f32_f16 v69, v2, v75, v69
	;;#ASMEND
	;; [unrolled: 3-line block ×64, first 2 shown]
	ds_read_b128 v[70:73], v126 offset:64
	ds_read_b128 v[1:4], v126 offset:4672
	;; [unrolled: 1-line block ×18, first 2 shown]
	s_waitcnt lgkmcnt(15)
	;;#ASMSTART
	v_dot2_f32_f16 v109, v70, v74, v109
	;;#ASMEND
	;;#ASMSTART
	v_dot2_f32_f16 v109, v71, v75, v109
	;;#ASMEND
	;;#ASMSTART
	v_dot2_f32_f16 v109, v72, v76, v109
	;;#ASMEND
	;;#ASMSTART
	v_dot2_f32_f16 v109, v73, v77, v109
	;;#ASMEND
	s_waitcnt lgkmcnt(14)
	;;#ASMSTART
	v_dot2_f32_f16 v110, v70, v78, v110
	;;#ASMEND
	;;#ASMSTART
	v_dot2_f32_f16 v110, v71, v79, v110
	;;#ASMEND
	;;#ASMSTART
	v_dot2_f32_f16 v110, v72, v80, v110
	;;#ASMEND
	;;#ASMSTART
	v_dot2_f32_f16 v110, v73, v81, v110
	;;#ASMEND
	;; [unrolled: 13-line block ×16, first 2 shown]
	;;#ASMSTART
	v_dot2_f32_f16 v69, v1, v74, v69
	;;#ASMEND
	;;#ASMSTART
	v_dot2_f32_f16 v69, v2, v75, v69
	;;#ASMEND
	;; [unrolled: 3-line block ×64, first 2 shown]
	ds_read_b128 v[70:73], v126 offset:80
	ds_read_b128 v[1:4], v126 offset:4688
	;; [unrolled: 1-line block ×18, first 2 shown]
	s_waitcnt lgkmcnt(15)
	;;#ASMSTART
	v_dot2_f32_f16 v109, v70, v74, v109
	;;#ASMEND
	;;#ASMSTART
	v_dot2_f32_f16 v109, v71, v75, v109
	;;#ASMEND
	;;#ASMSTART
	v_dot2_f32_f16 v109, v72, v76, v109
	;;#ASMEND
	;;#ASMSTART
	v_dot2_f32_f16 v109, v73, v77, v109
	;;#ASMEND
	s_waitcnt lgkmcnt(14)
	;;#ASMSTART
	v_dot2_f32_f16 v110, v70, v78, v110
	;;#ASMEND
	;;#ASMSTART
	v_dot2_f32_f16 v110, v71, v79, v110
	;;#ASMEND
	;;#ASMSTART
	v_dot2_f32_f16 v110, v72, v80, v110
	;;#ASMEND
	;;#ASMSTART
	v_dot2_f32_f16 v110, v73, v81, v110
	;;#ASMEND
	;; [unrolled: 13-line block ×16, first 2 shown]
	;;#ASMSTART
	v_dot2_f32_f16 v69, v1, v74, v69
	;;#ASMEND
	;;#ASMSTART
	v_dot2_f32_f16 v69, v2, v75, v69
	;;#ASMEND
	;; [unrolled: 3-line block ×64, first 2 shown]
	ds_read_b128 v[70:73], v126 offset:96
	ds_read_b128 v[1:4], v126 offset:4704
	;; [unrolled: 1-line block ×18, first 2 shown]
	s_waitcnt lgkmcnt(15)
	;;#ASMSTART
	v_dot2_f32_f16 v109, v70, v74, v109
	;;#ASMEND
	;;#ASMSTART
	v_dot2_f32_f16 v109, v71, v75, v109
	;;#ASMEND
	;;#ASMSTART
	v_dot2_f32_f16 v109, v72, v76, v109
	;;#ASMEND
	;;#ASMSTART
	v_dot2_f32_f16 v109, v73, v77, v109
	;;#ASMEND
	s_waitcnt lgkmcnt(14)
	;;#ASMSTART
	v_dot2_f32_f16 v110, v70, v78, v110
	;;#ASMEND
	;;#ASMSTART
	v_dot2_f32_f16 v110, v71, v79, v110
	;;#ASMEND
	;;#ASMSTART
	v_dot2_f32_f16 v110, v72, v80, v110
	;;#ASMEND
	;;#ASMSTART
	v_dot2_f32_f16 v110, v73, v81, v110
	;;#ASMEND
	;; [unrolled: 13-line block ×16, first 2 shown]
	;;#ASMSTART
	v_dot2_f32_f16 v69, v1, v74, v69
	;;#ASMEND
	;;#ASMSTART
	v_dot2_f32_f16 v69, v2, v75, v69
	;;#ASMEND
	;; [unrolled: 3-line block ×64, first 2 shown]
	ds_read_b128 v[5:8], v126 offset:112
	ds_read_b128 v[1:4], v126 offset:4720
	;; [unrolled: 1-line block ×18, first 2 shown]
	s_waitcnt lgkmcnt(15)
	;;#ASMSTART
	v_dot2_f32_f16 v109, v5, v9, v109
	;;#ASMEND
	;;#ASMSTART
	v_dot2_f32_f16 v109, v6, v10, v109
	;;#ASMEND
	;;#ASMSTART
	v_dot2_f32_f16 v109, v7, v11, v109
	;;#ASMEND
	;;#ASMSTART
	v_dot2_f32_f16 v109, v8, v12, v109
	;;#ASMEND
	s_waitcnt lgkmcnt(14)
	;;#ASMSTART
	v_dot2_f32_f16 v110, v5, v13, v110
	;;#ASMEND
	;;#ASMSTART
	v_dot2_f32_f16 v110, v6, v14, v110
	;;#ASMEND
	;;#ASMSTART
	v_dot2_f32_f16 v110, v7, v15, v110
	;;#ASMEND
	;;#ASMSTART
	v_dot2_f32_f16 v110, v8, v16, v110
	;;#ASMEND
	;; [unrolled: 13-line block ×16, first 2 shown]
	;;#ASMSTART
	v_dot2_f32_f16 v69, v1, v9, v69
	;;#ASMEND
	;;#ASMSTART
	v_dot2_f32_f16 v69, v2, v10, v69
	;;#ASMEND
	;; [unrolled: 3-line block ×61, first 2 shown]
	v_cndmask_b32_e32 v1, v115, v121, vcc_lo
	v_cmp_gt_i32_e32 vcc_lo, 32, v122
	;;#ASMSTART
	v_dot2_f32_f16 v45, v2, v137, v45
	;;#ASMEND
	;;#ASMSTART
	v_dot2_f32_f16 v45, v3, v138, v45
	;;#ASMEND
	;; [unrolled: 3-line block ×3, first 2 shown]
	v_lshlrev_b32_e32 v16, 2, v1
	v_cndmask_b32_e32 v1, v115, v122, vcc_lo
	v_cmp_gt_i32_e32 vcc_lo, 32, v100
	v_mov_b32_e32 v78, v58
	v_lshlrev_b32_e32 v25, 2, v1
	v_cndmask_b32_e32 v1, v115, v100, vcc_lo
	v_cmp_gt_i32_e32 vcc_lo, 32, v103
	v_add_nc_u32_e32 v13, s6, v78
	v_lshlrev_b32_e32 v26, 2, v1
	v_cndmask_b32_e32 v1, v115, v103, vcc_lo
	v_cmp_gt_i32_e32 vcc_lo, 32, v86
	v_lshlrev_b32_e32 v40, 2, v1
	v_cndmask_b32_e32 v1, v115, v86, vcc_lo
	v_lshlrev_b32_e32 v41, 2, v1
	buffer_load_dword v1, off, s[44:47], 0  ; 4-byte Folded Reload
	s_waitcnt vmcnt(0)
	v_add_nc_u32_e32 v1, v13, v1
	v_ashrrev_i32_e32 v2, 31, v1
	v_lshlrev_b64 v[1:2], 1, v[1:2]
	v_add_co_u32 v1, vcc_lo, s36, v1
	v_add_co_ci_u32_e64 v2, null, s37, v2, vcc_lo
	s_clause 0x1
	global_load_ushort v3, v[1:2], off
	global_load_ushort v1, v[1:2], off offset:64
	s_waitcnt vmcnt(1)
	v_cvt_f32_f16_e32 v4, v3
	s_waitcnt vmcnt(0)
	v_cvt_f32_f16_e32 v5, v1
	v_add_f32_e32 v43, v90, v4
	v_add_f32_e32 v28, v57, v5
	;; [unrolled: 1-line block ×13, first 2 shown]
	v_max3_f32 v4, v184, v4, v5
	v_max3_f32 v1, v189, v3, v1
	v_add_f32_e32 v3, 0x40051340, v58
	ds_bpermute_b32 v5, v16, v4
	ds_bpermute_b32 v2, v16, v1
	s_waitcnt lgkmcnt(1)
	v_max_f32_e32 v5, v5, v5
	s_waitcnt lgkmcnt(0)
	v_max_f32_e32 v2, v2, v2
	v_max_f32_e32 v4, v4, v5
	v_max_f32_e32 v1, v1, v2
	ds_bpermute_b32 v5, v25, v4
	ds_bpermute_b32 v2, v25, v1
	s_waitcnt lgkmcnt(1)
	v_max_f32_e32 v5, v5, v5
	s_waitcnt lgkmcnt(0)
	v_max_f32_e32 v2, v2, v2
	v_max_f32_e32 v4, v4, v5
	v_max_f32_e32 v1, v1, v2
	ds_bpermute_b32 v5, v26, v4
	ds_bpermute_b32 v2, v26, v1
	s_waitcnt lgkmcnt(1)
	v_max_f32_e32 v5, v5, v5
	s_waitcnt lgkmcnt(0)
	v_max_f32_e32 v2, v2, v2
	v_max_f32_e32 v4, v4, v5
	v_max_f32_e32 v1, v1, v2
	ds_bpermute_b32 v5, v40, v4
	ds_bpermute_b32 v2, v40, v1
	s_waitcnt lgkmcnt(1)
	v_max_f32_e32 v5, v5, v5
	s_waitcnt lgkmcnt(0)
	v_max_f32_e32 v2, v2, v2
	v_max_f32_e32 v4, v4, v5
	v_max_f32_e32 v1, v1, v2
	ds_bpermute_b32 v5, v41, v4
	ds_bpermute_b32 v2, v41, v1
	s_waitcnt lgkmcnt(1)
	v_max_f32_e32 v5, v5, v5
	s_waitcnt lgkmcnt(0)
	v_max_f32_e32 v2, v2, v2
	v_max_f32_e32 v4, v4, v5
	buffer_load_dword v5, off, s[44:47], 0 offset:4 ; 4-byte Folded Reload
	v_max_f32_e32 v1, v1, v2
	v_add_f32_e32 v2, 0x40051340, v59
	v_sub_f32_e32 v43, v43, v4
	v_sub_f32_e32 v28, v28, v4
	v_max3_f32 v2, v188, v2, v3
	ds_bpermute_b32 v3, v16, v2
	s_waitcnt lgkmcnt(0)
	v_max_f32_e32 v3, v3, v3
	v_max_f32_e32 v2, v2, v3
	ds_bpermute_b32 v3, v25, v2
	s_waitcnt lgkmcnt(0)
	v_max_f32_e32 v3, v3, v3
	v_max_f32_e32 v2, v2, v3
	;; [unrolled: 4-line block ×5, first 2 shown]
	v_add_f32_e32 v3, 0x40051340, v42
	v_max3_f32 v3, v186, v3, v6
	ds_bpermute_b32 v6, v16, v3
	s_waitcnt lgkmcnt(0)
	v_max_f32_e32 v6, v6, v6
	v_max_f32_e32 v3, v3, v6
	ds_bpermute_b32 v6, v25, v3
	s_waitcnt lgkmcnt(0)
	v_max_f32_e32 v6, v6, v6
	v_max_f32_e32 v3, v3, v6
	ds_bpermute_b32 v6, v26, v3
	s_waitcnt lgkmcnt(0)
	v_max_f32_e32 v6, v6, v6
	v_max_f32_e32 v3, v3, v6
	ds_bpermute_b32 v6, v40, v3
	s_waitcnt lgkmcnt(0)
	v_max_f32_e32 v6, v6, v6
	v_max_f32_e32 v3, v3, v6
	ds_bpermute_b32 v6, v41, v3
	s_waitcnt lgkmcnt(0)
	v_max_f32_e32 v6, v6, v6
	v_max_f32_e32 v3, v3, v6
	v_sub_f32_e32 v42, v42, v3
	v_sub_f32_e32 v27, v27, v3
	s_waitcnt vmcnt(0)
	v_add_nc_u32_e32 v5, v13, v5
	v_ashrrev_i32_e32 v6, 31, v5
	v_lshlrev_b64 v[5:6], 1, v[5:6]
	v_add_co_u32 v5, vcc_lo, s36, v5
	v_add_co_ci_u32_e64 v6, null, s37, v6, vcc_lo
	s_clause 0x1
	global_load_ushort v7, v[5:6], off
	global_load_ushort v5, v[5:6], off offset:64
	s_waitcnt vmcnt(1)
	v_cvt_f32_f16_e32 v8, v7
	s_waitcnt vmcnt(0)
	v_cvt_f32_f16_e32 v9, v5
	v_add_f32_e32 v44, v105, v8
	v_add_f32_e32 v30, v55, v9
	;; [unrolled: 1-line block ×13, first 2 shown]
	v_max3_f32 v8, v176, v8, v9
	v_max3_f32 v5, v182, v7, v5
	v_add_f32_e32 v7, 0x40051340, v30
	ds_bpermute_b32 v9, v16, v8
	ds_bpermute_b32 v6, v16, v5
	s_waitcnt lgkmcnt(1)
	v_max_f32_e32 v9, v9, v9
	s_waitcnt lgkmcnt(0)
	v_max_f32_e32 v6, v6, v6
	v_max_f32_e32 v8, v8, v9
	v_max_f32_e32 v5, v5, v6
	ds_bpermute_b32 v9, v25, v8
	ds_bpermute_b32 v6, v25, v5
	s_waitcnt lgkmcnt(1)
	v_max_f32_e32 v9, v9, v9
	s_waitcnt lgkmcnt(0)
	v_max_f32_e32 v6, v6, v6
	v_max_f32_e32 v8, v8, v9
	v_max_f32_e32 v5, v5, v6
	;; [unrolled: 8-line block ×4, first 2 shown]
	ds_bpermute_b32 v9, v41, v8
	ds_bpermute_b32 v6, v41, v5
	s_waitcnt lgkmcnt(1)
	v_max_f32_e32 v9, v9, v9
	s_waitcnt lgkmcnt(0)
	v_max_f32_e32 v6, v6, v6
	v_max_f32_e32 v8, v8, v9
	buffer_load_dword v9, off, s[44:47], 0 offset:8 ; 4-byte Folded Reload
	v_max_f32_e32 v5, v5, v6
	v_add_f32_e32 v6, 0x40051340, v57
	v_sub_f32_e32 v55, v55, v8
	v_sub_f32_e32 v32, v32, v8
	;; [unrolled: 1-line block ×3, first 2 shown]
	v_max3_f32 v6, v180, v6, v7
	v_sub_f32_e32 v29, v29, v5
	ds_bpermute_b32 v7, v16, v6
	s_waitcnt lgkmcnt(0)
	v_max_f32_e32 v7, v7, v7
	v_max_f32_e32 v6, v6, v7
	ds_bpermute_b32 v7, v25, v6
	s_waitcnt lgkmcnt(0)
	v_max_f32_e32 v7, v7, v7
	v_max_f32_e32 v6, v6, v7
	;; [unrolled: 4-line block ×5, first 2 shown]
	v_add_f32_e32 v7, 0x40051340, v56
	v_sub_f32_e32 v30, v30, v6
	v_max3_f32 v7, v178, v7, v10
	ds_bpermute_b32 v10, v16, v7
	s_waitcnt lgkmcnt(0)
	v_max_f32_e32 v10, v10, v10
	v_max_f32_e32 v7, v7, v10
	ds_bpermute_b32 v10, v25, v7
	s_waitcnt lgkmcnt(0)
	v_max_f32_e32 v10, v10, v10
	v_max_f32_e32 v7, v7, v10
	;; [unrolled: 4-line block ×5, first 2 shown]
	v_sub_f32_e32 v31, v31, v7
	s_waitcnt vmcnt(0)
	v_add_nc_u32_e32 v9, v13, v9
	v_ashrrev_i32_e32 v10, 31, v9
	v_lshlrev_b64 v[9:10], 1, v[9:10]
	v_add_co_u32 v9, vcc_lo, s36, v9
	v_add_co_ci_u32_e64 v10, null, s37, v10, vcc_lo
	s_clause 0x1
	global_load_ushort v11, v[9:10], off
	global_load_ushort v9, v[9:10], off offset:64
	s_waitcnt vmcnt(1)
	v_cvt_f32_f16_e32 v12, v11
	s_waitcnt vmcnt(0)
	v_cvt_f32_f16_e32 v14, v9
	v_add_f32_e32 v37, v96, v12
	v_add_f32_e32 v36, v50, v14
	;; [unrolled: 1-line block ×13, first 2 shown]
	v_max3_f32 v12, v168, v12, v14
	v_max3_f32 v9, v173, v11, v9
	v_add_f32_e32 v11, 0x40051340, v34
	ds_bpermute_b32 v14, v16, v12
	ds_bpermute_b32 v10, v16, v9
	s_waitcnt lgkmcnt(1)
	v_max_f32_e32 v14, v14, v14
	s_waitcnt lgkmcnt(0)
	v_max_f32_e32 v10, v10, v10
	v_max_f32_e32 v12, v12, v14
	v_max_f32_e32 v9, v9, v10
	ds_bpermute_b32 v14, v25, v12
	ds_bpermute_b32 v10, v25, v9
	s_waitcnt lgkmcnt(1)
	v_max_f32_e32 v14, v14, v14
	s_waitcnt lgkmcnt(0)
	v_max_f32_e32 v10, v10, v10
	v_max_f32_e32 v12, v12, v14
	v_max_f32_e32 v9, v9, v10
	;; [unrolled: 8-line block ×4, first 2 shown]
	ds_bpermute_b32 v14, v41, v12
	ds_bpermute_b32 v10, v41, v9
	s_waitcnt lgkmcnt(1)
	v_max_f32_e32 v14, v14, v14
	s_waitcnt lgkmcnt(0)
	v_max_f32_e32 v10, v10, v10
	v_max_f32_e32 v12, v12, v14
	buffer_load_dword v14, off, s[44:47], 0 offset:12 ; 4-byte Folded Reload
	v_max_f32_e32 v9, v9, v10
	v_add_f32_e32 v10, 0x40051340, v39
	v_sub_f32_e32 v37, v37, v12
	v_sub_f32_e32 v36, v36, v12
	;; [unrolled: 1-line block ×3, first 2 shown]
	v_max3_f32 v10, v172, v10, v11
	ds_bpermute_b32 v11, v16, v10
	s_waitcnt lgkmcnt(0)
	v_max_f32_e32 v11, v11, v11
	v_max_f32_e32 v10, v10, v11
	ds_bpermute_b32 v11, v25, v10
	s_waitcnt lgkmcnt(0)
	v_max_f32_e32 v11, v11, v11
	v_max_f32_e32 v10, v10, v11
	;; [unrolled: 4-line block ×5, first 2 shown]
	v_add_f32_e32 v11, 0x40051340, v38
	v_sub_f32_e32 v39, v39, v10
	v_max3_f32 v11, v170, v11, v15
	v_sub_f32_e32 v34, v34, v10
	ds_bpermute_b32 v15, v16, v11
	s_waitcnt lgkmcnt(0)
	v_max_f32_e32 v15, v15, v15
	v_max_f32_e32 v11, v11, v15
	ds_bpermute_b32 v15, v25, v11
	s_waitcnt lgkmcnt(0)
	v_max_f32_e32 v15, v15, v15
	v_max_f32_e32 v11, v11, v15
	;; [unrolled: 4-line block ×5, first 2 shown]
	v_sub_f32_e32 v38, v38, v11
	v_sub_f32_e32 v35, v35, v11
	s_waitcnt vmcnt(0)
	v_add_nc_u32_e32 v13, v13, v14
	v_ashrrev_i32_e32 v14, 31, v13
	v_lshlrev_b64 v[13:14], 1, v[13:14]
	v_add_co_u32 v13, vcc_lo, s36, v13
	v_add_co_ci_u32_e64 v14, null, s37, v14, vcc_lo
	s_clause 0x1
	global_load_ushort v15, v[13:14], off
	global_load_ushort v13, v[13:14], off offset:64
	s_waitcnt vmcnt(0)
	s_barrier
	buffer_gl0_inv
	v_cvt_f32_f16_e32 v17, v15
	v_cvt_f32_f16_e32 v49, v13
	v_add_f32_e32 v24, v91, v17
	v_add_f32_e32 v23, v48, v49
	v_add_f32_e32 v22, v191, v17
	v_add_f32_e32 v21, v47, v49
	v_add_f32_e32 v20, v89, v17
	v_add_f32_e32 v15, 0x40051340, v24
	v_add_f32_e32 v13, 0x40051340, v23
	v_add_f32_e32 v19, v46, v49
	v_max3_f32 v13, v166, v15, v13
	v_add_f32_e32 v15, 0x40051340, v21
	v_add_f32_e32 v18, 0x40051340, v19
	ds_bpermute_b32 v14, v16, v13
	s_waitcnt lgkmcnt(0)
	v_max_f32_e32 v14, v14, v14
	v_max_f32_e32 v13, v13, v14
	ds_bpermute_b32 v14, v25, v13
	s_waitcnt lgkmcnt(0)
	v_max_f32_e32 v14, v14, v14
	v_max_f32_e32 v13, v13, v14
	;; [unrolled: 4-line block ×5, first 2 shown]
	v_add_f32_e32 v14, 0x40051340, v22
	v_sub_f32_e32 v24, v24, v13
	v_max3_f32 v14, v160, v14, v15
	v_sub_f32_e32 v23, v23, v13
	ds_bpermute_b32 v15, v16, v14
	s_waitcnt lgkmcnt(0)
	v_max_f32_e32 v15, v15, v15
	v_max_f32_e32 v14, v14, v15
	ds_bpermute_b32 v15, v25, v14
	s_waitcnt lgkmcnt(0)
	v_max_f32_e32 v15, v15, v15
	v_max_f32_e32 v14, v14, v15
	;; [unrolled: 4-line block ×5, first 2 shown]
	v_add_f32_e32 v15, 0x40051340, v20
	v_sub_f32_e32 v22, v22, v14
	v_max3_f32 v15, v158, v15, v18
	v_sub_f32_e32 v21, v21, v14
	ds_bpermute_b32 v18, v16, v15
	s_waitcnt lgkmcnt(0)
	v_max_f32_e32 v18, v18, v18
	v_max_f32_e32 v15, v15, v18
	ds_bpermute_b32 v18, v25, v15
	s_waitcnt lgkmcnt(0)
	v_max_f32_e32 v18, v18, v18
	v_max_f32_e32 v15, v15, v18
	;; [unrolled: 4-line block ×5, first 2 shown]
	v_add_f32_e32 v18, v190, v17
	v_add_f32_e32 v17, v45, v49
	v_sub_f32_e32 v20, v20, v15
	v_add_f32_e32 v46, 0x40051340, v18
	v_add_f32_e32 v45, 0x40051340, v17
	v_sub_f32_e32 v19, v19, v15
	v_max3_f32 v45, v156, v46, v45
	ds_bpermute_b32 v16, v16, v45
	s_waitcnt lgkmcnt(0)
	v_max_f32_e32 v16, v16, v16
	v_max_f32_e32 v16, v45, v16
	ds_bpermute_b32 v25, v25, v16
	s_waitcnt lgkmcnt(0)
	v_max_f32_e32 v25, v25, v25
	v_max_f32_e32 v16, v16, v25
	ds_bpermute_b32 v25, v26, v16
	v_sub_f32_e32 v26, v189, v1
	s_waitcnt lgkmcnt(0)
	v_max_f32_e32 v25, v25, v25
	v_max_f32_e32 v16, v16, v25
	ds_bpermute_b32 v25, v40, v16
	s_waitcnt lgkmcnt(0)
	v_max_f32_e32 v25, v25, v25
	v_max_f32_e32 v16, v16, v25
	ds_bpermute_b32 v25, v41, v16
	s_waitcnt lgkmcnt(0)
	v_max_f32_e32 v25, v25, v25
	v_max_f32_e32 v16, v16, v25
	v_sub_f32_e32 v25, v62, v1
	v_sub_f32_e32 v18, v18, v16
	v_mul_f32_e32 v40, 0x3fb8aa3b, v25
	v_cmp_ngt_f32_e32 vcc_lo, 0xc2ce8ed0, v25
	v_sub_f32_e32 v17, v17, v16
	v_fma_f32 v41, 0x3fb8aa3b, v25, -v40
	v_rndne_f32_e32 v45, v40
	v_fmac_f32_e32 v41, 0x32a5705f, v25
	v_sub_f32_e32 v40, v40, v45
	v_add_f32_e32 v40, v40, v41
	v_cvt_i32_f32_e32 v41, v45
	v_exp_f32_e32 v40, v40
	v_ldexp_f32 v40, v40, v41
	v_cndmask_b32_e32 v40, 0, v40, vcc_lo
	v_cmp_nlt_f32_e32 vcc_lo, 0x42b17218, v25
	v_cndmask_b32_e32 v25, 0x7f800000, v40, vcc_lo
	v_sub_f32_e32 v40, v60, v1
	v_cvt_f16_f32_e32 v52, v25
	v_mul_f32_e32 v41, 0x3fb8aa3b, v40
	v_cmp_ngt_f32_e32 vcc_lo, 0xc2ce8ed0, v40
	v_fma_f32 v45, 0x3fb8aa3b, v40, -v41
	v_rndne_f32_e32 v46, v41
	v_fmac_f32_e32 v45, 0x32a5705f, v40
	v_sub_f32_e32 v41, v41, v46
	v_add_f32_e32 v41, v41, v45
	v_cvt_i32_f32_e32 v45, v46
	v_exp_f32_e32 v41, v41
	v_ldexp_f32 v41, v41, v45
	v_cndmask_b32_e32 v41, 0, v41, vcc_lo
	v_cmp_nlt_f32_e32 vcc_lo, 0x42b17218, v40
	v_cndmask_b32_e32 v40, 0x7f800000, v41, vcc_lo
	v_cmp_ngt_f32_e32 vcc_lo, 0xc2ce8ed0, v26
	v_add_f32_e32 v25, v25, v40
	v_cvt_f16_f32_e32 v48, v40
	v_mul_f32_e32 v40, 0x3fb8aa3b, v26
	v_fma_f32 v41, 0x3fb8aa3b, v26, -v40
	v_rndne_f32_e32 v45, v40
	v_fmac_f32_e32 v41, 0x32a5705f, v26
	v_sub_f32_e32 v40, v40, v45
	v_add_f32_e32 v40, v40, v41
	v_cvt_i32_f32_e32 v41, v45
	v_exp_f32_e32 v40, v40
	v_ldexp_f32 v40, v40, v41
	v_sub_f32_e32 v41, v188, v2
	v_cndmask_b32_e32 v40, 0, v40, vcc_lo
	v_cmp_nlt_f32_e32 vcc_lo, 0x42b17218, v26
	v_cndmask_b32_e32 v26, 0x7f800000, v40, vcc_lo
	v_fmac_f32_e32 v25, v187, v26
	v_cvt_f16_f32_e32 v26, v26
	v_mul_u32_u24_sdwa v26, v26, v135 dst_sel:DWORD dst_unused:UNUSED_PAD src0_sel:WORD_0 src1_sel:DWORD
	v_pk_mul_f16 v40, v164, v26
	v_sub_f32_e32 v26, v59, v2
	v_mul_f32_e32 v45, 0x3fb8aa3b, v26
	v_cmp_ngt_f32_e32 vcc_lo, 0xc2ce8ed0, v26
	v_fma_f32 v46, 0x3fb8aa3b, v26, -v45
	v_rndne_f32_e32 v47, v45
	v_fmac_f32_e32 v46, 0x32a5705f, v26
	v_sub_f32_e32 v45, v45, v47
	v_add_f32_e32 v45, v45, v46
	v_cvt_i32_f32_e32 v46, v47
	v_exp_f32_e32 v45, v45
	v_ldexp_f32 v45, v45, v46
	v_cndmask_b32_e32 v45, 0, v45, vcc_lo
	v_cmp_nlt_f32_e32 vcc_lo, 0x42b17218, v26
	v_cndmask_b32_e32 v26, 0x7f800000, v45, vcc_lo
	v_sub_f32_e32 v45, v58, v2
	v_cvt_f16_f32_e32 v54, v26
	v_mul_f32_e32 v46, 0x3fb8aa3b, v45
	v_cmp_ngt_f32_e32 vcc_lo, 0xc2ce8ed0, v45
	v_fma_f32 v47, 0x3fb8aa3b, v45, -v46
	v_rndne_f32_e32 v49, v46
	v_fmac_f32_e32 v47, 0x32a5705f, v45
	v_sub_f32_e32 v46, v46, v49
	v_add_f32_e32 v46, v46, v47
	v_cvt_i32_f32_e32 v47, v49
	v_exp_f32_e32 v46, v46
	v_ldexp_f32 v46, v46, v47
	v_cndmask_b32_e32 v46, 0, v46, vcc_lo
	v_cmp_nlt_f32_e32 vcc_lo, 0x42b17218, v45
	v_cndmask_b32_e32 v45, 0x7f800000, v46, vcc_lo
	v_cmp_ngt_f32_e32 vcc_lo, 0xc2ce8ed0, v41
	v_add_f32_e32 v26, v26, v45
	v_cvt_f16_f32_e32 v49, v45
	v_mul_f32_e32 v45, 0x3fb8aa3b, v41
	v_fma_f32 v46, 0x3fb8aa3b, v41, -v45
	v_rndne_f32_e32 v47, v45
	v_fmac_f32_e32 v46, 0x32a5705f, v41
	v_sub_f32_e32 v45, v45, v47
	v_add_f32_e32 v45, v45, v46
	v_cvt_i32_f32_e32 v46, v47
	v_exp_f32_e32 v45, v45
	v_ldexp_f32 v45, v45, v46
	v_mul_f32_e32 v46, 0x3fb8aa3b, v42
	v_cndmask_b32_e32 v45, 0, v45, vcc_lo
	v_fma_f32 v47, 0x3fb8aa3b, v42, -v46
	v_rndne_f32_e32 v50, v46
	v_cmp_nlt_f32_e32 vcc_lo, 0x42b17218, v41
	v_fmac_f32_e32 v47, 0x32a5705f, v42
	v_sub_f32_e32 v46, v46, v50
	v_cndmask_b32_e32 v41, 0x7f800000, v45, vcc_lo
	v_cmp_ngt_f32_e32 vcc_lo, 0xc2ce8ed0, v42
	v_sub_f32_e32 v45, v186, v3
	v_add_f32_e32 v46, v46, v47
	v_cvt_i32_f32_e32 v47, v50
	v_fmac_f32_e32 v26, v185, v41
	v_cvt_f16_f32_e32 v41, v41
	v_exp_f32_e32 v46, v46
	v_mul_u32_u24_sdwa v41, v41, v135 dst_sel:DWORD dst_unused:UNUSED_PAD src0_sel:WORD_0 src1_sel:DWORD
	v_pk_mul_f16 v41, v163, v41
	v_ldexp_f32 v46, v46, v47
	v_cndmask_b32_e32 v46, 0, v46, vcc_lo
	v_cmp_nlt_f32_e32 vcc_lo, 0x42b17218, v42
	v_cndmask_b32_e32 v42, 0x7f800000, v46, vcc_lo
	v_mul_f32_e32 v46, 0x3fb8aa3b, v27
	v_cmp_ngt_f32_e32 vcc_lo, 0xc2ce8ed0, v27
	v_cvt_f16_f32_e32 v58, v42
	v_fma_f32 v47, 0x3fb8aa3b, v27, -v46
	v_rndne_f32_e32 v50, v46
	v_fmac_f32_e32 v47, 0x32a5705f, v27
	v_sub_f32_e32 v46, v46, v50
	v_add_f32_e32 v46, v46, v47
	v_cvt_i32_f32_e32 v47, v50
	v_exp_f32_e32 v46, v46
	v_ldexp_f32 v46, v46, v47
	v_cndmask_b32_e32 v46, 0, v46, vcc_lo
	v_cmp_nlt_f32_e32 vcc_lo, 0x42b17218, v27
	v_cndmask_b32_e32 v46, 0x7f800000, v46, vcc_lo
	v_cmp_ngt_f32_e32 vcc_lo, 0xc2ce8ed0, v45
	v_add_f32_e32 v27, v42, v46
	v_mul_f32_e32 v42, 0x3fb8aa3b, v45
	v_cvt_f16_f32_e32 v50, v46
	v_fma_f32 v46, 0x3fb8aa3b, v45, -v42
	v_rndne_f32_e32 v47, v42
	v_fmac_f32_e32 v46, 0x32a5705f, v45
	v_sub_f32_e32 v42, v42, v47
	v_add_f32_e32 v42, v42, v46
	v_cvt_i32_f32_e32 v46, v47
	v_exp_f32_e32 v42, v42
	v_ldexp_f32 v42, v42, v46
	v_mul_f32_e32 v46, 0x3fb8aa3b, v43
	v_cndmask_b32_e32 v42, 0, v42, vcc_lo
	v_fma_f32 v47, 0x3fb8aa3b, v43, -v46
	v_rndne_f32_e32 v51, v46
	v_cmp_nlt_f32_e32 vcc_lo, 0x42b17218, v45
	v_sub_f32_e32 v45, v184, v4
	v_fmac_f32_e32 v47, 0x32a5705f, v43
	v_sub_f32_e32 v46, v46, v51
	v_cndmask_b32_e32 v42, 0x7f800000, v42, vcc_lo
	v_cmp_ngt_f32_e32 vcc_lo, 0xc2ce8ed0, v43
	v_add_f32_e32 v46, v46, v47
	v_cvt_i32_f32_e32 v47, v51
	v_fmac_f32_e32 v27, v183, v42
	v_cvt_f16_f32_e32 v42, v42
	v_exp_f32_e32 v46, v46
	v_mul_u32_u24_sdwa v42, v42, v135 dst_sel:DWORD dst_unused:UNUSED_PAD src0_sel:WORD_0 src1_sel:DWORD
	v_pk_mul_f16 v42, v162, v42
	v_ldexp_f32 v46, v46, v47
	v_cndmask_b32_e32 v46, 0, v46, vcc_lo
	v_cmp_nlt_f32_e32 vcc_lo, 0x42b17218, v43
	v_cndmask_b32_e32 v43, 0x7f800000, v46, vcc_lo
	v_mul_f32_e32 v46, 0x3fb8aa3b, v28
	v_cmp_ngt_f32_e32 vcc_lo, 0xc2ce8ed0, v28
	v_cvt_f16_f32_e32 v59, v43
	v_fma_f32 v47, 0x3fb8aa3b, v28, -v46
	v_rndne_f32_e32 v51, v46
	v_fmac_f32_e32 v47, 0x32a5705f, v28
	v_sub_f32_e32 v46, v46, v51
	v_add_f32_e32 v46, v46, v47
	v_cvt_i32_f32_e32 v47, v51
	v_exp_f32_e32 v46, v46
	v_ldexp_f32 v46, v46, v47
	v_cndmask_b32_e32 v46, 0, v46, vcc_lo
	v_cmp_nlt_f32_e32 vcc_lo, 0x42b17218, v28
	v_cndmask_b32_e32 v46, 0x7f800000, v46, vcc_lo
	v_cmp_ngt_f32_e32 vcc_lo, 0xc2ce8ed0, v45
	v_add_f32_e32 v28, v43, v46
	v_mul_f32_e32 v43, 0x3fb8aa3b, v45
	v_cvt_f16_f32_e32 v51, v46
	v_fma_f32 v46, 0x3fb8aa3b, v45, -v43
	v_rndne_f32_e32 v47, v43
	v_fmac_f32_e32 v46, 0x32a5705f, v45
	v_sub_f32_e32 v43, v43, v47
	v_add_f32_e32 v43, v43, v46
	v_cvt_i32_f32_e32 v46, v47
	v_exp_f32_e32 v43, v43
	v_ldexp_f32 v43, v43, v46
	v_mul_f32_e32 v46, 0x3fb8aa3b, v44
	v_cndmask_b32_e32 v43, 0, v43, vcc_lo
	v_fma_f32 v47, 0x3fb8aa3b, v44, -v46
	v_rndne_f32_e32 v60, v46
	v_cmp_nlt_f32_e32 vcc_lo, 0x42b17218, v45
	v_sub_f32_e32 v45, v182, v5
	v_fmac_f32_e32 v47, 0x32a5705f, v44
	v_sub_f32_e32 v46, v46, v60
	v_cndmask_b32_e32 v43, 0x7f800000, v43, vcc_lo
	v_cmp_ngt_f32_e32 vcc_lo, 0xc2ce8ed0, v44
	v_add_f32_e32 v46, v46, v47
	v_cvt_i32_f32_e32 v47, v60
	v_fmac_f32_e32 v28, v181, v43
	v_cvt_f16_f32_e32 v43, v43
	v_exp_f32_e32 v46, v46
	v_mul_u32_u24_sdwa v43, v43, v135 dst_sel:DWORD dst_unused:UNUSED_PAD src0_sel:WORD_0 src1_sel:DWORD
	v_pk_mul_f16 v43, v161, v43
	v_ldexp_f32 v46, v46, v47
	v_cndmask_b32_e32 v46, 0, v46, vcc_lo
	v_cmp_nlt_f32_e32 vcc_lo, 0x42b17218, v44
	v_cndmask_b32_e32 v44, 0x7f800000, v46, vcc_lo
	v_mul_f32_e32 v46, 0x3fb8aa3b, v29
	v_cmp_ngt_f32_e32 vcc_lo, 0xc2ce8ed0, v29
	v_cvt_f16_f32_e32 v61, v44
	v_fma_f32 v47, 0x3fb8aa3b, v29, -v46
	v_rndne_f32_e32 v60, v46
	v_fmac_f32_e32 v47, 0x32a5705f, v29
	v_sub_f32_e32 v46, v46, v60
	v_add_f32_e32 v46, v46, v47
	v_cvt_i32_f32_e32 v47, v60
	v_exp_f32_e32 v46, v46
	v_ldexp_f32 v46, v46, v47
	v_cndmask_b32_e32 v46, 0, v46, vcc_lo
	v_cmp_nlt_f32_e32 vcc_lo, 0x42b17218, v29
	v_cndmask_b32_e32 v46, 0x7f800000, v46, vcc_lo
	v_cmp_ngt_f32_e32 vcc_lo, 0xc2ce8ed0, v45
	v_add_f32_e32 v29, v44, v46
	v_mul_f32_e32 v44, 0x3fb8aa3b, v45
	v_cvt_f16_f32_e32 v60, v46
	v_fma_f32 v46, 0x3fb8aa3b, v45, -v44
	v_rndne_f32_e32 v47, v44
	v_fmac_f32_e32 v46, 0x32a5705f, v45
	v_sub_f32_e32 v44, v44, v47
	v_add_f32_e32 v44, v44, v46
	v_cvt_i32_f32_e32 v46, v47
	v_exp_f32_e32 v44, v44
	v_ldexp_f32 v44, v44, v46
	v_sub_f32_e32 v46, v57, v6
	v_cndmask_b32_e32 v44, 0, v44, vcc_lo
	v_mul_f32_e32 v47, 0x3fb8aa3b, v46
	v_cmp_nlt_f32_e32 vcc_lo, 0x42b17218, v45
	v_sub_f32_e32 v45, v180, v6
	v_fma_f32 v57, 0x3fb8aa3b, v46, -v47
	v_rndne_f32_e32 v62, v47
	v_cndmask_b32_e32 v44, 0x7f800000, v44, vcc_lo
	v_cmp_ngt_f32_e32 vcc_lo, 0xc2ce8ed0, v46
	v_fmac_f32_e32 v57, 0x32a5705f, v46
	v_sub_f32_e32 v47, v47, v62
	v_fmac_f32_e32 v29, v179, v44
	v_cvt_f16_f32_e32 v44, v44
	v_add_f32_e32 v47, v47, v57
	v_cvt_i32_f32_e32 v57, v62
	v_mul_u32_u24_sdwa v44, v44, v135 dst_sel:DWORD dst_unused:UNUSED_PAD src0_sel:WORD_0 src1_sel:DWORD
	v_exp_f32_e32 v47, v47
	v_pk_mul_f16 v44, v154, v44
	v_ldexp_f32 v47, v47, v57
	v_cndmask_b32_e32 v47, 0, v47, vcc_lo
	v_cmp_nlt_f32_e32 vcc_lo, 0x42b17218, v46
	v_cndmask_b32_e32 v46, 0x7f800000, v47, vcc_lo
	v_mul_f32_e32 v47, 0x3fb8aa3b, v30
	v_cmp_ngt_f32_e32 vcc_lo, 0xc2ce8ed0, v30
	v_cvt_f16_f32_e32 v62, v46
	v_fma_f32 v57, 0x3fb8aa3b, v30, -v47
	v_rndne_f32_e32 v63, v47
	v_fmac_f32_e32 v57, 0x32a5705f, v30
	v_sub_f32_e32 v47, v47, v63
	v_add_f32_e32 v47, v47, v57
	v_cvt_i32_f32_e32 v57, v63
	v_exp_f32_e32 v47, v47
	v_ldexp_f32 v47, v47, v57
	v_cndmask_b32_e32 v47, 0, v47, vcc_lo
	v_cmp_nlt_f32_e32 vcc_lo, 0x42b17218, v30
	v_cndmask_b32_e32 v47, 0x7f800000, v47, vcc_lo
	v_cmp_ngt_f32_e32 vcc_lo, 0xc2ce8ed0, v45
	v_add_f32_e32 v30, v46, v47
	v_mul_f32_e32 v46, 0x3fb8aa3b, v45
	v_cvt_f16_f32_e32 v57, v47
	v_fma_f32 v47, 0x3fb8aa3b, v45, -v46
	v_rndne_f32_e32 v63, v46
	v_pack_b32_f16 v57, v60, v57
	v_fmac_f32_e32 v47, 0x32a5705f, v45
	v_sub_f32_e32 v46, v46, v63
	v_add_f32_e32 v46, v46, v47
	v_cvt_i32_f32_e32 v47, v63
	v_exp_f32_e32 v46, v46
	v_ldexp_f32 v46, v46, v47
	v_sub_f32_e32 v47, v56, v7
	v_cndmask_b32_e32 v46, 0, v46, vcc_lo
	v_mul_f32_e32 v56, 0x3fb8aa3b, v47
	v_cmp_nlt_f32_e32 vcc_lo, 0x42b17218, v45
	v_fma_f32 v63, 0x3fb8aa3b, v47, -v56
	v_rndne_f32_e32 v64, v56
	v_cndmask_b32_e32 v45, 0x7f800000, v46, vcc_lo
	v_cmp_ngt_f32_e32 vcc_lo, 0xc2ce8ed0, v47
	v_sub_f32_e32 v46, v178, v7
	v_fmac_f32_e32 v63, 0x32a5705f, v47
	v_sub_f32_e32 v56, v56, v64
	v_fmac_f32_e32 v30, v177, v45
	v_cvt_f16_f32_e32 v45, v45
	v_add_f32_e32 v56, v56, v63
	v_cvt_i32_f32_e32 v63, v64
	v_mul_u32_u24_sdwa v45, v45, v135 dst_sel:DWORD dst_unused:UNUSED_PAD src0_sel:WORD_0 src1_sel:DWORD
	v_exp_f32_e32 v56, v56
	v_pk_mul_f16 v45, v153, v45
	v_ldexp_f32 v56, v56, v63
	v_cndmask_b32_e32 v56, 0, v56, vcc_lo
	v_cmp_nlt_f32_e32 vcc_lo, 0x42b17218, v47
	v_cndmask_b32_e32 v47, 0x7f800000, v56, vcc_lo
	v_mul_f32_e32 v56, 0x3fb8aa3b, v31
	v_cmp_ngt_f32_e32 vcc_lo, 0xc2ce8ed0, v31
	v_cvt_f16_f32_e32 v63, v47
	v_fma_f32 v64, 0x3fb8aa3b, v31, -v56
	v_rndne_f32_e32 v65, v56
	v_fmac_f32_e32 v64, 0x32a5705f, v31
	v_sub_f32_e32 v56, v56, v65
	v_add_f32_e32 v56, v56, v64
	v_cvt_i32_f32_e32 v64, v65
	v_exp_f32_e32 v56, v56
	v_ldexp_f32 v56, v56, v64
	v_cndmask_b32_e32 v56, 0, v56, vcc_lo
	v_cmp_nlt_f32_e32 vcc_lo, 0x42b17218, v31
	v_cndmask_b32_e32 v56, 0x7f800000, v56, vcc_lo
	v_cmp_ngt_f32_e32 vcc_lo, 0xc2ce8ed0, v46
	v_add_f32_e32 v31, v47, v56
	v_mul_f32_e32 v47, 0x3fb8aa3b, v46
	v_cvt_f16_f32_e32 v56, v56
	v_fma_f32 v64, 0x3fb8aa3b, v46, -v47
	v_rndne_f32_e32 v65, v47
	v_fmac_f32_e32 v64, 0x32a5705f, v46
	v_sub_f32_e32 v47, v47, v65
	v_add_f32_e32 v47, v47, v64
	v_cvt_i32_f32_e32 v64, v65
	v_exp_f32_e32 v47, v47
	v_ldexp_f32 v47, v47, v64
	v_mul_f32_e32 v64, 0x3fb8aa3b, v55
	v_cndmask_b32_e32 v47, 0, v47, vcc_lo
	v_fma_f32 v65, 0x3fb8aa3b, v55, -v64
	v_rndne_f32_e32 v66, v64
	v_cmp_nlt_f32_e32 vcc_lo, 0x42b17218, v46
	v_fmac_f32_e32 v65, 0x32a5705f, v55
	v_sub_f32_e32 v64, v64, v66
	v_cndmask_b32_e32 v46, 0x7f800000, v47, vcc_lo
	v_cmp_ngt_f32_e32 vcc_lo, 0xc2ce8ed0, v55
	v_sub_f32_e32 v47, v176, v8
	v_add_f32_e32 v64, v64, v65
	v_cvt_i32_f32_e32 v65, v66
	v_fmac_f32_e32 v31, v175, v46
	v_cvt_f16_f32_e32 v46, v46
	v_exp_f32_e32 v64, v64
	v_mul_u32_u24_sdwa v46, v46, v135 dst_sel:DWORD dst_unused:UNUSED_PAD src0_sel:WORD_0 src1_sel:DWORD
	v_pk_mul_f16 v46, v152, v46
	v_ldexp_f32 v64, v64, v65
	v_mul_f32_e32 v65, 0x3fb8aa3b, v32
	v_cndmask_b32_e32 v64, 0, v64, vcc_lo
	v_fma_f32 v66, 0x3fb8aa3b, v32, -v65
	v_rndne_f32_e32 v67, v65
	v_cmp_nlt_f32_e32 vcc_lo, 0x42b17218, v55
	v_fmac_f32_e32 v66, 0x32a5705f, v32
	v_sub_f32_e32 v65, v65, v67
	v_cndmask_b32_e32 v55, 0x7f800000, v64, vcc_lo
	v_cmp_ngt_f32_e32 vcc_lo, 0xc2ce8ed0, v32
	v_add_f32_e32 v65, v65, v66
	v_cvt_i32_f32_e32 v66, v67
	v_cvt_f16_f32_e32 v64, v55
	v_exp_f32_e32 v65, v65
	v_pack_b32_f16 v64, v63, v64
	v_pack_b32_f16 v63, v61, v62
	;; [unrolled: 1-line block ×4, first 2 shown]
	v_ldexp_f32 v65, v65, v66
	ds_write_b128 v134, v[61:64]
	v_cndmask_b32_e32 v65, 0, v65, vcc_lo
	v_cmp_nlt_f32_e32 vcc_lo, 0x42b17218, v32
	v_cndmask_b32_e32 v65, 0x7f800000, v65, vcc_lo
	v_cmp_ngt_f32_e32 vcc_lo, 0xc2ce8ed0, v47
	v_add_f32_e32 v32, v55, v65
	v_cvt_f16_f32_e32 v55, v65
	v_mul_f32_e32 v65, 0x3fb8aa3b, v47
	v_pack_b32_f16 v58, v56, v55
	v_fma_f32 v66, 0x3fb8aa3b, v47, -v65
	v_rndne_f32_e32 v67, v65
	v_pack_b32_f16 v55, v48, v49
	v_sub_f32_e32 v49, v53, v9
	v_pack_b32_f16 v56, v50, v51
	v_fmac_f32_e32 v66, 0x32a5705f, v47
	v_sub_f32_e32 v65, v65, v67
	v_sub_f32_e32 v48, v173, v9
	v_mul_f32_e32 v50, 0x3fb8aa3b, v49
	ds_write_b128 v134, v[55:58] offset:512
	v_add_f32_e32 v65, v65, v66
	v_cvt_i32_f32_e32 v66, v67
	v_fma_f32 v51, 0x3fb8aa3b, v49, -v50
	v_rndne_f32_e32 v52, v50
	v_exp_f32_e32 v65, v65
	v_fmac_f32_e32 v51, 0x32a5705f, v49
	v_sub_f32_e32 v50, v50, v52
	v_add_f32_e32 v50, v50, v51
	v_cvt_i32_f32_e32 v51, v52
	v_ldexp_f32 v65, v65, v66
	v_exp_f32_e32 v50, v50
	v_cndmask_b32_e32 v65, 0, v65, vcc_lo
	v_cmp_nlt_f32_e32 vcc_lo, 0x42b17218, v47
	v_cndmask_b32_e32 v47, 0x7f800000, v65, vcc_lo
	v_cmp_ngt_f32_e32 vcc_lo, 0xc2ce8ed0, v49
	v_ldexp_f32 v50, v50, v51
	v_fmac_f32_e32 v32, v174, v47
	v_cvt_f16_f32_e32 v47, v47
	v_cndmask_b32_e32 v50, 0, v50, vcc_lo
	v_cmp_nlt_f32_e32 vcc_lo, 0x42b17218, v49
	v_mul_u32_u24_sdwa v47, v47, v135 dst_sel:DWORD dst_unused:UNUSED_PAD src0_sel:WORD_0 src1_sel:DWORD
	v_cndmask_b32_e32 v49, 0x7f800000, v50, vcc_lo
	v_mul_f32_e32 v50, 0x3fb8aa3b, v33
	v_cmp_ngt_f32_e32 vcc_lo, 0xc2ce8ed0, v33
	v_pk_mul_f16 v47, v151, v47
	v_cvt_f16_f32_e32 v60, v49
	v_fma_f32 v51, 0x3fb8aa3b, v33, -v50
	v_rndne_f32_e32 v52, v50
	v_fmac_f32_e32 v51, 0x32a5705f, v33
	v_sub_f32_e32 v50, v50, v52
	v_add_f32_e32 v50, v50, v51
	v_cvt_i32_f32_e32 v51, v52
	v_exp_f32_e32 v50, v50
	v_ldexp_f32 v50, v50, v51
	v_cndmask_b32_e32 v50, 0, v50, vcc_lo
	v_cmp_nlt_f32_e32 vcc_lo, 0x42b17218, v33
	v_cndmask_b32_e32 v50, 0x7f800000, v50, vcc_lo
	v_cmp_ngt_f32_e32 vcc_lo, 0xc2ce8ed0, v48
	v_add_f32_e32 v33, v49, v50
	v_mul_f32_e32 v49, 0x3fb8aa3b, v48
	v_cvt_f16_f32_e32 v56, v50
	v_fma_f32 v50, 0x3fb8aa3b, v48, -v49
	v_rndne_f32_e32 v51, v49
	v_fmac_f32_e32 v50, 0x32a5705f, v48
	v_sub_f32_e32 v49, v49, v51
	v_add_f32_e32 v49, v49, v50
	v_cvt_i32_f32_e32 v50, v51
	v_exp_f32_e32 v49, v49
	v_ldexp_f32 v49, v49, v50
	v_mul_f32_e32 v50, 0x3fb8aa3b, v39
	v_cndmask_b32_e32 v49, 0, v49, vcc_lo
	v_fma_f32 v51, 0x3fb8aa3b, v39, -v50
	v_rndne_f32_e32 v52, v50
	v_cmp_nlt_f32_e32 vcc_lo, 0x42b17218, v48
	v_fmac_f32_e32 v51, 0x32a5705f, v39
	v_sub_f32_e32 v50, v50, v52
	v_cndmask_b32_e32 v48, 0x7f800000, v49, vcc_lo
	v_cmp_ngt_f32_e32 vcc_lo, 0xc2ce8ed0, v39
	v_sub_f32_e32 v49, v172, v10
	v_add_f32_e32 v50, v50, v51
	v_cvt_i32_f32_e32 v51, v52
	v_fmac_f32_e32 v33, v171, v48
	v_cvt_f16_f32_e32 v48, v48
	v_exp_f32_e32 v50, v50
	v_mul_u32_u24_sdwa v48, v48, v135 dst_sel:DWORD dst_unused:UNUSED_PAD src0_sel:WORD_0 src1_sel:DWORD
	v_pk_mul_f16 v48, v150, v48
	v_ldexp_f32 v50, v50, v51
	v_cndmask_b32_e32 v50, 0, v50, vcc_lo
	v_cmp_nlt_f32_e32 vcc_lo, 0x42b17218, v39
	v_cndmask_b32_e32 v39, 0x7f800000, v50, vcc_lo
	v_mul_f32_e32 v50, 0x3fb8aa3b, v34
	v_cmp_ngt_f32_e32 vcc_lo, 0xc2ce8ed0, v34
	v_cvt_f16_f32_e32 v61, v39
	v_fma_f32 v51, 0x3fb8aa3b, v34, -v50
	v_rndne_f32_e32 v52, v50
	v_fmac_f32_e32 v51, 0x32a5705f, v34
	v_sub_f32_e32 v50, v50, v52
	v_add_f32_e32 v50, v50, v51
	v_cvt_i32_f32_e32 v51, v52
	v_exp_f32_e32 v50, v50
	v_ldexp_f32 v50, v50, v51
	v_cndmask_b32_e32 v50, 0, v50, vcc_lo
	v_cmp_nlt_f32_e32 vcc_lo, 0x42b17218, v34
	v_cndmask_b32_e32 v50, 0x7f800000, v50, vcc_lo
	v_cmp_ngt_f32_e32 vcc_lo, 0xc2ce8ed0, v49
	v_add_f32_e32 v34, v39, v50
	v_mul_f32_e32 v39, 0x3fb8aa3b, v49
	v_cvt_f16_f32_e32 v57, v50
	v_fma_f32 v50, 0x3fb8aa3b, v49, -v39
	v_rndne_f32_e32 v51, v39
	v_fmac_f32_e32 v50, 0x32a5705f, v49
	v_sub_f32_e32 v39, v39, v51
	v_add_f32_e32 v39, v39, v50
	v_cvt_i32_f32_e32 v50, v51
	v_exp_f32_e32 v39, v39
	v_ldexp_f32 v39, v39, v50
	v_mul_f32_e32 v50, 0x3fb8aa3b, v38
	v_cndmask_b32_e32 v39, 0, v39, vcc_lo
	v_fma_f32 v51, 0x3fb8aa3b, v38, -v50
	v_rndne_f32_e32 v52, v50
	v_cmp_nlt_f32_e32 vcc_lo, 0x42b17218, v49
	v_fmac_f32_e32 v51, 0x32a5705f, v38
	v_sub_f32_e32 v50, v50, v52
	v_cndmask_b32_e32 v39, 0x7f800000, v39, vcc_lo
	v_cmp_ngt_f32_e32 vcc_lo, 0xc2ce8ed0, v38
	v_add_f32_e32 v50, v50, v51
	v_cvt_i32_f32_e32 v51, v52
	v_fmac_f32_e32 v34, v169, v39
	v_cvt_f16_f32_e32 v39, v39
	v_exp_f32_e32 v50, v50
	v_mul_u32_u24_sdwa v39, v39, v135 dst_sel:DWORD dst_unused:UNUSED_PAD src0_sel:WORD_0 src1_sel:DWORD
	v_pk_mul_f16 v49, v149, v39
	v_sub_f32_e32 v39, v170, v11
	v_ldexp_f32 v50, v50, v51
	v_cndmask_b32_e32 v50, 0, v50, vcc_lo
	v_cmp_nlt_f32_e32 vcc_lo, 0x42b17218, v38
	v_cndmask_b32_e32 v38, 0x7f800000, v50, vcc_lo
	v_mul_f32_e32 v50, 0x3fb8aa3b, v35
	v_cmp_ngt_f32_e32 vcc_lo, 0xc2ce8ed0, v35
	v_cvt_f16_f32_e32 v62, v38
	v_fma_f32 v51, 0x3fb8aa3b, v35, -v50
	v_rndne_f32_e32 v52, v50
	v_fmac_f32_e32 v51, 0x32a5705f, v35
	v_sub_f32_e32 v50, v50, v52
	v_add_f32_e32 v50, v50, v51
	v_cvt_i32_f32_e32 v51, v52
	v_exp_f32_e32 v50, v50
	v_ldexp_f32 v50, v50, v51
	v_cndmask_b32_e32 v50, 0, v50, vcc_lo
	v_cmp_nlt_f32_e32 vcc_lo, 0x42b17218, v35
	v_cndmask_b32_e32 v50, 0x7f800000, v50, vcc_lo
	v_cmp_ngt_f32_e32 vcc_lo, 0xc2ce8ed0, v39
	v_add_f32_e32 v35, v38, v50
	v_mul_f32_e32 v38, 0x3fb8aa3b, v39
	v_cvt_f16_f32_e32 v58, v50
	v_fma_f32 v50, 0x3fb8aa3b, v39, -v38
	v_rndne_f32_e32 v51, v38
	v_fmac_f32_e32 v50, 0x32a5705f, v39
	v_sub_f32_e32 v38, v38, v51
	v_add_f32_e32 v38, v38, v50
	v_cvt_i32_f32_e32 v50, v51
	v_exp_f32_e32 v38, v38
	v_ldexp_f32 v38, v38, v50
	v_cndmask_b32_e32 v38, 0, v38, vcc_lo
	v_cmp_nlt_f32_e32 vcc_lo, 0x42b17218, v39
	v_mul_f32_e32 v39, 0x3fb8aa3b, v37
	v_cndmask_b32_e32 v38, 0x7f800000, v38, vcc_lo
	v_fma_f32 v51, 0x3fb8aa3b, v37, -v39
	v_rndne_f32_e32 v52, v39
	v_cmp_ngt_f32_e32 vcc_lo, 0xc2ce8ed0, v37
	v_fmac_f32_e32 v35, v167, v38
	v_fmac_f32_e32 v51, 0x32a5705f, v37
	v_sub_f32_e32 v39, v39, v52
	v_cvt_f16_f32_e32 v38, v38
	v_add_f32_e32 v39, v39, v51
	v_cvt_i32_f32_e32 v51, v52
	v_mul_u32_u24_sdwa v38, v38, v135 dst_sel:DWORD dst_unused:UNUSED_PAD src0_sel:WORD_0 src1_sel:DWORD
	v_exp_f32_e32 v39, v39
	v_pk_mul_f16 v50, v148, v38
	v_sub_f32_e32 v38, v168, v12
	v_ldexp_f32 v39, v39, v51
	v_cndmask_b32_e32 v39, 0, v39, vcc_lo
	v_cmp_nlt_f32_e32 vcc_lo, 0x42b17218, v37
	v_cndmask_b32_e32 v37, 0x7f800000, v39, vcc_lo
	v_mul_f32_e32 v39, 0x3fb8aa3b, v36
	v_cmp_ngt_f32_e32 vcc_lo, 0xc2ce8ed0, v36
	v_cvt_f16_f32_e32 v63, v37
	v_fma_f32 v51, 0x3fb8aa3b, v36, -v39
	v_rndne_f32_e32 v52, v39
	v_pack_b32_f16 v63, v62, v63
	v_fmac_f32_e32 v51, 0x32a5705f, v36
	v_sub_f32_e32 v39, v39, v52
	v_pack_b32_f16 v62, v60, v61
	v_add_f32_e32 v39, v39, v51
	v_cvt_i32_f32_e32 v51, v52
	v_exp_f32_e32 v39, v39
	v_ldexp_f32 v39, v39, v51
	v_cndmask_b32_e32 v39, 0, v39, vcc_lo
	v_cmp_nlt_f32_e32 vcc_lo, 0x42b17218, v36
	v_cndmask_b32_e32 v39, 0x7f800000, v39, vcc_lo
	v_cmp_ngt_f32_e32 vcc_lo, 0xc2ce8ed0, v38
	v_add_f32_e32 v36, v37, v39
	v_mul_f32_e32 v37, 0x3fb8aa3b, v38
	v_cvt_f16_f32_e32 v59, v39
	v_fma_f32 v39, 0x3fb8aa3b, v38, -v37
	v_rndne_f32_e32 v51, v37
	v_fmac_f32_e32 v39, 0x32a5705f, v38
	v_sub_f32_e32 v37, v37, v51
	v_add_f32_e32 v37, v37, v39
	v_cvt_i32_f32_e32 v39, v51
	v_exp_f32_e32 v37, v37
	v_ldexp_f32 v37, v37, v39
	v_cndmask_b32_e32 v37, 0, v37, vcc_lo
	v_cmp_nlt_f32_e32 vcc_lo, 0x42b17218, v38
	v_sub_f32_e32 v38, v166, v13
	v_cndmask_b32_e32 v37, 0x7f800000, v37, vcc_lo
	v_cmp_ngt_f32_e32 vcc_lo, 0xc2ce8ed0, v24
	v_fmac_f32_e32 v36, v165, v37
	v_cvt_f16_f32_e32 v37, v37
	v_mul_u32_u24_sdwa v37, v37, v135 dst_sel:DWORD dst_unused:UNUSED_PAD src0_sel:WORD_0 src1_sel:DWORD
	v_pk_mul_f16 v51, v147, v37
	v_mul_f32_e32 v37, 0x3fb8aa3b, v24
	v_fma_f32 v39, 0x3fb8aa3b, v24, -v37
	v_rndne_f32_e32 v52, v37
	v_fmac_f32_e32 v39, 0x32a5705f, v24
	v_sub_f32_e32 v37, v37, v52
	v_add_f32_e32 v37, v37, v39
	v_cvt_i32_f32_e32 v39, v52
	v_exp_f32_e32 v37, v37
	v_ldexp_f32 v37, v37, v39
	v_mul_f32_e32 v39, 0x3fb8aa3b, v23
	v_cndmask_b32_e32 v37, 0, v37, vcc_lo
	v_fma_f32 v52, 0x3fb8aa3b, v23, -v39
	v_rndne_f32_e32 v53, v39
	v_cmp_nlt_f32_e32 vcc_lo, 0x42b17218, v24
	v_fmac_f32_e32 v52, 0x32a5705f, v23
	v_sub_f32_e32 v39, v39, v53
	v_cndmask_b32_e32 v37, 0x7f800000, v37, vcc_lo
	v_cmp_ngt_f32_e32 vcc_lo, 0xc2ce8ed0, v23
	v_add_f32_e32 v39, v39, v52
	v_cvt_i32_f32_e32 v52, v53
	v_cvt_f16_f32_e32 v24, v37
	v_exp_f32_e32 v39, v39
	v_ldexp_f32 v39, v39, v52
	v_cndmask_b32_e32 v39, 0, v39, vcc_lo
	v_cmp_nlt_f32_e32 vcc_lo, 0x42b17218, v23
	v_cndmask_b32_e32 v23, 0x7f800000, v39, vcc_lo
	v_mul_f32_e32 v39, 0x3fb8aa3b, v38
	v_cmp_ngt_f32_e32 vcc_lo, 0xc2ce8ed0, v38
	v_add_f32_e32 v37, v37, v23
	v_fma_f32 v52, 0x3fb8aa3b, v38, -v39
	v_rndne_f32_e32 v53, v39
	v_cvt_f16_f32_e32 v23, v23
	v_fmac_f32_e32 v52, 0x32a5705f, v38
	v_sub_f32_e32 v39, v39, v53
	v_add_f32_e32 v39, v39, v52
	v_cvt_i32_f32_e32 v52, v53
	v_exp_f32_e32 v39, v39
	v_ldexp_f32 v39, v39, v52
	v_cndmask_b32_e32 v39, 0, v39, vcc_lo
	v_cmp_nlt_f32_e32 vcc_lo, 0x42b17218, v38
	v_cndmask_b32_e32 v38, 0x7f800000, v39, vcc_lo
	v_cmp_ngt_f32_e32 vcc_lo, 0xc2ce8ed0, v22
	v_sub_f32_e32 v39, v160, v14
	v_fmac_f32_e32 v37, v159, v38
	v_cvt_f16_f32_e32 v38, v38
	v_mul_u32_u24_sdwa v38, v38, v135 dst_sel:DWORD dst_unused:UNUSED_PAD src0_sel:WORD_0 src1_sel:DWORD
	v_pk_mul_f16 v52, v146, v38
	v_mul_f32_e32 v38, 0x3fb8aa3b, v22
	v_fma_f32 v53, 0x3fb8aa3b, v22, -v38
	v_rndne_f32_e32 v54, v38
	v_fmac_f32_e32 v53, 0x32a5705f, v22
	v_sub_f32_e32 v38, v38, v54
	v_add_f32_e32 v38, v38, v53
	v_cvt_i32_f32_e32 v53, v54
	v_exp_f32_e32 v38, v38
	v_ldexp_f32 v38, v38, v53
	v_mul_f32_e32 v53, 0x3fb8aa3b, v21
	v_cndmask_b32_e32 v38, 0, v38, vcc_lo
	v_fma_f32 v54, 0x3fb8aa3b, v21, -v53
	v_rndne_f32_e32 v55, v53
	v_cmp_nlt_f32_e32 vcc_lo, 0x42b17218, v22
	v_fmac_f32_e32 v54, 0x32a5705f, v21
	v_sub_f32_e32 v53, v53, v55
	v_cndmask_b32_e32 v38, 0x7f800000, v38, vcc_lo
	v_cmp_ngt_f32_e32 vcc_lo, 0xc2ce8ed0, v21
	v_add_f32_e32 v53, v53, v54
	v_cvt_i32_f32_e32 v54, v55
	v_cvt_f16_f32_e32 v22, v38
	v_exp_f32_e32 v53, v53
	v_ldexp_f32 v53, v53, v54
	v_cndmask_b32_e32 v53, 0, v53, vcc_lo
	v_cmp_nlt_f32_e32 vcc_lo, 0x42b17218, v21
	v_cndmask_b32_e32 v21, 0x7f800000, v53, vcc_lo
	v_mul_f32_e32 v53, 0x3fb8aa3b, v39
	v_cmp_ngt_f32_e32 vcc_lo, 0xc2ce8ed0, v39
	v_add_f32_e32 v38, v38, v21
	v_fma_f32 v54, 0x3fb8aa3b, v39, -v53
	v_rndne_f32_e32 v55, v53
	v_cvt_f16_f32_e32 v21, v21
	v_fmac_f32_e32 v54, 0x32a5705f, v39
	v_sub_f32_e32 v53, v53, v55
	v_add_f32_e32 v53, v53, v54
	v_cvt_i32_f32_e32 v54, v55
	v_exp_f32_e32 v53, v53
	v_ldexp_f32 v53, v53, v54
	v_sub_f32_e32 v54, v158, v15
	v_cndmask_b32_e32 v53, 0, v53, vcc_lo
	v_cmp_nlt_f32_e32 vcc_lo, 0x42b17218, v39
	v_cndmask_b32_e32 v39, 0x7f800000, v53, vcc_lo
	v_cmp_ngt_f32_e32 vcc_lo, 0xc2ce8ed0, v20
	v_fmac_f32_e32 v38, v157, v39
	v_cvt_f16_f32_e32 v39, v39
	v_mul_u32_u24_sdwa v39, v39, v135 dst_sel:DWORD dst_unused:UNUSED_PAD src0_sel:WORD_0 src1_sel:DWORD
	v_pk_mul_f16 v53, v145, v39
	v_mul_f32_e32 v39, 0x3fb8aa3b, v20
	v_fma_f32 v55, 0x3fb8aa3b, v20, -v39
	v_rndne_f32_e32 v64, v39
	v_fmac_f32_e32 v55, 0x32a5705f, v20
	v_sub_f32_e32 v39, v39, v64
	v_add_f32_e32 v39, v39, v55
	v_cvt_i32_f32_e32 v55, v64
	v_exp_f32_e32 v39, v39
	v_ldexp_f32 v39, v39, v55
	v_mul_f32_e32 v55, 0x3fb8aa3b, v19
	v_cndmask_b32_e32 v39, 0, v39, vcc_lo
	v_fma_f32 v64, 0x3fb8aa3b, v19, -v55
	v_rndne_f32_e32 v65, v55
	v_cmp_nlt_f32_e32 vcc_lo, 0x42b17218, v20
	v_fmac_f32_e32 v64, 0x32a5705f, v19
	v_sub_f32_e32 v55, v55, v65
	v_cndmask_b32_e32 v39, 0x7f800000, v39, vcc_lo
	v_cmp_ngt_f32_e32 vcc_lo, 0xc2ce8ed0, v19
	v_add_f32_e32 v55, v55, v64
	v_cvt_i32_f32_e32 v64, v65
	v_cvt_f16_f32_e32 v20, v39
	v_exp_f32_e32 v55, v55
	v_ldexp_f32 v55, v55, v64
	v_cndmask_b32_e32 v55, 0, v55, vcc_lo
	v_cmp_nlt_f32_e32 vcc_lo, 0x42b17218, v19
	v_cndmask_b32_e32 v19, 0x7f800000, v55, vcc_lo
	v_mul_f32_e32 v55, 0x3fb8aa3b, v54
	v_cmp_ngt_f32_e32 vcc_lo, 0xc2ce8ed0, v54
	v_add_f32_e32 v39, v39, v19
	v_fma_f32 v64, 0x3fb8aa3b, v54, -v55
	v_rndne_f32_e32 v65, v55
	v_cvt_f16_f32_e32 v19, v19
	v_fmac_f32_e32 v64, 0x32a5705f, v54
	v_sub_f32_e32 v55, v55, v65
	v_add_f32_e32 v55, v55, v64
	v_cvt_i32_f32_e32 v64, v65
	v_exp_f32_e32 v55, v55
	v_ldexp_f32 v55, v55, v64
	v_mul_f32_e32 v64, 0x3fb8aa3b, v18
	v_cndmask_b32_e32 v55, 0, v55, vcc_lo
	v_fma_f32 v65, 0x3fb8aa3b, v18, -v64
	v_rndne_f32_e32 v66, v64
	v_cmp_nlt_f32_e32 vcc_lo, 0x42b17218, v54
	v_fmac_f32_e32 v65, 0x32a5705f, v18
	v_sub_f32_e32 v64, v64, v66
	v_cndmask_b32_e32 v54, 0x7f800000, v55, vcc_lo
	v_cmp_ngt_f32_e32 vcc_lo, 0xc2ce8ed0, v18
	v_sub_f32_e32 v55, v156, v16
	v_add_f32_e32 v64, v64, v65
	v_cvt_i32_f32_e32 v65, v66
	v_fmac_f32_e32 v39, v155, v54
	v_cvt_f16_f32_e32 v54, v54
	v_exp_f32_e32 v64, v64
	v_mul_u32_u24_sdwa v54, v54, v135 dst_sel:DWORD dst_unused:UNUSED_PAD src0_sel:WORD_0 src1_sel:DWORD
	v_pk_mul_f16 v54, v144, v54
	v_ldexp_f32 v64, v64, v65
	v_mul_f32_e32 v65, 0x3fb8aa3b, v17
	v_cndmask_b32_e32 v64, 0, v64, vcc_lo
	v_fma_f32 v66, 0x3fb8aa3b, v17, -v65
	v_rndne_f32_e32 v67, v65
	v_cmp_nlt_f32_e32 vcc_lo, 0x42b17218, v18
	v_fmac_f32_e32 v66, 0x32a5705f, v17
	v_sub_f32_e32 v65, v65, v67
	v_cndmask_b32_e32 v18, 0x7f800000, v64, vcc_lo
	v_cmp_ngt_f32_e32 vcc_lo, 0xc2ce8ed0, v17
	v_add_f32_e32 v65, v65, v66
	v_cvt_i32_f32_e32 v66, v67
	v_cvt_f16_f32_e32 v64, v18
	v_exp_f32_e32 v65, v65
	v_ldexp_f32 v65, v65, v66
	v_cndmask_b32_e32 v65, 0, v65, vcc_lo
	v_cmp_nlt_f32_e32 vcc_lo, 0x42b17218, v17
	v_cndmask_b32_e32 v17, 0x7f800000, v65, vcc_lo
	v_mul_f32_e32 v65, 0x3fb8aa3b, v55
	v_cmp_ngt_f32_e32 vcc_lo, 0xc2ce8ed0, v55
	v_add_f32_e32 v18, v18, v17
	v_fma_f32 v66, 0x3fb8aa3b, v55, -v65
	v_rndne_f32_e32 v67, v65
	v_cvt_f16_f32_e32 v17, v17
	v_fmac_f32_e32 v66, 0x32a5705f, v55
	v_sub_f32_e32 v65, v65, v67
	v_add_f32_e32 v65, v65, v66
	v_cvt_i32_f32_e32 v66, v67
	v_exp_f32_e32 v65, v65
	v_ldexp_f32 v65, v65, v66
	v_cndmask_b32_e32 v65, 0, v65, vcc_lo
	v_cmp_nlt_f32_e32 vcc_lo, 0x42b17218, v55
	v_cndmask_b32_e32 v55, 0x7f800000, v65, vcc_lo
	v_mov_b32_e32 v65, v116
	v_mov_b32_e32 v116, v18
	v_cvt_f16_f32_e32 v18, v55
	v_fmac_f32_e32 v116, v65, v55
	v_pack_b32_f16 v65, v20, v64
	v_pack_b32_f16 v20, v19, v17
	v_mul_u32_u24_sdwa v18, v18, v135 dst_sel:DWORD dst_unused:UNUSED_PAD src0_sel:WORD_0 src1_sel:DWORD
	v_pack_b32_f16 v19, v23, v21
	v_pack_b32_f16 v17, v56, v57
	;; [unrolled: 1-line block ×3, first 2 shown]
	v_pk_mul_f16 v55, v143, v18
	v_pack_b32_f16 v18, v58, v59
	ds_write_b128 v134, v[62:65] offset:1024
	ds_write_b128 v134, v[17:20] offset:1536
	v_add_co_u32 v17, vcc_lo, s15, v111
	v_add_co_ci_u32_e64 v18, null, s18, v112, vcc_lo
	v_add_co_u32 v17, vcc_lo, v17, v133
	v_add_co_ci_u32_e64 v18, null, 0, v18, vcc_lo
	;; [unrolled: 2-line block ×8, first 2 shown]
	global_load_dwordx4 v[17:20], v[17:18], off
	s_waitcnt vmcnt(0)
	ds_write_b128 v131, v[17:20]
	global_load_dwordx4 v[17:20], v[56:57], off
	v_add_nc_u32_e32 v56, 0x800, v131
	s_waitcnt vmcnt(0)
	ds_write_b128 v56, v[17:20]
	global_load_dwordx4 v[17:20], v[23:24], off
	v_add_nc_u32_e32 v23, 0x1000, v131
	;; [unrolled: 4-line block ×3, first 2 shown]
	s_waitcnt vmcnt(0)
	ds_write_b128 v21, v[17:20]
	s_waitcnt lgkmcnt(0)
	s_barrier
	buffer_gl0_inv
	ds_read2_b32 v[64:65], v123 offset1:32
	ds_read_b128 v[17:20], v132
	ds_read_b128 v[21:24], v132 offset:16
	ds_read_b128 v[56:59], v132 offset:32
	ds_read_b128 v[60:63], v132 offset:48
	s_waitcnt lgkmcnt(3)
	v_mul_u32_u24_sdwa v66, v17, v135 dst_sel:DWORD dst_unused:UNUSED_PAD src0_sel:WORD_0 src1_sel:DWORD
	v_mul_u32_u24_sdwa v67, v17, v135 dst_sel:DWORD dst_unused:UNUSED_PAD src0_sel:WORD_1 src1_sel:DWORD
	v_mul_u32_u24_sdwa v68, v18, v135 dst_sel:DWORD dst_unused:UNUSED_PAD src0_sel:WORD_0 src1_sel:DWORD
	v_mul_u32_u24_sdwa v69, v18, v135 dst_sel:DWORD dst_unused:UNUSED_PAD src0_sel:WORD_1 src1_sel:DWORD
	;; [unrolled: 2-line block ×4, first 2 shown]
	ds_read_b128 v[17:20], v132 offset:1024
	v_pk_fma_f16 v42, v64, v68, v42
	v_pk_fma_f16 v43, v64, v69, v43
	;; [unrolled: 1-line block ×6, first 2 shown]
	s_waitcnt lgkmcnt(3)
	v_mul_u32_u24_sdwa v68, v24, v135 dst_sel:DWORD dst_unused:UNUSED_PAD src0_sel:WORD_0 src1_sel:DWORD
	v_mul_u32_u24_sdwa v24, v24, v135 dst_sel:DWORD dst_unused:UNUSED_PAD src0_sel:WORD_1 src1_sel:DWORD
	v_pk_fma_f16 v40, v64, v66, v40
	v_pk_fma_f16 v41, v64, v67, v41
	v_mul_u32_u24_sdwa v66, v22, v135 dst_sel:DWORD dst_unused:UNUSED_PAD src0_sel:WORD_0 src1_sel:DWORD
	v_mul_u32_u24_sdwa v22, v22, v135 dst_sel:DWORD dst_unused:UNUSED_PAD src0_sel:WORD_1 src1_sel:DWORD
	v_pk_fma_f16 v24, v65, v24, v47
	v_mul_u32_u24_sdwa v67, v23, v135 dst_sel:DWORD dst_unused:UNUSED_PAD src0_sel:WORD_0 src1_sel:DWORD
	v_mul_u32_u24_sdwa v23, v23, v135 dst_sel:DWORD dst_unused:UNUSED_PAD src0_sel:WORD_1 src1_sel:DWORD
	v_pk_fma_f16 v42, v65, v66, v42
	v_pk_fma_f16 v43, v65, v22, v43
	;; [unrolled: 1-line block ×3, first 2 shown]
	s_waitcnt lgkmcnt(0)
	v_mul_u32_u24_sdwa v74, v17, v135 dst_sel:DWORD dst_unused:UNUSED_PAD src0_sel:WORD_0 src1_sel:DWORD
	v_mul_u32_u24_sdwa v17, v17, v135 dst_sel:DWORD dst_unused:UNUSED_PAD src0_sel:WORD_1 src1_sel:DWORD
	v_mul_u32_u24_sdwa v75, v18, v135 dst_sel:DWORD dst_unused:UNUSED_PAD src0_sel:WORD_0 src1_sel:DWORD
	v_mul_u32_u24_sdwa v18, v18, v135 dst_sel:DWORD dst_unused:UNUSED_PAD src0_sel:WORD_1 src1_sel:DWORD
	;; [unrolled: 2-line block ×4, first 2 shown]
	v_pk_fma_f16 v49, v64, v17, v49
	v_pk_fma_f16 v51, v64, v18, v51
	;; [unrolled: 1-line block ×5, first 2 shown]
	ds_read_b128 v[17:20], v132 offset:1040
	v_pk_fma_f16 v50, v64, v75, v50
	v_pk_fma_f16 v52, v64, v76, v52
	;; [unrolled: 1-line block ×3, first 2 shown]
	v_mul_u32_u24_sdwa v64, v21, v135 dst_sel:DWORD dst_unused:UNUSED_PAD src0_sel:WORD_0 src1_sel:DWORD
	v_mul_u32_u24_sdwa v21, v21, v135 dst_sel:DWORD dst_unused:UNUSED_PAD src0_sel:WORD_1 src1_sel:DWORD
	v_pk_fma_f16 v23, v65, v23, v45
	v_pk_fma_f16 v45, v65, v68, v46
	;; [unrolled: 1-line block ×4, first 2 shown]
	ds_read2_b32 v[21:22], v123 offset0:64 offset1:96
	v_mul_u32_u24_sdwa v64, v58, v135 dst_sel:DWORD dst_unused:UNUSED_PAD src0_sel:WORD_0 src1_sel:DWORD
	v_mul_u32_u24_sdwa v58, v58, v135 dst_sel:DWORD dst_unused:UNUSED_PAD src0_sel:WORD_1 src1_sel:DWORD
	s_waitcnt lgkmcnt(1)
	v_mul_u32_u24_sdwa v69, v17, v135 dst_sel:DWORD dst_unused:UNUSED_PAD src0_sel:WORD_0 src1_sel:DWORD
	v_mul_u32_u24_sdwa v17, v17, v135 dst_sel:DWORD dst_unused:UNUSED_PAD src0_sel:WORD_1 src1_sel:DWORD
	v_mul_u32_u24_sdwa v70, v18, v135 dst_sel:DWORD dst_unused:UNUSED_PAD src0_sel:WORD_0 src1_sel:DWORD
	v_mul_u32_u24_sdwa v18, v18, v135 dst_sel:DWORD dst_unused:UNUSED_PAD src0_sel:WORD_1 src1_sel:DWORD
	;; [unrolled: 2-line block ×4, first 2 shown]
	v_pk_fma_f16 v47, v65, v17, v49
	v_pk_fma_f16 v49, v65, v18, v51
	;; [unrolled: 1-line block ×5, first 2 shown]
	ds_read_b128 v[17:20], v132 offset:1056
	v_pk_fma_f16 v48, v65, v70, v50
	v_pk_fma_f16 v50, v65, v71, v52
	;; [unrolled: 1-line block ×3, first 2 shown]
	v_mul_u32_u24_sdwa v54, v56, v135 dst_sel:DWORD dst_unused:UNUSED_PAD src0_sel:WORD_0 src1_sel:DWORD
	v_mul_u32_u24_sdwa v55, v56, v135 dst_sel:DWORD dst_unused:UNUSED_PAD src0_sel:WORD_1 src1_sel:DWORD
	v_mul_u32_u24_sdwa v56, v57, v135 dst_sel:DWORD dst_unused:UNUSED_PAD src0_sel:WORD_0 src1_sel:DWORD
	v_mul_u32_u24_sdwa v57, v57, v135 dst_sel:DWORD dst_unused:UNUSED_PAD src0_sel:WORD_1 src1_sel:DWORD
	;; [unrolled: 2-line block ×3, first 2 shown]
	s_waitcnt lgkmcnt(1)
	v_pk_fma_f16 v40, v21, v54, v40
	v_pk_fma_f16 v41, v21, v55, v41
	;; [unrolled: 1-line block ×8, first 2 shown]
	v_mul_u32_u24_sdwa v54, v60, v135 dst_sel:DWORD dst_unused:UNUSED_PAD src0_sel:WORD_1 src1_sel:DWORD
	v_mul_u32_u24_sdwa v55, v61, v135 dst_sel:DWORD dst_unused:UNUSED_PAD src0_sel:WORD_0 src1_sel:DWORD
	s_waitcnt lgkmcnt(0)
	v_mul_u32_u24_sdwa v66, v17, v135 dst_sel:DWORD dst_unused:UNUSED_PAD src0_sel:WORD_0 src1_sel:DWORD
	v_mul_u32_u24_sdwa v17, v17, v135 dst_sel:DWORD dst_unused:UNUSED_PAD src0_sel:WORD_1 src1_sel:DWORD
	v_mul_u32_u24_sdwa v67, v18, v135 dst_sel:DWORD dst_unused:UNUSED_PAD src0_sel:WORD_0 src1_sel:DWORD
	v_mul_u32_u24_sdwa v18, v18, v135 dst_sel:DWORD dst_unused:UNUSED_PAD src0_sel:WORD_1 src1_sel:DWORD
	;; [unrolled: 2-line block ×4, first 2 shown]
	v_pk_fma_f16 v46, v21, v66, v46
	v_pk_fma_f16 v47, v21, v17, v47
	;; [unrolled: 1-line block ×8, first 2 shown]
	ds_read_b128 v[17:20], v132 offset:1072
	v_mul_u32_u24_sdwa v53, v60, v135 dst_sel:DWORD dst_unused:UNUSED_PAD src0_sel:WORD_0 src1_sel:DWORD
	v_mul_u32_u24_sdwa v56, v61, v135 dst_sel:DWORD dst_unused:UNUSED_PAD src0_sel:WORD_1 src1_sel:DWORD
	v_mul_u32_u24_sdwa v57, v62, v135 dst_sel:DWORD dst_unused:UNUSED_PAD src0_sel:WORD_0 src1_sel:DWORD
	v_mul_u32_u24_sdwa v58, v62, v135 dst_sel:DWORD dst_unused:UNUSED_PAD src0_sel:WORD_1 src1_sel:DWORD
	;; [unrolled: 2-line block ×3, first 2 shown]
	v_pk_fma_f16 v40, v22, v53, v40
	v_pk_fma_f16 v41, v22, v54, v41
	;; [unrolled: 1-line block ×8, first 2 shown]
	v_add_nc_u32_e32 v66, 0x800, v123
	s_waitcnt lgkmcnt(0)
	v_mul_u32_u24_sdwa v61, v17, v135 dst_sel:DWORD dst_unused:UNUSED_PAD src0_sel:WORD_0 src1_sel:DWORD
	v_mul_u32_u24_sdwa v17, v17, v135 dst_sel:DWORD dst_unused:UNUSED_PAD src0_sel:WORD_1 src1_sel:DWORD
	v_mul_u32_u24_sdwa v62, v18, v135 dst_sel:DWORD dst_unused:UNUSED_PAD src0_sel:WORD_0 src1_sel:DWORD
	v_mul_u32_u24_sdwa v18, v18, v135 dst_sel:DWORD dst_unused:UNUSED_PAD src0_sel:WORD_1 src1_sel:DWORD
	v_mul_u32_u24_sdwa v63, v19, v135 dst_sel:DWORD dst_unused:UNUSED_PAD src0_sel:WORD_0 src1_sel:DWORD
	v_mul_u32_u24_sdwa v19, v19, v135 dst_sel:DWORD dst_unused:UNUSED_PAD src0_sel:WORD_1 src1_sel:DWORD
	v_mul_u32_u24_sdwa v64, v20, v135 dst_sel:DWORD dst_unused:UNUSED_PAD src0_sel:WORD_0 src1_sel:DWORD
	v_mul_u32_u24_sdwa v20, v20, v135 dst_sel:DWORD dst_unused:UNUSED_PAD src0_sel:WORD_1 src1_sel:DWORD
	v_pk_fma_f16 v46, v22, v61, v46
	v_pk_fma_f16 v47, v22, v17, v47
	;; [unrolled: 1-line block ×8, first 2 shown]
	ds_read2_b32 v[21:22], v123 offset0:128 offset1:160
	ds_read_b128 v[17:20], v132 offset:64
	s_waitcnt lgkmcnt(0)
	v_mul_u32_u24_sdwa v54, v17, v135 dst_sel:DWORD dst_unused:UNUSED_PAD src0_sel:WORD_0 src1_sel:DWORD
	v_mul_u32_u24_sdwa v55, v17, v135 dst_sel:DWORD dst_unused:UNUSED_PAD src0_sel:WORD_1 src1_sel:DWORD
	v_mul_u32_u24_sdwa v56, v18, v135 dst_sel:DWORD dst_unused:UNUSED_PAD src0_sel:WORD_0 src1_sel:DWORD
	v_mul_u32_u24_sdwa v57, v18, v135 dst_sel:DWORD dst_unused:UNUSED_PAD src0_sel:WORD_1 src1_sel:DWORD
	;; [unrolled: 2-line block ×4, first 2 shown]
	ds_read_b128 v[17:20], v132 offset:1088
	v_pk_fma_f16 v40, v21, v54, v40
	v_pk_fma_f16 v41, v21, v55, v41
	;; [unrolled: 1-line block ×8, first 2 shown]
	s_waitcnt lgkmcnt(0)
	v_mul_u32_u24_sdwa v62, v17, v135 dst_sel:DWORD dst_unused:UNUSED_PAD src0_sel:WORD_0 src1_sel:DWORD
	v_mul_u32_u24_sdwa v17, v17, v135 dst_sel:DWORD dst_unused:UNUSED_PAD src0_sel:WORD_1 src1_sel:DWORD
	v_mul_u32_u24_sdwa v63, v18, v135 dst_sel:DWORD dst_unused:UNUSED_PAD src0_sel:WORD_0 src1_sel:DWORD
	v_mul_u32_u24_sdwa v18, v18, v135 dst_sel:DWORD dst_unused:UNUSED_PAD src0_sel:WORD_1 src1_sel:DWORD
	;; [unrolled: 2-line block ×4, first 2 shown]
	v_pk_fma_f16 v46, v21, v62, v46
	v_pk_fma_f16 v47, v21, v17, v47
	;; [unrolled: 1-line block ×8, first 2 shown]
	ds_read_b128 v[17:20], v132 offset:80
	s_waitcnt lgkmcnt(0)
	v_mul_u32_u24_sdwa v53, v17, v135 dst_sel:DWORD dst_unused:UNUSED_PAD src0_sel:WORD_0 src1_sel:DWORD
	v_mul_u32_u24_sdwa v54, v17, v135 dst_sel:DWORD dst_unused:UNUSED_PAD src0_sel:WORD_1 src1_sel:DWORD
	v_mul_u32_u24_sdwa v55, v18, v135 dst_sel:DWORD dst_unused:UNUSED_PAD src0_sel:WORD_0 src1_sel:DWORD
	v_mul_u32_u24_sdwa v56, v18, v135 dst_sel:DWORD dst_unused:UNUSED_PAD src0_sel:WORD_1 src1_sel:DWORD
	;; [unrolled: 2-line block ×4, first 2 shown]
	ds_read_b128 v[17:20], v132 offset:1104
	v_pk_fma_f16 v40, v22, v53, v40
	v_pk_fma_f16 v41, v22, v54, v41
	;; [unrolled: 1-line block ×8, first 2 shown]
	s_waitcnt lgkmcnt(0)
	v_mul_u32_u24_sdwa v61, v17, v135 dst_sel:DWORD dst_unused:UNUSED_PAD src0_sel:WORD_0 src1_sel:DWORD
	v_mul_u32_u24_sdwa v17, v17, v135 dst_sel:DWORD dst_unused:UNUSED_PAD src0_sel:WORD_1 src1_sel:DWORD
	v_mul_u32_u24_sdwa v62, v18, v135 dst_sel:DWORD dst_unused:UNUSED_PAD src0_sel:WORD_0 src1_sel:DWORD
	v_mul_u32_u24_sdwa v18, v18, v135 dst_sel:DWORD dst_unused:UNUSED_PAD src0_sel:WORD_1 src1_sel:DWORD
	;; [unrolled: 2-line block ×4, first 2 shown]
	v_pk_fma_f16 v46, v22, v61, v46
	v_pk_fma_f16 v47, v22, v17, v47
	;; [unrolled: 1-line block ×8, first 2 shown]
	ds_read2_b32 v[21:22], v123 offset0:192 offset1:224
	ds_read_b128 v[17:20], v132 offset:96
	s_waitcnt lgkmcnt(0)
	v_mul_u32_u24_sdwa v54, v17, v135 dst_sel:DWORD dst_unused:UNUSED_PAD src0_sel:WORD_0 src1_sel:DWORD
	v_mul_u32_u24_sdwa v55, v17, v135 dst_sel:DWORD dst_unused:UNUSED_PAD src0_sel:WORD_1 src1_sel:DWORD
	v_mul_u32_u24_sdwa v56, v18, v135 dst_sel:DWORD dst_unused:UNUSED_PAD src0_sel:WORD_0 src1_sel:DWORD
	v_mul_u32_u24_sdwa v57, v18, v135 dst_sel:DWORD dst_unused:UNUSED_PAD src0_sel:WORD_1 src1_sel:DWORD
	;; [unrolled: 2-line block ×4, first 2 shown]
	ds_read_b128 v[17:20], v132 offset:1120
	v_pk_fma_f16 v40, v21, v54, v40
	v_pk_fma_f16 v41, v21, v55, v41
	;; [unrolled: 1-line block ×8, first 2 shown]
	s_waitcnt lgkmcnt(0)
	v_mul_u32_u24_sdwa v62, v17, v135 dst_sel:DWORD dst_unused:UNUSED_PAD src0_sel:WORD_0 src1_sel:DWORD
	v_mul_u32_u24_sdwa v17, v17, v135 dst_sel:DWORD dst_unused:UNUSED_PAD src0_sel:WORD_1 src1_sel:DWORD
	v_mul_u32_u24_sdwa v63, v18, v135 dst_sel:DWORD dst_unused:UNUSED_PAD src0_sel:WORD_0 src1_sel:DWORD
	v_mul_u32_u24_sdwa v18, v18, v135 dst_sel:DWORD dst_unused:UNUSED_PAD src0_sel:WORD_1 src1_sel:DWORD
	;; [unrolled: 2-line block ×4, first 2 shown]
	v_pk_fma_f16 v46, v21, v62, v46
	v_pk_fma_f16 v47, v21, v17, v47
	;; [unrolled: 1-line block ×8, first 2 shown]
	ds_read_b128 v[17:20], v132 offset:112
	s_waitcnt lgkmcnt(0)
	v_mul_u32_u24_sdwa v53, v17, v135 dst_sel:DWORD dst_unused:UNUSED_PAD src0_sel:WORD_0 src1_sel:DWORD
	v_mul_u32_u24_sdwa v54, v17, v135 dst_sel:DWORD dst_unused:UNUSED_PAD src0_sel:WORD_1 src1_sel:DWORD
	v_mul_u32_u24_sdwa v55, v18, v135 dst_sel:DWORD dst_unused:UNUSED_PAD src0_sel:WORD_0 src1_sel:DWORD
	v_mul_u32_u24_sdwa v56, v18, v135 dst_sel:DWORD dst_unused:UNUSED_PAD src0_sel:WORD_1 src1_sel:DWORD
	;; [unrolled: 2-line block ×4, first 2 shown]
	ds_read_b128 v[17:20], v132 offset:1136
	v_pk_fma_f16 v40, v22, v53, v40
	v_pk_fma_f16 v41, v22, v54, v41
	;; [unrolled: 1-line block ×8, first 2 shown]
	s_waitcnt lgkmcnt(0)
	v_mul_u32_u24_sdwa v61, v17, v135 dst_sel:DWORD dst_unused:UNUSED_PAD src0_sel:WORD_0 src1_sel:DWORD
	v_mul_u32_u24_sdwa v17, v17, v135 dst_sel:DWORD dst_unused:UNUSED_PAD src0_sel:WORD_1 src1_sel:DWORD
	v_mul_u32_u24_sdwa v62, v18, v135 dst_sel:DWORD dst_unused:UNUSED_PAD src0_sel:WORD_0 src1_sel:DWORD
	v_mul_u32_u24_sdwa v18, v18, v135 dst_sel:DWORD dst_unused:UNUSED_PAD src0_sel:WORD_1 src1_sel:DWORD
	;; [unrolled: 2-line block ×4, first 2 shown]
	v_pk_fma_f16 v46, v22, v61, v46
	v_pk_fma_f16 v47, v22, v17, v47
	;; [unrolled: 1-line block ×8, first 2 shown]
	ds_read2_b32 v[21:22], v0 offset1:32
	ds_read_b128 v[17:20], v132 offset:128
	s_waitcnt lgkmcnt(0)
	v_mul_u32_u24_sdwa v54, v17, v135 dst_sel:DWORD dst_unused:UNUSED_PAD src0_sel:WORD_0 src1_sel:DWORD
	v_mul_u32_u24_sdwa v55, v17, v135 dst_sel:DWORD dst_unused:UNUSED_PAD src0_sel:WORD_1 src1_sel:DWORD
	v_mul_u32_u24_sdwa v56, v18, v135 dst_sel:DWORD dst_unused:UNUSED_PAD src0_sel:WORD_0 src1_sel:DWORD
	v_mul_u32_u24_sdwa v57, v18, v135 dst_sel:DWORD dst_unused:UNUSED_PAD src0_sel:WORD_1 src1_sel:DWORD
	;; [unrolled: 2-line block ×4, first 2 shown]
	ds_read_b128 v[17:20], v132 offset:1152
	v_pk_fma_f16 v40, v21, v54, v40
	v_pk_fma_f16 v41, v21, v55, v41
	;; [unrolled: 1-line block ×8, first 2 shown]
	s_waitcnt lgkmcnt(0)
	v_mul_u32_u24_sdwa v62, v17, v135 dst_sel:DWORD dst_unused:UNUSED_PAD src0_sel:WORD_0 src1_sel:DWORD
	v_mul_u32_u24_sdwa v17, v17, v135 dst_sel:DWORD dst_unused:UNUSED_PAD src0_sel:WORD_1 src1_sel:DWORD
	v_mul_u32_u24_sdwa v63, v18, v135 dst_sel:DWORD dst_unused:UNUSED_PAD src0_sel:WORD_0 src1_sel:DWORD
	v_mul_u32_u24_sdwa v18, v18, v135 dst_sel:DWORD dst_unused:UNUSED_PAD src0_sel:WORD_1 src1_sel:DWORD
	;; [unrolled: 2-line block ×4, first 2 shown]
	v_pk_fma_f16 v46, v21, v62, v46
	v_pk_fma_f16 v47, v21, v17, v47
	;; [unrolled: 1-line block ×8, first 2 shown]
	ds_read_b128 v[17:20], v132 offset:144
	s_waitcnt lgkmcnt(0)
	v_mul_u32_u24_sdwa v53, v17, v135 dst_sel:DWORD dst_unused:UNUSED_PAD src0_sel:WORD_0 src1_sel:DWORD
	v_mul_u32_u24_sdwa v54, v17, v135 dst_sel:DWORD dst_unused:UNUSED_PAD src0_sel:WORD_1 src1_sel:DWORD
	v_mul_u32_u24_sdwa v55, v18, v135 dst_sel:DWORD dst_unused:UNUSED_PAD src0_sel:WORD_0 src1_sel:DWORD
	v_mul_u32_u24_sdwa v56, v18, v135 dst_sel:DWORD dst_unused:UNUSED_PAD src0_sel:WORD_1 src1_sel:DWORD
	;; [unrolled: 2-line block ×4, first 2 shown]
	ds_read_b128 v[17:20], v132 offset:1168
	v_pk_fma_f16 v40, v22, v53, v40
	v_pk_fma_f16 v41, v22, v54, v41
	;; [unrolled: 1-line block ×8, first 2 shown]
	s_waitcnt lgkmcnt(0)
	v_mul_u32_u24_sdwa v61, v17, v135 dst_sel:DWORD dst_unused:UNUSED_PAD src0_sel:WORD_0 src1_sel:DWORD
	v_mul_u32_u24_sdwa v17, v17, v135 dst_sel:DWORD dst_unused:UNUSED_PAD src0_sel:WORD_1 src1_sel:DWORD
	v_mul_u32_u24_sdwa v62, v18, v135 dst_sel:DWORD dst_unused:UNUSED_PAD src0_sel:WORD_0 src1_sel:DWORD
	v_mul_u32_u24_sdwa v18, v18, v135 dst_sel:DWORD dst_unused:UNUSED_PAD src0_sel:WORD_1 src1_sel:DWORD
	;; [unrolled: 2-line block ×4, first 2 shown]
	v_pk_fma_f16 v46, v22, v61, v46
	v_pk_fma_f16 v47, v22, v17, v47
	;; [unrolled: 1-line block ×8, first 2 shown]
	ds_read2_b32 v[21:22], v0 offset0:64 offset1:96
	ds_read_b128 v[17:20], v132 offset:160
	s_waitcnt lgkmcnt(0)
	v_mul_u32_u24_sdwa v54, v17, v135 dst_sel:DWORD dst_unused:UNUSED_PAD src0_sel:WORD_0 src1_sel:DWORD
	v_mul_u32_u24_sdwa v55, v17, v135 dst_sel:DWORD dst_unused:UNUSED_PAD src0_sel:WORD_1 src1_sel:DWORD
	v_mul_u32_u24_sdwa v56, v18, v135 dst_sel:DWORD dst_unused:UNUSED_PAD src0_sel:WORD_0 src1_sel:DWORD
	v_mul_u32_u24_sdwa v57, v18, v135 dst_sel:DWORD dst_unused:UNUSED_PAD src0_sel:WORD_1 src1_sel:DWORD
	;; [unrolled: 2-line block ×4, first 2 shown]
	ds_read_b128 v[17:20], v132 offset:1184
	v_pk_fma_f16 v40, v21, v54, v40
	v_pk_fma_f16 v41, v21, v55, v41
	;; [unrolled: 1-line block ×8, first 2 shown]
	s_waitcnt lgkmcnt(0)
	v_mul_u32_u24_sdwa v62, v17, v135 dst_sel:DWORD dst_unused:UNUSED_PAD src0_sel:WORD_0 src1_sel:DWORD
	v_mul_u32_u24_sdwa v17, v17, v135 dst_sel:DWORD dst_unused:UNUSED_PAD src0_sel:WORD_1 src1_sel:DWORD
	v_mul_u32_u24_sdwa v63, v18, v135 dst_sel:DWORD dst_unused:UNUSED_PAD src0_sel:WORD_0 src1_sel:DWORD
	v_mul_u32_u24_sdwa v18, v18, v135 dst_sel:DWORD dst_unused:UNUSED_PAD src0_sel:WORD_1 src1_sel:DWORD
	;; [unrolled: 2-line block ×4, first 2 shown]
	v_pk_fma_f16 v46, v21, v62, v46
	v_pk_fma_f16 v47, v21, v17, v47
	;; [unrolled: 1-line block ×8, first 2 shown]
	ds_read_b128 v[17:20], v132 offset:176
	s_waitcnt lgkmcnt(0)
	v_mul_u32_u24_sdwa v53, v17, v135 dst_sel:DWORD dst_unused:UNUSED_PAD src0_sel:WORD_0 src1_sel:DWORD
	v_mul_u32_u24_sdwa v54, v17, v135 dst_sel:DWORD dst_unused:UNUSED_PAD src0_sel:WORD_1 src1_sel:DWORD
	v_mul_u32_u24_sdwa v55, v18, v135 dst_sel:DWORD dst_unused:UNUSED_PAD src0_sel:WORD_0 src1_sel:DWORD
	v_mul_u32_u24_sdwa v56, v18, v135 dst_sel:DWORD dst_unused:UNUSED_PAD src0_sel:WORD_1 src1_sel:DWORD
	;; [unrolled: 2-line block ×4, first 2 shown]
	ds_read_b128 v[17:20], v132 offset:1200
	v_pk_fma_f16 v40, v22, v53, v40
	v_pk_fma_f16 v41, v22, v54, v41
	;; [unrolled: 1-line block ×8, first 2 shown]
	s_waitcnt lgkmcnt(0)
	v_mul_u32_u24_sdwa v61, v17, v135 dst_sel:DWORD dst_unused:UNUSED_PAD src0_sel:WORD_0 src1_sel:DWORD
	v_mul_u32_u24_sdwa v17, v17, v135 dst_sel:DWORD dst_unused:UNUSED_PAD src0_sel:WORD_1 src1_sel:DWORD
	v_mul_u32_u24_sdwa v62, v18, v135 dst_sel:DWORD dst_unused:UNUSED_PAD src0_sel:WORD_0 src1_sel:DWORD
	v_mul_u32_u24_sdwa v18, v18, v135 dst_sel:DWORD dst_unused:UNUSED_PAD src0_sel:WORD_1 src1_sel:DWORD
	;; [unrolled: 2-line block ×4, first 2 shown]
	v_pk_fma_f16 v46, v22, v61, v46
	v_pk_fma_f16 v47, v22, v17, v47
	;; [unrolled: 1-line block ×8, first 2 shown]
	ds_read2_b32 v[21:22], v0 offset0:128 offset1:160
	ds_read_b128 v[17:20], v132 offset:192
	s_waitcnt lgkmcnt(0)
	v_mul_u32_u24_sdwa v54, v17, v135 dst_sel:DWORD dst_unused:UNUSED_PAD src0_sel:WORD_0 src1_sel:DWORD
	v_mul_u32_u24_sdwa v55, v17, v135 dst_sel:DWORD dst_unused:UNUSED_PAD src0_sel:WORD_1 src1_sel:DWORD
	v_mul_u32_u24_sdwa v56, v18, v135 dst_sel:DWORD dst_unused:UNUSED_PAD src0_sel:WORD_0 src1_sel:DWORD
	v_mul_u32_u24_sdwa v57, v18, v135 dst_sel:DWORD dst_unused:UNUSED_PAD src0_sel:WORD_1 src1_sel:DWORD
	;; [unrolled: 2-line block ×4, first 2 shown]
	ds_read_b128 v[17:20], v132 offset:1216
	v_pk_fma_f16 v40, v21, v54, v40
	v_pk_fma_f16 v41, v21, v55, v41
	;; [unrolled: 1-line block ×8, first 2 shown]
	s_waitcnt lgkmcnt(0)
	v_mul_u32_u24_sdwa v62, v17, v135 dst_sel:DWORD dst_unused:UNUSED_PAD src0_sel:WORD_0 src1_sel:DWORD
	v_mul_u32_u24_sdwa v17, v17, v135 dst_sel:DWORD dst_unused:UNUSED_PAD src0_sel:WORD_1 src1_sel:DWORD
	v_mul_u32_u24_sdwa v63, v18, v135 dst_sel:DWORD dst_unused:UNUSED_PAD src0_sel:WORD_0 src1_sel:DWORD
	v_mul_u32_u24_sdwa v18, v18, v135 dst_sel:DWORD dst_unused:UNUSED_PAD src0_sel:WORD_1 src1_sel:DWORD
	;; [unrolled: 2-line block ×4, first 2 shown]
	v_pk_fma_f16 v46, v21, v62, v46
	v_pk_fma_f16 v47, v21, v17, v47
	;; [unrolled: 1-line block ×8, first 2 shown]
	ds_read_b128 v[17:20], v132 offset:208
	s_waitcnt lgkmcnt(0)
	v_mul_u32_u24_sdwa v53, v17, v135 dst_sel:DWORD dst_unused:UNUSED_PAD src0_sel:WORD_0 src1_sel:DWORD
	v_mul_u32_u24_sdwa v54, v17, v135 dst_sel:DWORD dst_unused:UNUSED_PAD src0_sel:WORD_1 src1_sel:DWORD
	v_mul_u32_u24_sdwa v55, v18, v135 dst_sel:DWORD dst_unused:UNUSED_PAD src0_sel:WORD_0 src1_sel:DWORD
	v_mul_u32_u24_sdwa v56, v18, v135 dst_sel:DWORD dst_unused:UNUSED_PAD src0_sel:WORD_1 src1_sel:DWORD
	v_mul_u32_u24_sdwa v57, v19, v135 dst_sel:DWORD dst_unused:UNUSED_PAD src0_sel:WORD_0 src1_sel:DWORD
	v_mul_u32_u24_sdwa v58, v19, v135 dst_sel:DWORD dst_unused:UNUSED_PAD src0_sel:WORD_1 src1_sel:DWORD
	v_mul_u32_u24_sdwa v59, v20, v135 dst_sel:DWORD dst_unused:UNUSED_PAD src0_sel:WORD_0 src1_sel:DWORD
	v_mul_u32_u24_sdwa v60, v20, v135 dst_sel:DWORD dst_unused:UNUSED_PAD src0_sel:WORD_1 src1_sel:DWORD
	ds_read_b128 v[17:20], v132 offset:1232
	v_pk_fma_f16 v40, v22, v53, v40
	v_pk_fma_f16 v41, v22, v54, v41
	;; [unrolled: 1-line block ×8, first 2 shown]
	s_waitcnt lgkmcnt(0)
	v_mul_u32_u24_sdwa v61, v17, v135 dst_sel:DWORD dst_unused:UNUSED_PAD src0_sel:WORD_0 src1_sel:DWORD
	v_mul_u32_u24_sdwa v17, v17, v135 dst_sel:DWORD dst_unused:UNUSED_PAD src0_sel:WORD_1 src1_sel:DWORD
	v_mul_u32_u24_sdwa v62, v18, v135 dst_sel:DWORD dst_unused:UNUSED_PAD src0_sel:WORD_0 src1_sel:DWORD
	v_mul_u32_u24_sdwa v18, v18, v135 dst_sel:DWORD dst_unused:UNUSED_PAD src0_sel:WORD_1 src1_sel:DWORD
	;; [unrolled: 2-line block ×4, first 2 shown]
	v_pk_fma_f16 v46, v22, v61, v46
	v_pk_fma_f16 v47, v22, v17, v47
	;; [unrolled: 1-line block ×8, first 2 shown]
	ds_read2_b32 v[21:22], v0 offset0:192 offset1:224
	ds_read_b128 v[17:20], v132 offset:224
	s_waitcnt lgkmcnt(0)
	v_mul_u32_u24_sdwa v54, v17, v135 dst_sel:DWORD dst_unused:UNUSED_PAD src0_sel:WORD_0 src1_sel:DWORD
	v_mul_u32_u24_sdwa v55, v17, v135 dst_sel:DWORD dst_unused:UNUSED_PAD src0_sel:WORD_1 src1_sel:DWORD
	v_mul_u32_u24_sdwa v56, v18, v135 dst_sel:DWORD dst_unused:UNUSED_PAD src0_sel:WORD_0 src1_sel:DWORD
	v_mul_u32_u24_sdwa v57, v18, v135 dst_sel:DWORD dst_unused:UNUSED_PAD src0_sel:WORD_1 src1_sel:DWORD
	;; [unrolled: 2-line block ×4, first 2 shown]
	ds_read_b128 v[17:20], v132 offset:1248
	v_pk_fma_f16 v40, v21, v54, v40
	v_pk_fma_f16 v41, v21, v55, v41
	;; [unrolled: 1-line block ×8, first 2 shown]
	s_waitcnt lgkmcnt(0)
	v_mul_u32_u24_sdwa v62, v17, v135 dst_sel:DWORD dst_unused:UNUSED_PAD src0_sel:WORD_0 src1_sel:DWORD
	v_mul_u32_u24_sdwa v17, v17, v135 dst_sel:DWORD dst_unused:UNUSED_PAD src0_sel:WORD_1 src1_sel:DWORD
	v_mul_u32_u24_sdwa v63, v18, v135 dst_sel:DWORD dst_unused:UNUSED_PAD src0_sel:WORD_0 src1_sel:DWORD
	v_mul_u32_u24_sdwa v18, v18, v135 dst_sel:DWORD dst_unused:UNUSED_PAD src0_sel:WORD_1 src1_sel:DWORD
	;; [unrolled: 2-line block ×4, first 2 shown]
	v_pk_fma_f16 v46, v21, v62, v46
	v_pk_fma_f16 v47, v21, v17, v47
	;; [unrolled: 1-line block ×8, first 2 shown]
	ds_read_b128 v[17:20], v132 offset:240
	s_waitcnt lgkmcnt(0)
	v_mul_u32_u24_sdwa v53, v17, v135 dst_sel:DWORD dst_unused:UNUSED_PAD src0_sel:WORD_0 src1_sel:DWORD
	v_mul_u32_u24_sdwa v54, v17, v135 dst_sel:DWORD dst_unused:UNUSED_PAD src0_sel:WORD_1 src1_sel:DWORD
	v_mul_u32_u24_sdwa v55, v18, v135 dst_sel:DWORD dst_unused:UNUSED_PAD src0_sel:WORD_0 src1_sel:DWORD
	v_mul_u32_u24_sdwa v56, v18, v135 dst_sel:DWORD dst_unused:UNUSED_PAD src0_sel:WORD_1 src1_sel:DWORD
	;; [unrolled: 2-line block ×4, first 2 shown]
	ds_read_b128 v[17:20], v132 offset:1264
	v_pk_fma_f16 v40, v22, v53, v40
	v_pk_fma_f16 v41, v22, v54, v41
	;; [unrolled: 1-line block ×8, first 2 shown]
	s_waitcnt lgkmcnt(0)
	v_mul_u32_u24_sdwa v61, v17, v135 dst_sel:DWORD dst_unused:UNUSED_PAD src0_sel:WORD_0 src1_sel:DWORD
	v_mul_u32_u24_sdwa v17, v17, v135 dst_sel:DWORD dst_unused:UNUSED_PAD src0_sel:WORD_1 src1_sel:DWORD
	v_mul_u32_u24_sdwa v62, v18, v135 dst_sel:DWORD dst_unused:UNUSED_PAD src0_sel:WORD_0 src1_sel:DWORD
	v_mul_u32_u24_sdwa v18, v18, v135 dst_sel:DWORD dst_unused:UNUSED_PAD src0_sel:WORD_1 src1_sel:DWORD
	;; [unrolled: 2-line block ×4, first 2 shown]
	v_pk_fma_f16 v46, v22, v61, v46
	v_pk_fma_f16 v47, v22, v17, v47
	;; [unrolled: 1-line block ×8, first 2 shown]
	ds_read2_b32 v[21:22], v66 offset1:32
	ds_read_b128 v[17:20], v132 offset:256
	s_waitcnt lgkmcnt(0)
	v_mul_u32_u24_sdwa v54, v17, v135 dst_sel:DWORD dst_unused:UNUSED_PAD src0_sel:WORD_0 src1_sel:DWORD
	v_mul_u32_u24_sdwa v55, v17, v135 dst_sel:DWORD dst_unused:UNUSED_PAD src0_sel:WORD_1 src1_sel:DWORD
	v_mul_u32_u24_sdwa v56, v18, v135 dst_sel:DWORD dst_unused:UNUSED_PAD src0_sel:WORD_0 src1_sel:DWORD
	v_mul_u32_u24_sdwa v57, v18, v135 dst_sel:DWORD dst_unused:UNUSED_PAD src0_sel:WORD_1 src1_sel:DWORD
	v_mul_u32_u24_sdwa v58, v19, v135 dst_sel:DWORD dst_unused:UNUSED_PAD src0_sel:WORD_0 src1_sel:DWORD
	v_mul_u32_u24_sdwa v59, v19, v135 dst_sel:DWORD dst_unused:UNUSED_PAD src0_sel:WORD_1 src1_sel:DWORD
	v_mul_u32_u24_sdwa v60, v20, v135 dst_sel:DWORD dst_unused:UNUSED_PAD src0_sel:WORD_0 src1_sel:DWORD
	v_mul_u32_u24_sdwa v61, v20, v135 dst_sel:DWORD dst_unused:UNUSED_PAD src0_sel:WORD_1 src1_sel:DWORD
	ds_read_b128 v[17:20], v132 offset:1280
	v_pk_fma_f16 v40, v21, v54, v40
	v_pk_fma_f16 v41, v21, v55, v41
	;; [unrolled: 1-line block ×8, first 2 shown]
	s_waitcnt lgkmcnt(0)
	v_mul_u32_u24_sdwa v62, v17, v135 dst_sel:DWORD dst_unused:UNUSED_PAD src0_sel:WORD_0 src1_sel:DWORD
	v_mul_u32_u24_sdwa v17, v17, v135 dst_sel:DWORD dst_unused:UNUSED_PAD src0_sel:WORD_1 src1_sel:DWORD
	v_mul_u32_u24_sdwa v63, v18, v135 dst_sel:DWORD dst_unused:UNUSED_PAD src0_sel:WORD_0 src1_sel:DWORD
	v_mul_u32_u24_sdwa v18, v18, v135 dst_sel:DWORD dst_unused:UNUSED_PAD src0_sel:WORD_1 src1_sel:DWORD
	;; [unrolled: 2-line block ×4, first 2 shown]
	v_pk_fma_f16 v46, v21, v62, v46
	v_pk_fma_f16 v47, v21, v17, v47
	;; [unrolled: 1-line block ×8, first 2 shown]
	ds_read_b128 v[17:20], v132 offset:272
	s_waitcnt lgkmcnt(0)
	v_mul_u32_u24_sdwa v53, v17, v135 dst_sel:DWORD dst_unused:UNUSED_PAD src0_sel:WORD_0 src1_sel:DWORD
	v_mul_u32_u24_sdwa v54, v17, v135 dst_sel:DWORD dst_unused:UNUSED_PAD src0_sel:WORD_1 src1_sel:DWORD
	v_mul_u32_u24_sdwa v55, v18, v135 dst_sel:DWORD dst_unused:UNUSED_PAD src0_sel:WORD_0 src1_sel:DWORD
	v_mul_u32_u24_sdwa v56, v18, v135 dst_sel:DWORD dst_unused:UNUSED_PAD src0_sel:WORD_1 src1_sel:DWORD
	;; [unrolled: 2-line block ×4, first 2 shown]
	ds_read_b128 v[17:20], v132 offset:1296
	v_pk_fma_f16 v40, v22, v53, v40
	v_pk_fma_f16 v41, v22, v54, v41
	;; [unrolled: 1-line block ×8, first 2 shown]
	s_waitcnt lgkmcnt(0)
	v_mul_u32_u24_sdwa v61, v17, v135 dst_sel:DWORD dst_unused:UNUSED_PAD src0_sel:WORD_0 src1_sel:DWORD
	v_mul_u32_u24_sdwa v17, v17, v135 dst_sel:DWORD dst_unused:UNUSED_PAD src0_sel:WORD_1 src1_sel:DWORD
	v_mul_u32_u24_sdwa v62, v18, v135 dst_sel:DWORD dst_unused:UNUSED_PAD src0_sel:WORD_0 src1_sel:DWORD
	v_mul_u32_u24_sdwa v18, v18, v135 dst_sel:DWORD dst_unused:UNUSED_PAD src0_sel:WORD_1 src1_sel:DWORD
	;; [unrolled: 2-line block ×4, first 2 shown]
	v_pk_fma_f16 v46, v22, v61, v46
	v_pk_fma_f16 v47, v22, v17, v47
	;; [unrolled: 1-line block ×8, first 2 shown]
	ds_read2_b32 v[21:22], v66 offset0:64 offset1:96
	ds_read_b128 v[17:20], v132 offset:288
	s_waitcnt lgkmcnt(0)
	v_mul_u32_u24_sdwa v54, v17, v135 dst_sel:DWORD dst_unused:UNUSED_PAD src0_sel:WORD_0 src1_sel:DWORD
	v_mul_u32_u24_sdwa v55, v17, v135 dst_sel:DWORD dst_unused:UNUSED_PAD src0_sel:WORD_1 src1_sel:DWORD
	v_mul_u32_u24_sdwa v56, v18, v135 dst_sel:DWORD dst_unused:UNUSED_PAD src0_sel:WORD_0 src1_sel:DWORD
	v_mul_u32_u24_sdwa v57, v18, v135 dst_sel:DWORD dst_unused:UNUSED_PAD src0_sel:WORD_1 src1_sel:DWORD
	;; [unrolled: 2-line block ×4, first 2 shown]
	ds_read_b128 v[17:20], v132 offset:1312
	v_pk_fma_f16 v40, v21, v54, v40
	v_pk_fma_f16 v41, v21, v55, v41
	;; [unrolled: 1-line block ×8, first 2 shown]
	s_waitcnt lgkmcnt(0)
	v_mul_u32_u24_sdwa v62, v17, v135 dst_sel:DWORD dst_unused:UNUSED_PAD src0_sel:WORD_0 src1_sel:DWORD
	v_mul_u32_u24_sdwa v17, v17, v135 dst_sel:DWORD dst_unused:UNUSED_PAD src0_sel:WORD_1 src1_sel:DWORD
	v_mul_u32_u24_sdwa v63, v18, v135 dst_sel:DWORD dst_unused:UNUSED_PAD src0_sel:WORD_0 src1_sel:DWORD
	v_mul_u32_u24_sdwa v18, v18, v135 dst_sel:DWORD dst_unused:UNUSED_PAD src0_sel:WORD_1 src1_sel:DWORD
	;; [unrolled: 2-line block ×4, first 2 shown]
	v_pk_fma_f16 v46, v21, v62, v46
	v_pk_fma_f16 v47, v21, v17, v47
	;; [unrolled: 1-line block ×8, first 2 shown]
	ds_read_b128 v[17:20], v132 offset:304
	s_waitcnt lgkmcnt(0)
	v_mul_u32_u24_sdwa v53, v17, v135 dst_sel:DWORD dst_unused:UNUSED_PAD src0_sel:WORD_0 src1_sel:DWORD
	v_mul_u32_u24_sdwa v54, v17, v135 dst_sel:DWORD dst_unused:UNUSED_PAD src0_sel:WORD_1 src1_sel:DWORD
	v_mul_u32_u24_sdwa v55, v18, v135 dst_sel:DWORD dst_unused:UNUSED_PAD src0_sel:WORD_0 src1_sel:DWORD
	v_mul_u32_u24_sdwa v56, v18, v135 dst_sel:DWORD dst_unused:UNUSED_PAD src0_sel:WORD_1 src1_sel:DWORD
	;; [unrolled: 2-line block ×4, first 2 shown]
	ds_read_b128 v[17:20], v132 offset:1328
	v_pk_fma_f16 v40, v22, v53, v40
	v_pk_fma_f16 v41, v22, v54, v41
	;; [unrolled: 1-line block ×8, first 2 shown]
	s_waitcnt lgkmcnt(0)
	v_mul_u32_u24_sdwa v61, v17, v135 dst_sel:DWORD dst_unused:UNUSED_PAD src0_sel:WORD_0 src1_sel:DWORD
	v_mul_u32_u24_sdwa v17, v17, v135 dst_sel:DWORD dst_unused:UNUSED_PAD src0_sel:WORD_1 src1_sel:DWORD
	v_mul_u32_u24_sdwa v62, v18, v135 dst_sel:DWORD dst_unused:UNUSED_PAD src0_sel:WORD_0 src1_sel:DWORD
	v_mul_u32_u24_sdwa v18, v18, v135 dst_sel:DWORD dst_unused:UNUSED_PAD src0_sel:WORD_1 src1_sel:DWORD
	v_mul_u32_u24_sdwa v63, v19, v135 dst_sel:DWORD dst_unused:UNUSED_PAD src0_sel:WORD_0 src1_sel:DWORD
	v_mul_u32_u24_sdwa v19, v19, v135 dst_sel:DWORD dst_unused:UNUSED_PAD src0_sel:WORD_1 src1_sel:DWORD
	v_mul_u32_u24_sdwa v64, v20, v135 dst_sel:DWORD dst_unused:UNUSED_PAD src0_sel:WORD_0 src1_sel:DWORD
	v_mul_u32_u24_sdwa v20, v20, v135 dst_sel:DWORD dst_unused:UNUSED_PAD src0_sel:WORD_1 src1_sel:DWORD
	v_pk_fma_f16 v46, v22, v61, v46
	v_pk_fma_f16 v47, v22, v17, v47
	;; [unrolled: 1-line block ×8, first 2 shown]
	ds_read2_b32 v[21:22], v66 offset0:128 offset1:160
	ds_read_b128 v[17:20], v132 offset:320
	s_waitcnt lgkmcnt(0)
	v_mul_u32_u24_sdwa v54, v17, v135 dst_sel:DWORD dst_unused:UNUSED_PAD src0_sel:WORD_0 src1_sel:DWORD
	v_mul_u32_u24_sdwa v55, v17, v135 dst_sel:DWORD dst_unused:UNUSED_PAD src0_sel:WORD_1 src1_sel:DWORD
	v_mul_u32_u24_sdwa v56, v18, v135 dst_sel:DWORD dst_unused:UNUSED_PAD src0_sel:WORD_0 src1_sel:DWORD
	v_mul_u32_u24_sdwa v57, v18, v135 dst_sel:DWORD dst_unused:UNUSED_PAD src0_sel:WORD_1 src1_sel:DWORD
	;; [unrolled: 2-line block ×4, first 2 shown]
	ds_read_b128 v[17:20], v132 offset:1344
	v_pk_fma_f16 v40, v21, v54, v40
	v_pk_fma_f16 v41, v21, v55, v41
	;; [unrolled: 1-line block ×8, first 2 shown]
	s_waitcnt lgkmcnt(0)
	v_mul_u32_u24_sdwa v62, v17, v135 dst_sel:DWORD dst_unused:UNUSED_PAD src0_sel:WORD_0 src1_sel:DWORD
	v_mul_u32_u24_sdwa v17, v17, v135 dst_sel:DWORD dst_unused:UNUSED_PAD src0_sel:WORD_1 src1_sel:DWORD
	v_mul_u32_u24_sdwa v63, v18, v135 dst_sel:DWORD dst_unused:UNUSED_PAD src0_sel:WORD_0 src1_sel:DWORD
	v_mul_u32_u24_sdwa v18, v18, v135 dst_sel:DWORD dst_unused:UNUSED_PAD src0_sel:WORD_1 src1_sel:DWORD
	v_mul_u32_u24_sdwa v64, v19, v135 dst_sel:DWORD dst_unused:UNUSED_PAD src0_sel:WORD_0 src1_sel:DWORD
	v_mul_u32_u24_sdwa v19, v19, v135 dst_sel:DWORD dst_unused:UNUSED_PAD src0_sel:WORD_1 src1_sel:DWORD
	v_mul_u32_u24_sdwa v65, v20, v135 dst_sel:DWORD dst_unused:UNUSED_PAD src0_sel:WORD_0 src1_sel:DWORD
	v_mul_u32_u24_sdwa v20, v20, v135 dst_sel:DWORD dst_unused:UNUSED_PAD src0_sel:WORD_1 src1_sel:DWORD
	v_pk_fma_f16 v46, v21, v62, v46
	v_pk_fma_f16 v47, v21, v17, v47
	;; [unrolled: 1-line block ×8, first 2 shown]
	ds_read_b128 v[17:20], v132 offset:336
	s_waitcnt lgkmcnt(0)
	v_mul_u32_u24_sdwa v53, v17, v135 dst_sel:DWORD dst_unused:UNUSED_PAD src0_sel:WORD_0 src1_sel:DWORD
	v_mul_u32_u24_sdwa v54, v17, v135 dst_sel:DWORD dst_unused:UNUSED_PAD src0_sel:WORD_1 src1_sel:DWORD
	v_mul_u32_u24_sdwa v55, v18, v135 dst_sel:DWORD dst_unused:UNUSED_PAD src0_sel:WORD_0 src1_sel:DWORD
	v_mul_u32_u24_sdwa v56, v18, v135 dst_sel:DWORD dst_unused:UNUSED_PAD src0_sel:WORD_1 src1_sel:DWORD
	;; [unrolled: 2-line block ×4, first 2 shown]
	ds_read_b128 v[17:20], v132 offset:1360
	v_pk_fma_f16 v40, v22, v53, v40
	v_pk_fma_f16 v41, v22, v54, v41
	;; [unrolled: 1-line block ×8, first 2 shown]
	s_waitcnt lgkmcnt(0)
	v_mul_u32_u24_sdwa v61, v17, v135 dst_sel:DWORD dst_unused:UNUSED_PAD src0_sel:WORD_0 src1_sel:DWORD
	v_mul_u32_u24_sdwa v17, v17, v135 dst_sel:DWORD dst_unused:UNUSED_PAD src0_sel:WORD_1 src1_sel:DWORD
	v_mul_u32_u24_sdwa v62, v18, v135 dst_sel:DWORD dst_unused:UNUSED_PAD src0_sel:WORD_0 src1_sel:DWORD
	v_mul_u32_u24_sdwa v18, v18, v135 dst_sel:DWORD dst_unused:UNUSED_PAD src0_sel:WORD_1 src1_sel:DWORD
	;; [unrolled: 2-line block ×4, first 2 shown]
	v_pk_fma_f16 v46, v22, v61, v46
	v_pk_fma_f16 v47, v22, v17, v47
	;; [unrolled: 1-line block ×8, first 2 shown]
	ds_read2_b32 v[21:22], v66 offset0:192 offset1:224
	ds_read_b128 v[17:20], v132 offset:352
	s_waitcnt lgkmcnt(0)
	v_mul_u32_u24_sdwa v54, v17, v135 dst_sel:DWORD dst_unused:UNUSED_PAD src0_sel:WORD_0 src1_sel:DWORD
	v_mul_u32_u24_sdwa v55, v17, v135 dst_sel:DWORD dst_unused:UNUSED_PAD src0_sel:WORD_1 src1_sel:DWORD
	v_mul_u32_u24_sdwa v56, v18, v135 dst_sel:DWORD dst_unused:UNUSED_PAD src0_sel:WORD_0 src1_sel:DWORD
	v_mul_u32_u24_sdwa v57, v18, v135 dst_sel:DWORD dst_unused:UNUSED_PAD src0_sel:WORD_1 src1_sel:DWORD
	;; [unrolled: 2-line block ×4, first 2 shown]
	ds_read_b128 v[17:20], v132 offset:1376
	v_pk_fma_f16 v40, v21, v54, v40
	v_pk_fma_f16 v41, v21, v55, v41
	;; [unrolled: 1-line block ×8, first 2 shown]
	s_waitcnt lgkmcnt(0)
	v_mul_u32_u24_sdwa v62, v17, v135 dst_sel:DWORD dst_unused:UNUSED_PAD src0_sel:WORD_0 src1_sel:DWORD
	v_mul_u32_u24_sdwa v17, v17, v135 dst_sel:DWORD dst_unused:UNUSED_PAD src0_sel:WORD_1 src1_sel:DWORD
	v_mul_u32_u24_sdwa v63, v18, v135 dst_sel:DWORD dst_unused:UNUSED_PAD src0_sel:WORD_0 src1_sel:DWORD
	v_mul_u32_u24_sdwa v18, v18, v135 dst_sel:DWORD dst_unused:UNUSED_PAD src0_sel:WORD_1 src1_sel:DWORD
	;; [unrolled: 2-line block ×4, first 2 shown]
	v_pk_fma_f16 v46, v21, v62, v46
	v_pk_fma_f16 v47, v21, v17, v47
	;; [unrolled: 1-line block ×8, first 2 shown]
	ds_read_b128 v[17:20], v132 offset:368
	s_waitcnt lgkmcnt(0)
	v_mul_u32_u24_sdwa v53, v17, v135 dst_sel:DWORD dst_unused:UNUSED_PAD src0_sel:WORD_0 src1_sel:DWORD
	v_mul_u32_u24_sdwa v54, v17, v135 dst_sel:DWORD dst_unused:UNUSED_PAD src0_sel:WORD_1 src1_sel:DWORD
	v_mul_u32_u24_sdwa v55, v18, v135 dst_sel:DWORD dst_unused:UNUSED_PAD src0_sel:WORD_0 src1_sel:DWORD
	v_mul_u32_u24_sdwa v56, v18, v135 dst_sel:DWORD dst_unused:UNUSED_PAD src0_sel:WORD_1 src1_sel:DWORD
	;; [unrolled: 2-line block ×4, first 2 shown]
	ds_read_b128 v[17:20], v132 offset:1392
	v_pk_fma_f16 v40, v22, v53, v40
	v_pk_fma_f16 v41, v22, v54, v41
	;; [unrolled: 1-line block ×8, first 2 shown]
	s_waitcnt lgkmcnt(0)
	v_mul_u32_u24_sdwa v61, v17, v135 dst_sel:DWORD dst_unused:UNUSED_PAD src0_sel:WORD_0 src1_sel:DWORD
	v_mul_u32_u24_sdwa v17, v17, v135 dst_sel:DWORD dst_unused:UNUSED_PAD src0_sel:WORD_1 src1_sel:DWORD
	v_mul_u32_u24_sdwa v62, v18, v135 dst_sel:DWORD dst_unused:UNUSED_PAD src0_sel:WORD_0 src1_sel:DWORD
	v_mul_u32_u24_sdwa v18, v18, v135 dst_sel:DWORD dst_unused:UNUSED_PAD src0_sel:WORD_1 src1_sel:DWORD
	;; [unrolled: 2-line block ×4, first 2 shown]
	v_pk_fma_f16 v46, v22, v61, v46
	v_pk_fma_f16 v47, v22, v17, v47
	;; [unrolled: 1-line block ×8, first 2 shown]
	ds_read2_b32 v[21:22], v114 offset1:32
	ds_read_b128 v[17:20], v132 offset:384
	s_waitcnt lgkmcnt(0)
	v_mul_u32_u24_sdwa v54, v17, v135 dst_sel:DWORD dst_unused:UNUSED_PAD src0_sel:WORD_0 src1_sel:DWORD
	v_mul_u32_u24_sdwa v55, v17, v135 dst_sel:DWORD dst_unused:UNUSED_PAD src0_sel:WORD_1 src1_sel:DWORD
	v_mul_u32_u24_sdwa v56, v18, v135 dst_sel:DWORD dst_unused:UNUSED_PAD src0_sel:WORD_0 src1_sel:DWORD
	v_mul_u32_u24_sdwa v57, v18, v135 dst_sel:DWORD dst_unused:UNUSED_PAD src0_sel:WORD_1 src1_sel:DWORD
	;; [unrolled: 2-line block ×4, first 2 shown]
	ds_read_b128 v[17:20], v132 offset:1408
	v_pk_fma_f16 v40, v21, v54, v40
	v_pk_fma_f16 v41, v21, v55, v41
	v_pk_fma_f16 v42, v21, v56, v42
	v_pk_fma_f16 v43, v21, v57, v43
	v_pk_fma_f16 v44, v21, v58, v44
	v_pk_fma_f16 v23, v21, v59, v23
	v_pk_fma_f16 v45, v21, v60, v45
	v_pk_fma_f16 v24, v21, v61, v24
	s_waitcnt lgkmcnt(0)
	v_mul_u32_u24_sdwa v62, v17, v135 dst_sel:DWORD dst_unused:UNUSED_PAD src0_sel:WORD_0 src1_sel:DWORD
	v_mul_u32_u24_sdwa v17, v17, v135 dst_sel:DWORD dst_unused:UNUSED_PAD src0_sel:WORD_1 src1_sel:DWORD
	v_mul_u32_u24_sdwa v63, v18, v135 dst_sel:DWORD dst_unused:UNUSED_PAD src0_sel:WORD_0 src1_sel:DWORD
	v_mul_u32_u24_sdwa v18, v18, v135 dst_sel:DWORD dst_unused:UNUSED_PAD src0_sel:WORD_1 src1_sel:DWORD
	;; [unrolled: 2-line block ×4, first 2 shown]
	v_pk_fma_f16 v46, v21, v62, v46
	v_pk_fma_f16 v47, v21, v17, v47
	;; [unrolled: 1-line block ×8, first 2 shown]
	ds_read_b128 v[17:20], v132 offset:400
	s_waitcnt lgkmcnt(0)
	v_mul_u32_u24_sdwa v53, v17, v135 dst_sel:DWORD dst_unused:UNUSED_PAD src0_sel:WORD_0 src1_sel:DWORD
	v_mul_u32_u24_sdwa v54, v17, v135 dst_sel:DWORD dst_unused:UNUSED_PAD src0_sel:WORD_1 src1_sel:DWORD
	v_mul_u32_u24_sdwa v55, v18, v135 dst_sel:DWORD dst_unused:UNUSED_PAD src0_sel:WORD_0 src1_sel:DWORD
	v_mul_u32_u24_sdwa v56, v18, v135 dst_sel:DWORD dst_unused:UNUSED_PAD src0_sel:WORD_1 src1_sel:DWORD
	;; [unrolled: 2-line block ×4, first 2 shown]
	ds_read_b128 v[17:20], v132 offset:1424
	v_pk_fma_f16 v40, v22, v53, v40
	v_pk_fma_f16 v41, v22, v54, v41
	;; [unrolled: 1-line block ×8, first 2 shown]
	s_waitcnt lgkmcnt(0)
	v_mul_u32_u24_sdwa v61, v17, v135 dst_sel:DWORD dst_unused:UNUSED_PAD src0_sel:WORD_0 src1_sel:DWORD
	v_mul_u32_u24_sdwa v17, v17, v135 dst_sel:DWORD dst_unused:UNUSED_PAD src0_sel:WORD_1 src1_sel:DWORD
	v_mul_u32_u24_sdwa v62, v18, v135 dst_sel:DWORD dst_unused:UNUSED_PAD src0_sel:WORD_0 src1_sel:DWORD
	v_mul_u32_u24_sdwa v18, v18, v135 dst_sel:DWORD dst_unused:UNUSED_PAD src0_sel:WORD_1 src1_sel:DWORD
	;; [unrolled: 2-line block ×4, first 2 shown]
	v_pk_fma_f16 v46, v22, v61, v46
	v_pk_fma_f16 v47, v22, v17, v47
	;; [unrolled: 1-line block ×8, first 2 shown]
	ds_read2_b32 v[21:22], v114 offset0:64 offset1:96
	ds_read_b128 v[17:20], v132 offset:416
	s_waitcnt lgkmcnt(0)
	v_mul_u32_u24_sdwa v54, v17, v135 dst_sel:DWORD dst_unused:UNUSED_PAD src0_sel:WORD_0 src1_sel:DWORD
	v_mul_u32_u24_sdwa v55, v17, v135 dst_sel:DWORD dst_unused:UNUSED_PAD src0_sel:WORD_1 src1_sel:DWORD
	v_mul_u32_u24_sdwa v56, v18, v135 dst_sel:DWORD dst_unused:UNUSED_PAD src0_sel:WORD_0 src1_sel:DWORD
	v_mul_u32_u24_sdwa v57, v18, v135 dst_sel:DWORD dst_unused:UNUSED_PAD src0_sel:WORD_1 src1_sel:DWORD
	;; [unrolled: 2-line block ×4, first 2 shown]
	ds_read_b128 v[17:20], v132 offset:1440
	v_pk_fma_f16 v40, v21, v54, v40
	v_pk_fma_f16 v41, v21, v55, v41
	;; [unrolled: 1-line block ×8, first 2 shown]
	s_waitcnt lgkmcnt(0)
	v_mul_u32_u24_sdwa v62, v17, v135 dst_sel:DWORD dst_unused:UNUSED_PAD src0_sel:WORD_0 src1_sel:DWORD
	v_mul_u32_u24_sdwa v17, v17, v135 dst_sel:DWORD dst_unused:UNUSED_PAD src0_sel:WORD_1 src1_sel:DWORD
	v_mul_u32_u24_sdwa v63, v18, v135 dst_sel:DWORD dst_unused:UNUSED_PAD src0_sel:WORD_0 src1_sel:DWORD
	v_mul_u32_u24_sdwa v18, v18, v135 dst_sel:DWORD dst_unused:UNUSED_PAD src0_sel:WORD_1 src1_sel:DWORD
	v_mul_u32_u24_sdwa v64, v19, v135 dst_sel:DWORD dst_unused:UNUSED_PAD src0_sel:WORD_0 src1_sel:DWORD
	v_mul_u32_u24_sdwa v19, v19, v135 dst_sel:DWORD dst_unused:UNUSED_PAD src0_sel:WORD_1 src1_sel:DWORD
	v_mul_u32_u24_sdwa v65, v20, v135 dst_sel:DWORD dst_unused:UNUSED_PAD src0_sel:WORD_0 src1_sel:DWORD
	v_mul_u32_u24_sdwa v20, v20, v135 dst_sel:DWORD dst_unused:UNUSED_PAD src0_sel:WORD_1 src1_sel:DWORD
	v_pk_fma_f16 v46, v21, v62, v46
	v_pk_fma_f16 v47, v21, v17, v47
	;; [unrolled: 1-line block ×8, first 2 shown]
	ds_read_b128 v[17:20], v132 offset:432
	s_waitcnt lgkmcnt(0)
	v_mul_u32_u24_sdwa v53, v17, v135 dst_sel:DWORD dst_unused:UNUSED_PAD src0_sel:WORD_0 src1_sel:DWORD
	v_mul_u32_u24_sdwa v54, v17, v135 dst_sel:DWORD dst_unused:UNUSED_PAD src0_sel:WORD_1 src1_sel:DWORD
	v_mul_u32_u24_sdwa v55, v18, v135 dst_sel:DWORD dst_unused:UNUSED_PAD src0_sel:WORD_0 src1_sel:DWORD
	v_mul_u32_u24_sdwa v56, v18, v135 dst_sel:DWORD dst_unused:UNUSED_PAD src0_sel:WORD_1 src1_sel:DWORD
	;; [unrolled: 2-line block ×4, first 2 shown]
	ds_read_b128 v[17:20], v132 offset:1456
	v_pk_fma_f16 v40, v22, v53, v40
	v_pk_fma_f16 v41, v22, v54, v41
	;; [unrolled: 1-line block ×8, first 2 shown]
	s_waitcnt lgkmcnt(0)
	v_mul_u32_u24_sdwa v61, v17, v135 dst_sel:DWORD dst_unused:UNUSED_PAD src0_sel:WORD_0 src1_sel:DWORD
	v_mul_u32_u24_sdwa v17, v17, v135 dst_sel:DWORD dst_unused:UNUSED_PAD src0_sel:WORD_1 src1_sel:DWORD
	v_mul_u32_u24_sdwa v62, v18, v135 dst_sel:DWORD dst_unused:UNUSED_PAD src0_sel:WORD_0 src1_sel:DWORD
	v_mul_u32_u24_sdwa v18, v18, v135 dst_sel:DWORD dst_unused:UNUSED_PAD src0_sel:WORD_1 src1_sel:DWORD
	;; [unrolled: 2-line block ×4, first 2 shown]
	v_pk_fma_f16 v46, v22, v61, v46
	v_pk_fma_f16 v47, v22, v17, v47
	;; [unrolled: 1-line block ×8, first 2 shown]
	ds_read2_b32 v[21:22], v114 offset0:128 offset1:160
	ds_read_b128 v[17:20], v132 offset:448
	s_waitcnt lgkmcnt(0)
	v_mul_u32_u24_sdwa v54, v17, v135 dst_sel:DWORD dst_unused:UNUSED_PAD src0_sel:WORD_0 src1_sel:DWORD
	v_mul_u32_u24_sdwa v55, v17, v135 dst_sel:DWORD dst_unused:UNUSED_PAD src0_sel:WORD_1 src1_sel:DWORD
	v_mul_u32_u24_sdwa v56, v18, v135 dst_sel:DWORD dst_unused:UNUSED_PAD src0_sel:WORD_0 src1_sel:DWORD
	v_mul_u32_u24_sdwa v57, v18, v135 dst_sel:DWORD dst_unused:UNUSED_PAD src0_sel:WORD_1 src1_sel:DWORD
	;; [unrolled: 2-line block ×4, first 2 shown]
	ds_read_b128 v[17:20], v132 offset:1472
	v_pk_fma_f16 v40, v21, v54, v40
	v_pk_fma_f16 v41, v21, v55, v41
	;; [unrolled: 1-line block ×8, first 2 shown]
	s_waitcnt lgkmcnt(0)
	v_mul_u32_u24_sdwa v62, v17, v135 dst_sel:DWORD dst_unused:UNUSED_PAD src0_sel:WORD_0 src1_sel:DWORD
	v_mul_u32_u24_sdwa v17, v17, v135 dst_sel:DWORD dst_unused:UNUSED_PAD src0_sel:WORD_1 src1_sel:DWORD
	v_mul_u32_u24_sdwa v63, v18, v135 dst_sel:DWORD dst_unused:UNUSED_PAD src0_sel:WORD_0 src1_sel:DWORD
	v_mul_u32_u24_sdwa v18, v18, v135 dst_sel:DWORD dst_unused:UNUSED_PAD src0_sel:WORD_1 src1_sel:DWORD
	;; [unrolled: 2-line block ×4, first 2 shown]
	v_pk_fma_f16 v46, v21, v62, v46
	v_pk_fma_f16 v47, v21, v17, v47
	;; [unrolled: 1-line block ×8, first 2 shown]
	ds_read_b128 v[17:20], v132 offset:464
	s_waitcnt lgkmcnt(0)
	v_mul_u32_u24_sdwa v53, v17, v135 dst_sel:DWORD dst_unused:UNUSED_PAD src0_sel:WORD_0 src1_sel:DWORD
	v_mul_u32_u24_sdwa v54, v17, v135 dst_sel:DWORD dst_unused:UNUSED_PAD src0_sel:WORD_1 src1_sel:DWORD
	v_mul_u32_u24_sdwa v55, v18, v135 dst_sel:DWORD dst_unused:UNUSED_PAD src0_sel:WORD_0 src1_sel:DWORD
	v_mul_u32_u24_sdwa v56, v18, v135 dst_sel:DWORD dst_unused:UNUSED_PAD src0_sel:WORD_1 src1_sel:DWORD
	;; [unrolled: 2-line block ×4, first 2 shown]
	ds_read_b128 v[17:20], v132 offset:1488
	v_pk_fma_f16 v40, v22, v53, v40
	v_pk_fma_f16 v41, v22, v54, v41
	;; [unrolled: 1-line block ×8, first 2 shown]
	s_waitcnt lgkmcnt(0)
	v_mul_u32_u24_sdwa v61, v17, v135 dst_sel:DWORD dst_unused:UNUSED_PAD src0_sel:WORD_0 src1_sel:DWORD
	v_mul_u32_u24_sdwa v17, v17, v135 dst_sel:DWORD dst_unused:UNUSED_PAD src0_sel:WORD_1 src1_sel:DWORD
	v_mul_u32_u24_sdwa v62, v18, v135 dst_sel:DWORD dst_unused:UNUSED_PAD src0_sel:WORD_0 src1_sel:DWORD
	v_mul_u32_u24_sdwa v18, v18, v135 dst_sel:DWORD dst_unused:UNUSED_PAD src0_sel:WORD_1 src1_sel:DWORD
	;; [unrolled: 2-line block ×4, first 2 shown]
	v_pk_fma_f16 v46, v22, v61, v46
	v_pk_fma_f16 v47, v22, v17, v47
	;; [unrolled: 1-line block ×8, first 2 shown]
	ds_read2_b32 v[21:22], v114 offset0:192 offset1:224
	ds_read_b128 v[17:20], v132 offset:480
	s_waitcnt lgkmcnt(0)
	v_mul_u32_u24_sdwa v54, v17, v135 dst_sel:DWORD dst_unused:UNUSED_PAD src0_sel:WORD_0 src1_sel:DWORD
	v_mul_u32_u24_sdwa v55, v17, v135 dst_sel:DWORD dst_unused:UNUSED_PAD src0_sel:WORD_1 src1_sel:DWORD
	v_mul_u32_u24_sdwa v56, v18, v135 dst_sel:DWORD dst_unused:UNUSED_PAD src0_sel:WORD_0 src1_sel:DWORD
	v_mul_u32_u24_sdwa v57, v18, v135 dst_sel:DWORD dst_unused:UNUSED_PAD src0_sel:WORD_1 src1_sel:DWORD
	;; [unrolled: 2-line block ×4, first 2 shown]
	ds_read_b128 v[17:20], v132 offset:1504
	v_pk_fma_f16 v40, v21, v54, v40
	v_pk_fma_f16 v41, v21, v55, v41
	;; [unrolled: 1-line block ×8, first 2 shown]
	s_waitcnt lgkmcnt(0)
	v_mul_u32_u24_sdwa v62, v17, v135 dst_sel:DWORD dst_unused:UNUSED_PAD src0_sel:WORD_0 src1_sel:DWORD
	v_mul_u32_u24_sdwa v17, v17, v135 dst_sel:DWORD dst_unused:UNUSED_PAD src0_sel:WORD_1 src1_sel:DWORD
	v_mul_u32_u24_sdwa v63, v18, v135 dst_sel:DWORD dst_unused:UNUSED_PAD src0_sel:WORD_0 src1_sel:DWORD
	v_mul_u32_u24_sdwa v18, v18, v135 dst_sel:DWORD dst_unused:UNUSED_PAD src0_sel:WORD_1 src1_sel:DWORD
	;; [unrolled: 2-line block ×4, first 2 shown]
	v_pk_fma_f16 v46, v21, v62, v46
	v_pk_fma_f16 v47, v21, v17, v47
	;; [unrolled: 1-line block ×8, first 2 shown]
	ds_read_b128 v[17:20], v132 offset:496
	s_waitcnt lgkmcnt(0)
	v_mul_u32_u24_sdwa v53, v17, v135 dst_sel:DWORD dst_unused:UNUSED_PAD src0_sel:WORD_0 src1_sel:DWORD
	v_mul_u32_u24_sdwa v54, v17, v135 dst_sel:DWORD dst_unused:UNUSED_PAD src0_sel:WORD_1 src1_sel:DWORD
	v_mul_u32_u24_sdwa v55, v18, v135 dst_sel:DWORD dst_unused:UNUSED_PAD src0_sel:WORD_0 src1_sel:DWORD
	v_mul_u32_u24_sdwa v56, v18, v135 dst_sel:DWORD dst_unused:UNUSED_PAD src0_sel:WORD_1 src1_sel:DWORD
	;; [unrolled: 2-line block ×4, first 2 shown]
	ds_read_b128 v[17:20], v132 offset:1520
	v_pk_fma_f16 v40, v22, v53, v40
	v_pk_fma_f16 v41, v22, v54, v41
	;; [unrolled: 1-line block ×8, first 2 shown]
	s_waitcnt lgkmcnt(0)
	v_mul_u32_u24_sdwa v61, v17, v135 dst_sel:DWORD dst_unused:UNUSED_PAD src0_sel:WORD_0 src1_sel:DWORD
	v_mul_u32_u24_sdwa v17, v17, v135 dst_sel:DWORD dst_unused:UNUSED_PAD src0_sel:WORD_1 src1_sel:DWORD
	v_mul_u32_u24_sdwa v62, v18, v135 dst_sel:DWORD dst_unused:UNUSED_PAD src0_sel:WORD_0 src1_sel:DWORD
	v_mul_u32_u24_sdwa v18, v18, v135 dst_sel:DWORD dst_unused:UNUSED_PAD src0_sel:WORD_1 src1_sel:DWORD
	;; [unrolled: 2-line block ×4, first 2 shown]
	v_pk_fma_f16 v46, v22, v61, v46
	v_pk_fma_f16 v47, v22, v17, v47
	;; [unrolled: 1-line block ×8, first 2 shown]
	ds_read2_b32 v[21:22], v92 offset1:32
	ds_read_b128 v[17:20], v132 offset:512
	s_waitcnt lgkmcnt(0)
	v_mul_u32_u24_sdwa v54, v17, v135 dst_sel:DWORD dst_unused:UNUSED_PAD src0_sel:WORD_0 src1_sel:DWORD
	v_mul_u32_u24_sdwa v55, v17, v135 dst_sel:DWORD dst_unused:UNUSED_PAD src0_sel:WORD_1 src1_sel:DWORD
	v_mul_u32_u24_sdwa v56, v18, v135 dst_sel:DWORD dst_unused:UNUSED_PAD src0_sel:WORD_0 src1_sel:DWORD
	v_mul_u32_u24_sdwa v57, v18, v135 dst_sel:DWORD dst_unused:UNUSED_PAD src0_sel:WORD_1 src1_sel:DWORD
	;; [unrolled: 2-line block ×4, first 2 shown]
	ds_read_b128 v[17:20], v132 offset:1536
	v_pk_fma_f16 v40, v21, v54, v40
	v_pk_fma_f16 v41, v21, v55, v41
	;; [unrolled: 1-line block ×8, first 2 shown]
	s_waitcnt lgkmcnt(0)
	v_mul_u32_u24_sdwa v62, v17, v135 dst_sel:DWORD dst_unused:UNUSED_PAD src0_sel:WORD_0 src1_sel:DWORD
	v_mul_u32_u24_sdwa v17, v17, v135 dst_sel:DWORD dst_unused:UNUSED_PAD src0_sel:WORD_1 src1_sel:DWORD
	v_mul_u32_u24_sdwa v63, v18, v135 dst_sel:DWORD dst_unused:UNUSED_PAD src0_sel:WORD_0 src1_sel:DWORD
	v_mul_u32_u24_sdwa v18, v18, v135 dst_sel:DWORD dst_unused:UNUSED_PAD src0_sel:WORD_1 src1_sel:DWORD
	;; [unrolled: 2-line block ×4, first 2 shown]
	v_pk_fma_f16 v46, v21, v62, v46
	v_pk_fma_f16 v47, v21, v17, v47
	;; [unrolled: 1-line block ×8, first 2 shown]
	ds_read_b128 v[17:20], v132 offset:528
	s_waitcnt lgkmcnt(0)
	v_mul_u32_u24_sdwa v53, v17, v135 dst_sel:DWORD dst_unused:UNUSED_PAD src0_sel:WORD_0 src1_sel:DWORD
	v_mul_u32_u24_sdwa v54, v17, v135 dst_sel:DWORD dst_unused:UNUSED_PAD src0_sel:WORD_1 src1_sel:DWORD
	v_mul_u32_u24_sdwa v55, v18, v135 dst_sel:DWORD dst_unused:UNUSED_PAD src0_sel:WORD_0 src1_sel:DWORD
	v_mul_u32_u24_sdwa v56, v18, v135 dst_sel:DWORD dst_unused:UNUSED_PAD src0_sel:WORD_1 src1_sel:DWORD
	;; [unrolled: 2-line block ×4, first 2 shown]
	ds_read_b128 v[17:20], v132 offset:1552
	v_pk_fma_f16 v40, v22, v53, v40
	v_pk_fma_f16 v41, v22, v54, v41
	;; [unrolled: 1-line block ×8, first 2 shown]
	s_waitcnt lgkmcnt(0)
	v_mul_u32_u24_sdwa v61, v17, v135 dst_sel:DWORD dst_unused:UNUSED_PAD src0_sel:WORD_0 src1_sel:DWORD
	v_mul_u32_u24_sdwa v17, v17, v135 dst_sel:DWORD dst_unused:UNUSED_PAD src0_sel:WORD_1 src1_sel:DWORD
	v_mul_u32_u24_sdwa v62, v18, v135 dst_sel:DWORD dst_unused:UNUSED_PAD src0_sel:WORD_0 src1_sel:DWORD
	v_mul_u32_u24_sdwa v18, v18, v135 dst_sel:DWORD dst_unused:UNUSED_PAD src0_sel:WORD_1 src1_sel:DWORD
	;; [unrolled: 2-line block ×4, first 2 shown]
	v_pk_fma_f16 v46, v22, v61, v46
	v_pk_fma_f16 v47, v22, v17, v47
	;; [unrolled: 1-line block ×8, first 2 shown]
	ds_read2_b32 v[21:22], v92 offset0:64 offset1:96
	ds_read_b128 v[17:20], v132 offset:544
	s_waitcnt lgkmcnt(0)
	v_mul_u32_u24_sdwa v54, v17, v135 dst_sel:DWORD dst_unused:UNUSED_PAD src0_sel:WORD_0 src1_sel:DWORD
	v_mul_u32_u24_sdwa v55, v17, v135 dst_sel:DWORD dst_unused:UNUSED_PAD src0_sel:WORD_1 src1_sel:DWORD
	v_mul_u32_u24_sdwa v56, v18, v135 dst_sel:DWORD dst_unused:UNUSED_PAD src0_sel:WORD_0 src1_sel:DWORD
	v_mul_u32_u24_sdwa v57, v18, v135 dst_sel:DWORD dst_unused:UNUSED_PAD src0_sel:WORD_1 src1_sel:DWORD
	;; [unrolled: 2-line block ×4, first 2 shown]
	ds_read_b128 v[17:20], v132 offset:1568
	v_pk_fma_f16 v40, v21, v54, v40
	v_pk_fma_f16 v41, v21, v55, v41
	;; [unrolled: 1-line block ×8, first 2 shown]
	s_waitcnt lgkmcnt(0)
	v_mul_u32_u24_sdwa v62, v17, v135 dst_sel:DWORD dst_unused:UNUSED_PAD src0_sel:WORD_0 src1_sel:DWORD
	v_mul_u32_u24_sdwa v17, v17, v135 dst_sel:DWORD dst_unused:UNUSED_PAD src0_sel:WORD_1 src1_sel:DWORD
	v_mul_u32_u24_sdwa v63, v18, v135 dst_sel:DWORD dst_unused:UNUSED_PAD src0_sel:WORD_0 src1_sel:DWORD
	v_mul_u32_u24_sdwa v18, v18, v135 dst_sel:DWORD dst_unused:UNUSED_PAD src0_sel:WORD_1 src1_sel:DWORD
	;; [unrolled: 2-line block ×4, first 2 shown]
	v_pk_fma_f16 v46, v21, v62, v46
	v_pk_fma_f16 v47, v21, v17, v47
	;; [unrolled: 1-line block ×8, first 2 shown]
	ds_read_b128 v[17:20], v132 offset:560
	s_waitcnt lgkmcnt(0)
	v_mul_u32_u24_sdwa v53, v17, v135 dst_sel:DWORD dst_unused:UNUSED_PAD src0_sel:WORD_0 src1_sel:DWORD
	v_mul_u32_u24_sdwa v54, v17, v135 dst_sel:DWORD dst_unused:UNUSED_PAD src0_sel:WORD_1 src1_sel:DWORD
	v_mul_u32_u24_sdwa v55, v18, v135 dst_sel:DWORD dst_unused:UNUSED_PAD src0_sel:WORD_0 src1_sel:DWORD
	v_mul_u32_u24_sdwa v56, v18, v135 dst_sel:DWORD dst_unused:UNUSED_PAD src0_sel:WORD_1 src1_sel:DWORD
	;; [unrolled: 2-line block ×4, first 2 shown]
	ds_read_b128 v[17:20], v132 offset:1584
	v_pk_fma_f16 v40, v22, v53, v40
	v_pk_fma_f16 v41, v22, v54, v41
	;; [unrolled: 1-line block ×8, first 2 shown]
	s_waitcnt lgkmcnt(0)
	v_mul_u32_u24_sdwa v61, v17, v135 dst_sel:DWORD dst_unused:UNUSED_PAD src0_sel:WORD_0 src1_sel:DWORD
	v_mul_u32_u24_sdwa v17, v17, v135 dst_sel:DWORD dst_unused:UNUSED_PAD src0_sel:WORD_1 src1_sel:DWORD
	v_mul_u32_u24_sdwa v62, v18, v135 dst_sel:DWORD dst_unused:UNUSED_PAD src0_sel:WORD_0 src1_sel:DWORD
	v_mul_u32_u24_sdwa v18, v18, v135 dst_sel:DWORD dst_unused:UNUSED_PAD src0_sel:WORD_1 src1_sel:DWORD
	;; [unrolled: 2-line block ×4, first 2 shown]
	v_pk_fma_f16 v46, v22, v61, v46
	v_pk_fma_f16 v47, v22, v17, v47
	;; [unrolled: 1-line block ×8, first 2 shown]
	ds_read2_b32 v[21:22], v92 offset0:128 offset1:160
	ds_read_b128 v[17:20], v132 offset:576
	s_waitcnt lgkmcnt(0)
	v_mul_u32_u24_sdwa v54, v17, v135 dst_sel:DWORD dst_unused:UNUSED_PAD src0_sel:WORD_0 src1_sel:DWORD
	v_mul_u32_u24_sdwa v55, v17, v135 dst_sel:DWORD dst_unused:UNUSED_PAD src0_sel:WORD_1 src1_sel:DWORD
	v_mul_u32_u24_sdwa v56, v18, v135 dst_sel:DWORD dst_unused:UNUSED_PAD src0_sel:WORD_0 src1_sel:DWORD
	v_mul_u32_u24_sdwa v57, v18, v135 dst_sel:DWORD dst_unused:UNUSED_PAD src0_sel:WORD_1 src1_sel:DWORD
	v_mul_u32_u24_sdwa v58, v19, v135 dst_sel:DWORD dst_unused:UNUSED_PAD src0_sel:WORD_0 src1_sel:DWORD
	v_mul_u32_u24_sdwa v59, v19, v135 dst_sel:DWORD dst_unused:UNUSED_PAD src0_sel:WORD_1 src1_sel:DWORD
	v_mul_u32_u24_sdwa v60, v20, v135 dst_sel:DWORD dst_unused:UNUSED_PAD src0_sel:WORD_0 src1_sel:DWORD
	v_mul_u32_u24_sdwa v61, v20, v135 dst_sel:DWORD dst_unused:UNUSED_PAD src0_sel:WORD_1 src1_sel:DWORD
	ds_read_b128 v[17:20], v132 offset:1600
	v_pk_fma_f16 v40, v21, v54, v40
	v_pk_fma_f16 v41, v21, v55, v41
	;; [unrolled: 1-line block ×8, first 2 shown]
	s_waitcnt lgkmcnt(0)
	v_mul_u32_u24_sdwa v62, v17, v135 dst_sel:DWORD dst_unused:UNUSED_PAD src0_sel:WORD_0 src1_sel:DWORD
	v_mul_u32_u24_sdwa v17, v17, v135 dst_sel:DWORD dst_unused:UNUSED_PAD src0_sel:WORD_1 src1_sel:DWORD
	v_mul_u32_u24_sdwa v63, v18, v135 dst_sel:DWORD dst_unused:UNUSED_PAD src0_sel:WORD_0 src1_sel:DWORD
	v_mul_u32_u24_sdwa v18, v18, v135 dst_sel:DWORD dst_unused:UNUSED_PAD src0_sel:WORD_1 src1_sel:DWORD
	;; [unrolled: 2-line block ×4, first 2 shown]
	v_pk_fma_f16 v46, v21, v62, v46
	v_pk_fma_f16 v47, v21, v17, v47
	;; [unrolled: 1-line block ×8, first 2 shown]
	ds_read_b128 v[17:20], v132 offset:592
	s_waitcnt lgkmcnt(0)
	v_mul_u32_u24_sdwa v53, v17, v135 dst_sel:DWORD dst_unused:UNUSED_PAD src0_sel:WORD_0 src1_sel:DWORD
	v_mul_u32_u24_sdwa v54, v17, v135 dst_sel:DWORD dst_unused:UNUSED_PAD src0_sel:WORD_1 src1_sel:DWORD
	v_mul_u32_u24_sdwa v55, v18, v135 dst_sel:DWORD dst_unused:UNUSED_PAD src0_sel:WORD_0 src1_sel:DWORD
	v_mul_u32_u24_sdwa v56, v18, v135 dst_sel:DWORD dst_unused:UNUSED_PAD src0_sel:WORD_1 src1_sel:DWORD
	;; [unrolled: 2-line block ×4, first 2 shown]
	ds_read_b128 v[17:20], v132 offset:1616
	v_pk_fma_f16 v40, v22, v53, v40
	v_pk_fma_f16 v41, v22, v54, v41
	;; [unrolled: 1-line block ×8, first 2 shown]
	s_waitcnt lgkmcnt(0)
	v_mul_u32_u24_sdwa v61, v17, v135 dst_sel:DWORD dst_unused:UNUSED_PAD src0_sel:WORD_0 src1_sel:DWORD
	v_mul_u32_u24_sdwa v17, v17, v135 dst_sel:DWORD dst_unused:UNUSED_PAD src0_sel:WORD_1 src1_sel:DWORD
	v_mul_u32_u24_sdwa v62, v18, v135 dst_sel:DWORD dst_unused:UNUSED_PAD src0_sel:WORD_0 src1_sel:DWORD
	v_mul_u32_u24_sdwa v18, v18, v135 dst_sel:DWORD dst_unused:UNUSED_PAD src0_sel:WORD_1 src1_sel:DWORD
	;; [unrolled: 2-line block ×4, first 2 shown]
	v_pk_fma_f16 v46, v22, v61, v46
	v_pk_fma_f16 v47, v22, v17, v47
	v_pk_fma_f16 v48, v22, v62, v48
	v_pk_fma_f16 v49, v22, v18, v49
	v_pk_fma_f16 v50, v22, v63, v50
	v_pk_fma_f16 v51, v22, v19, v51
	v_pk_fma_f16 v52, v22, v64, v52
	v_pk_fma_f16 v53, v22, v20, v21
	ds_read2_b32 v[21:22], v92 offset0:192 offset1:224
	ds_read_b128 v[17:20], v132 offset:608
	s_waitcnt lgkmcnt(0)
	v_mul_u32_u24_sdwa v54, v17, v135 dst_sel:DWORD dst_unused:UNUSED_PAD src0_sel:WORD_0 src1_sel:DWORD
	v_mul_u32_u24_sdwa v55, v17, v135 dst_sel:DWORD dst_unused:UNUSED_PAD src0_sel:WORD_1 src1_sel:DWORD
	v_mul_u32_u24_sdwa v56, v18, v135 dst_sel:DWORD dst_unused:UNUSED_PAD src0_sel:WORD_0 src1_sel:DWORD
	v_mul_u32_u24_sdwa v57, v18, v135 dst_sel:DWORD dst_unused:UNUSED_PAD src0_sel:WORD_1 src1_sel:DWORD
	;; [unrolled: 2-line block ×4, first 2 shown]
	ds_read_b128 v[17:20], v132 offset:1632
	v_pk_fma_f16 v40, v21, v54, v40
	v_pk_fma_f16 v41, v21, v55, v41
	;; [unrolled: 1-line block ×8, first 2 shown]
	s_waitcnt lgkmcnt(0)
	v_mul_u32_u24_sdwa v62, v17, v135 dst_sel:DWORD dst_unused:UNUSED_PAD src0_sel:WORD_0 src1_sel:DWORD
	v_mul_u32_u24_sdwa v17, v17, v135 dst_sel:DWORD dst_unused:UNUSED_PAD src0_sel:WORD_1 src1_sel:DWORD
	v_mul_u32_u24_sdwa v63, v18, v135 dst_sel:DWORD dst_unused:UNUSED_PAD src0_sel:WORD_0 src1_sel:DWORD
	v_mul_u32_u24_sdwa v18, v18, v135 dst_sel:DWORD dst_unused:UNUSED_PAD src0_sel:WORD_1 src1_sel:DWORD
	;; [unrolled: 2-line block ×4, first 2 shown]
	v_pk_fma_f16 v46, v21, v62, v46
	v_pk_fma_f16 v47, v21, v17, v47
	;; [unrolled: 1-line block ×8, first 2 shown]
	ds_read_b128 v[17:20], v132 offset:624
	s_waitcnt lgkmcnt(0)
	v_mul_u32_u24_sdwa v53, v17, v135 dst_sel:DWORD dst_unused:UNUSED_PAD src0_sel:WORD_0 src1_sel:DWORD
	v_mul_u32_u24_sdwa v54, v17, v135 dst_sel:DWORD dst_unused:UNUSED_PAD src0_sel:WORD_1 src1_sel:DWORD
	v_mul_u32_u24_sdwa v55, v18, v135 dst_sel:DWORD dst_unused:UNUSED_PAD src0_sel:WORD_0 src1_sel:DWORD
	v_mul_u32_u24_sdwa v56, v18, v135 dst_sel:DWORD dst_unused:UNUSED_PAD src0_sel:WORD_1 src1_sel:DWORD
	;; [unrolled: 2-line block ×4, first 2 shown]
	ds_read_b128 v[17:20], v132 offset:1648
	v_pk_fma_f16 v40, v22, v53, v40
	v_pk_fma_f16 v41, v22, v54, v41
	;; [unrolled: 1-line block ×8, first 2 shown]
	s_waitcnt lgkmcnt(0)
	v_mul_u32_u24_sdwa v61, v17, v135 dst_sel:DWORD dst_unused:UNUSED_PAD src0_sel:WORD_0 src1_sel:DWORD
	v_mul_u32_u24_sdwa v17, v17, v135 dst_sel:DWORD dst_unused:UNUSED_PAD src0_sel:WORD_1 src1_sel:DWORD
	v_mul_u32_u24_sdwa v62, v18, v135 dst_sel:DWORD dst_unused:UNUSED_PAD src0_sel:WORD_0 src1_sel:DWORD
	v_mul_u32_u24_sdwa v18, v18, v135 dst_sel:DWORD dst_unused:UNUSED_PAD src0_sel:WORD_1 src1_sel:DWORD
	;; [unrolled: 2-line block ×4, first 2 shown]
	v_pk_fma_f16 v46, v22, v61, v46
	v_pk_fma_f16 v47, v22, v17, v47
	;; [unrolled: 1-line block ×8, first 2 shown]
	ds_read2_b32 v[21:22], v94 offset1:32
	ds_read_b128 v[17:20], v132 offset:640
	s_waitcnt lgkmcnt(0)
	v_mul_u32_u24_sdwa v54, v17, v135 dst_sel:DWORD dst_unused:UNUSED_PAD src0_sel:WORD_0 src1_sel:DWORD
	v_mul_u32_u24_sdwa v55, v17, v135 dst_sel:DWORD dst_unused:UNUSED_PAD src0_sel:WORD_1 src1_sel:DWORD
	v_mul_u32_u24_sdwa v56, v18, v135 dst_sel:DWORD dst_unused:UNUSED_PAD src0_sel:WORD_0 src1_sel:DWORD
	v_mul_u32_u24_sdwa v57, v18, v135 dst_sel:DWORD dst_unused:UNUSED_PAD src0_sel:WORD_1 src1_sel:DWORD
	;; [unrolled: 2-line block ×4, first 2 shown]
	ds_read_b128 v[17:20], v132 offset:1664
	v_pk_fma_f16 v40, v21, v54, v40
	v_pk_fma_f16 v41, v21, v55, v41
	;; [unrolled: 1-line block ×8, first 2 shown]
	s_waitcnt lgkmcnt(0)
	v_mul_u32_u24_sdwa v62, v17, v135 dst_sel:DWORD dst_unused:UNUSED_PAD src0_sel:WORD_0 src1_sel:DWORD
	v_mul_u32_u24_sdwa v17, v17, v135 dst_sel:DWORD dst_unused:UNUSED_PAD src0_sel:WORD_1 src1_sel:DWORD
	v_mul_u32_u24_sdwa v63, v18, v135 dst_sel:DWORD dst_unused:UNUSED_PAD src0_sel:WORD_0 src1_sel:DWORD
	v_mul_u32_u24_sdwa v18, v18, v135 dst_sel:DWORD dst_unused:UNUSED_PAD src0_sel:WORD_1 src1_sel:DWORD
	;; [unrolled: 2-line block ×4, first 2 shown]
	v_pk_fma_f16 v46, v21, v62, v46
	v_pk_fma_f16 v47, v21, v17, v47
	;; [unrolled: 1-line block ×8, first 2 shown]
	ds_read_b128 v[17:20], v132 offset:656
	s_waitcnt lgkmcnt(0)
	v_mul_u32_u24_sdwa v53, v17, v135 dst_sel:DWORD dst_unused:UNUSED_PAD src0_sel:WORD_0 src1_sel:DWORD
	v_mul_u32_u24_sdwa v54, v17, v135 dst_sel:DWORD dst_unused:UNUSED_PAD src0_sel:WORD_1 src1_sel:DWORD
	v_mul_u32_u24_sdwa v55, v18, v135 dst_sel:DWORD dst_unused:UNUSED_PAD src0_sel:WORD_0 src1_sel:DWORD
	v_mul_u32_u24_sdwa v56, v18, v135 dst_sel:DWORD dst_unused:UNUSED_PAD src0_sel:WORD_1 src1_sel:DWORD
	;; [unrolled: 2-line block ×4, first 2 shown]
	ds_read_b128 v[17:20], v132 offset:1680
	v_pk_fma_f16 v40, v22, v53, v40
	v_pk_fma_f16 v41, v22, v54, v41
	;; [unrolled: 1-line block ×8, first 2 shown]
	s_waitcnt lgkmcnt(0)
	v_mul_u32_u24_sdwa v61, v17, v135 dst_sel:DWORD dst_unused:UNUSED_PAD src0_sel:WORD_0 src1_sel:DWORD
	v_mul_u32_u24_sdwa v17, v17, v135 dst_sel:DWORD dst_unused:UNUSED_PAD src0_sel:WORD_1 src1_sel:DWORD
	v_mul_u32_u24_sdwa v62, v18, v135 dst_sel:DWORD dst_unused:UNUSED_PAD src0_sel:WORD_0 src1_sel:DWORD
	v_mul_u32_u24_sdwa v18, v18, v135 dst_sel:DWORD dst_unused:UNUSED_PAD src0_sel:WORD_1 src1_sel:DWORD
	;; [unrolled: 2-line block ×4, first 2 shown]
	v_pk_fma_f16 v46, v22, v61, v46
	v_pk_fma_f16 v47, v22, v17, v47
	;; [unrolled: 1-line block ×8, first 2 shown]
	ds_read2_b32 v[21:22], v94 offset0:64 offset1:96
	ds_read_b128 v[17:20], v132 offset:672
	s_waitcnt lgkmcnt(0)
	v_mul_u32_u24_sdwa v54, v17, v135 dst_sel:DWORD dst_unused:UNUSED_PAD src0_sel:WORD_0 src1_sel:DWORD
	v_mul_u32_u24_sdwa v55, v17, v135 dst_sel:DWORD dst_unused:UNUSED_PAD src0_sel:WORD_1 src1_sel:DWORD
	v_mul_u32_u24_sdwa v56, v18, v135 dst_sel:DWORD dst_unused:UNUSED_PAD src0_sel:WORD_0 src1_sel:DWORD
	v_mul_u32_u24_sdwa v57, v18, v135 dst_sel:DWORD dst_unused:UNUSED_PAD src0_sel:WORD_1 src1_sel:DWORD
	;; [unrolled: 2-line block ×4, first 2 shown]
	ds_read_b128 v[17:20], v132 offset:1696
	v_pk_fma_f16 v40, v21, v54, v40
	v_pk_fma_f16 v41, v21, v55, v41
	;; [unrolled: 1-line block ×8, first 2 shown]
	s_waitcnt lgkmcnt(0)
	v_mul_u32_u24_sdwa v62, v17, v135 dst_sel:DWORD dst_unused:UNUSED_PAD src0_sel:WORD_0 src1_sel:DWORD
	v_mul_u32_u24_sdwa v17, v17, v135 dst_sel:DWORD dst_unused:UNUSED_PAD src0_sel:WORD_1 src1_sel:DWORD
	v_mul_u32_u24_sdwa v63, v18, v135 dst_sel:DWORD dst_unused:UNUSED_PAD src0_sel:WORD_0 src1_sel:DWORD
	v_mul_u32_u24_sdwa v18, v18, v135 dst_sel:DWORD dst_unused:UNUSED_PAD src0_sel:WORD_1 src1_sel:DWORD
	;; [unrolled: 2-line block ×4, first 2 shown]
	v_pk_fma_f16 v46, v21, v62, v46
	v_pk_fma_f16 v47, v21, v17, v47
	;; [unrolled: 1-line block ×8, first 2 shown]
	ds_read_b128 v[17:20], v132 offset:688
	s_waitcnt lgkmcnt(0)
	v_mul_u32_u24_sdwa v53, v17, v135 dst_sel:DWORD dst_unused:UNUSED_PAD src0_sel:WORD_0 src1_sel:DWORD
	v_mul_u32_u24_sdwa v54, v17, v135 dst_sel:DWORD dst_unused:UNUSED_PAD src0_sel:WORD_1 src1_sel:DWORD
	v_mul_u32_u24_sdwa v55, v18, v135 dst_sel:DWORD dst_unused:UNUSED_PAD src0_sel:WORD_0 src1_sel:DWORD
	v_mul_u32_u24_sdwa v56, v18, v135 dst_sel:DWORD dst_unused:UNUSED_PAD src0_sel:WORD_1 src1_sel:DWORD
	;; [unrolled: 2-line block ×4, first 2 shown]
	ds_read_b128 v[17:20], v132 offset:1712
	v_pk_fma_f16 v40, v22, v53, v40
	v_pk_fma_f16 v41, v22, v54, v41
	v_pk_fma_f16 v42, v22, v55, v42
	v_pk_fma_f16 v43, v22, v56, v43
	v_pk_fma_f16 v44, v22, v57, v44
	v_pk_fma_f16 v23, v22, v58, v23
	v_pk_fma_f16 v45, v22, v59, v45
	v_pk_fma_f16 v24, v22, v60, v24
	s_waitcnt lgkmcnt(0)
	v_mul_u32_u24_sdwa v61, v17, v135 dst_sel:DWORD dst_unused:UNUSED_PAD src0_sel:WORD_0 src1_sel:DWORD
	v_mul_u32_u24_sdwa v17, v17, v135 dst_sel:DWORD dst_unused:UNUSED_PAD src0_sel:WORD_1 src1_sel:DWORD
	v_mul_u32_u24_sdwa v62, v18, v135 dst_sel:DWORD dst_unused:UNUSED_PAD src0_sel:WORD_0 src1_sel:DWORD
	v_mul_u32_u24_sdwa v18, v18, v135 dst_sel:DWORD dst_unused:UNUSED_PAD src0_sel:WORD_1 src1_sel:DWORD
	;; [unrolled: 2-line block ×4, first 2 shown]
	v_pk_fma_f16 v46, v22, v61, v46
	v_pk_fma_f16 v47, v22, v17, v47
	;; [unrolled: 1-line block ×8, first 2 shown]
	ds_read2_b32 v[21:22], v94 offset0:128 offset1:160
	ds_read_b128 v[17:20], v132 offset:704
	s_waitcnt lgkmcnt(0)
	v_mul_u32_u24_sdwa v54, v17, v135 dst_sel:DWORD dst_unused:UNUSED_PAD src0_sel:WORD_0 src1_sel:DWORD
	v_mul_u32_u24_sdwa v55, v17, v135 dst_sel:DWORD dst_unused:UNUSED_PAD src0_sel:WORD_1 src1_sel:DWORD
	v_mul_u32_u24_sdwa v56, v18, v135 dst_sel:DWORD dst_unused:UNUSED_PAD src0_sel:WORD_0 src1_sel:DWORD
	v_mul_u32_u24_sdwa v57, v18, v135 dst_sel:DWORD dst_unused:UNUSED_PAD src0_sel:WORD_1 src1_sel:DWORD
	;; [unrolled: 2-line block ×4, first 2 shown]
	ds_read_b128 v[17:20], v132 offset:1728
	v_pk_fma_f16 v40, v21, v54, v40
	v_pk_fma_f16 v41, v21, v55, v41
	;; [unrolled: 1-line block ×8, first 2 shown]
	s_waitcnt lgkmcnt(0)
	v_mul_u32_u24_sdwa v62, v17, v135 dst_sel:DWORD dst_unused:UNUSED_PAD src0_sel:WORD_0 src1_sel:DWORD
	v_mul_u32_u24_sdwa v17, v17, v135 dst_sel:DWORD dst_unused:UNUSED_PAD src0_sel:WORD_1 src1_sel:DWORD
	v_mul_u32_u24_sdwa v63, v18, v135 dst_sel:DWORD dst_unused:UNUSED_PAD src0_sel:WORD_0 src1_sel:DWORD
	v_mul_u32_u24_sdwa v18, v18, v135 dst_sel:DWORD dst_unused:UNUSED_PAD src0_sel:WORD_1 src1_sel:DWORD
	;; [unrolled: 2-line block ×4, first 2 shown]
	v_pk_fma_f16 v46, v21, v62, v46
	v_pk_fma_f16 v47, v21, v17, v47
	;; [unrolled: 1-line block ×8, first 2 shown]
	ds_read_b128 v[17:20], v132 offset:720
	s_waitcnt lgkmcnt(0)
	v_mul_u32_u24_sdwa v53, v17, v135 dst_sel:DWORD dst_unused:UNUSED_PAD src0_sel:WORD_0 src1_sel:DWORD
	v_mul_u32_u24_sdwa v54, v17, v135 dst_sel:DWORD dst_unused:UNUSED_PAD src0_sel:WORD_1 src1_sel:DWORD
	v_mul_u32_u24_sdwa v55, v18, v135 dst_sel:DWORD dst_unused:UNUSED_PAD src0_sel:WORD_0 src1_sel:DWORD
	v_mul_u32_u24_sdwa v56, v18, v135 dst_sel:DWORD dst_unused:UNUSED_PAD src0_sel:WORD_1 src1_sel:DWORD
	v_mul_u32_u24_sdwa v57, v19, v135 dst_sel:DWORD dst_unused:UNUSED_PAD src0_sel:WORD_0 src1_sel:DWORD
	v_mul_u32_u24_sdwa v58, v19, v135 dst_sel:DWORD dst_unused:UNUSED_PAD src0_sel:WORD_1 src1_sel:DWORD
	v_mul_u32_u24_sdwa v59, v20, v135 dst_sel:DWORD dst_unused:UNUSED_PAD src0_sel:WORD_0 src1_sel:DWORD
	v_mul_u32_u24_sdwa v60, v20, v135 dst_sel:DWORD dst_unused:UNUSED_PAD src0_sel:WORD_1 src1_sel:DWORD
	ds_read_b128 v[17:20], v132 offset:1744
	v_pk_fma_f16 v40, v22, v53, v40
	v_pk_fma_f16 v41, v22, v54, v41
	v_pk_fma_f16 v42, v22, v55, v42
	v_pk_fma_f16 v43, v22, v56, v43
	v_pk_fma_f16 v44, v22, v57, v44
	v_pk_fma_f16 v23, v22, v58, v23
	v_pk_fma_f16 v45, v22, v59, v45
	v_pk_fma_f16 v24, v22, v60, v24
	s_waitcnt lgkmcnt(0)
	v_mul_u32_u24_sdwa v61, v17, v135 dst_sel:DWORD dst_unused:UNUSED_PAD src0_sel:WORD_0 src1_sel:DWORD
	v_mul_u32_u24_sdwa v17, v17, v135 dst_sel:DWORD dst_unused:UNUSED_PAD src0_sel:WORD_1 src1_sel:DWORD
	v_mul_u32_u24_sdwa v62, v18, v135 dst_sel:DWORD dst_unused:UNUSED_PAD src0_sel:WORD_0 src1_sel:DWORD
	v_mul_u32_u24_sdwa v18, v18, v135 dst_sel:DWORD dst_unused:UNUSED_PAD src0_sel:WORD_1 src1_sel:DWORD
	;; [unrolled: 2-line block ×4, first 2 shown]
	v_pk_fma_f16 v47, v22, v17, v47
	v_pk_fma_f16 v53, v22, v62, v48
	;; [unrolled: 1-line block ×5, first 2 shown]
	ds_read2_b32 v[48:49], v94 offset0:192 offset1:224
	ds_read_b128 v[17:20], v132 offset:736
	v_pk_fma_f16 v46, v22, v61, v46
	v_pk_fma_f16 v50, v22, v63, v50
	;; [unrolled: 1-line block ×3, first 2 shown]
	s_waitcnt lgkmcnt(0)
	v_mul_u32_u24_sdwa v22, v17, v135 dst_sel:DWORD dst_unused:UNUSED_PAD src0_sel:WORD_0 src1_sel:DWORD
	v_mul_u32_u24_sdwa v55, v17, v135 dst_sel:DWORD dst_unused:UNUSED_PAD src0_sel:WORD_1 src1_sel:DWORD
	v_mul_u32_u24_sdwa v56, v18, v135 dst_sel:DWORD dst_unused:UNUSED_PAD src0_sel:WORD_0 src1_sel:DWORD
	v_mul_u32_u24_sdwa v57, v18, v135 dst_sel:DWORD dst_unused:UNUSED_PAD src0_sel:WORD_1 src1_sel:DWORD
	v_mul_u32_u24_sdwa v58, v19, v135 dst_sel:DWORD dst_unused:UNUSED_PAD src0_sel:WORD_0 src1_sel:DWORD
	v_mul_u32_u24_sdwa v59, v19, v135 dst_sel:DWORD dst_unused:UNUSED_PAD src0_sel:WORD_1 src1_sel:DWORD
	v_mul_u32_u24_sdwa v60, v20, v135 dst_sel:DWORD dst_unused:UNUSED_PAD src0_sel:WORD_0 src1_sel:DWORD
	v_mul_u32_u24_sdwa v61, v20, v135 dst_sel:DWORD dst_unused:UNUSED_PAD src0_sel:WORD_1 src1_sel:DWORD
	ds_read_b128 v[17:20], v132 offset:1760
	v_pk_fma_f16 v22, v48, v22, v40
	v_pk_fma_f16 v40, v48, v55, v41
	;; [unrolled: 1-line block ×8, first 2 shown]
	s_waitcnt lgkmcnt(0)
	v_mul_u32_u24_sdwa v62, v17, v135 dst_sel:DWORD dst_unused:UNUSED_PAD src0_sel:WORD_0 src1_sel:DWORD
	v_mul_u32_u24_sdwa v17, v17, v135 dst_sel:DWORD dst_unused:UNUSED_PAD src0_sel:WORD_1 src1_sel:DWORD
	v_mul_u32_u24_sdwa v63, v18, v135 dst_sel:DWORD dst_unused:UNUSED_PAD src0_sel:WORD_0 src1_sel:DWORD
	v_mul_u32_u24_sdwa v18, v18, v135 dst_sel:DWORD dst_unused:UNUSED_PAD src0_sel:WORD_1 src1_sel:DWORD
	;; [unrolled: 2-line block ×4, first 2 shown]
	v_pk_fma_f16 v47, v48, v17, v47
	v_pk_fma_f16 v54, v48, v18, v54
	;; [unrolled: 1-line block ×5, first 2 shown]
	ds_read_b128 v[17:20], v132 offset:752
	v_pk_fma_f16 v53, v48, v63, v53
	v_pk_fma_f16 v50, v48, v64, v50
	;; [unrolled: 1-line block ×3, first 2 shown]
	s_waitcnt lgkmcnt(0)
	v_mul_u32_u24_sdwa v23, v17, v135 dst_sel:DWORD dst_unused:UNUSED_PAD src0_sel:WORD_0 src1_sel:DWORD
	v_mul_u32_u24_sdwa v24, v17, v135 dst_sel:DWORD dst_unused:UNUSED_PAD src0_sel:WORD_1 src1_sel:DWORD
	v_mul_u32_u24_sdwa v48, v18, v135 dst_sel:DWORD dst_unused:UNUSED_PAD src0_sel:WORD_0 src1_sel:DWORD
	v_mul_u32_u24_sdwa v56, v18, v135 dst_sel:DWORD dst_unused:UNUSED_PAD src0_sel:WORD_1 src1_sel:DWORD
	;; [unrolled: 2-line block ×4, first 2 shown]
	ds_read_b128 v[17:20], v132 offset:1776
	s_waitcnt lgkmcnt(0)
	v_mul_u32_u24_sdwa v61, v17, v135 dst_sel:DWORD dst_unused:UNUSED_PAD src0_sel:WORD_0 src1_sel:DWORD
	v_mul_u32_u24_sdwa v62, v17, v135 dst_sel:DWORD dst_unused:UNUSED_PAD src0_sel:WORD_1 src1_sel:DWORD
	v_mul_u32_u24_sdwa v63, v18, v135 dst_sel:DWORD dst_unused:UNUSED_PAD src0_sel:WORD_0 src1_sel:DWORD
	v_mul_u32_u24_sdwa v64, v18, v135 dst_sel:DWORD dst_unused:UNUSED_PAD src0_sel:WORD_1 src1_sel:DWORD
	;; [unrolled: 2-line block ×4, first 2 shown]
	v_pk_fma_f16 v17, v49, v23, v22
	v_pk_fma_f16 v18, v49, v24, v40
	v_pk_fma_f16 v19, v49, v48, v41
	v_pk_fma_f16 v22, v49, v56, v42
	v_pk_fma_f16 v23, v49, v57, v43
	v_pk_fma_f16 v24, v49, v58, v44
	v_pk_fma_f16 v40, v49, v59, v45
	v_pk_fma_f16 v41, v49, v60, v55
	v_pk_fma_f16 v42, v49, v61, v46
	v_pk_fma_f16 v43, v49, v62, v47
	v_pk_fma_f16 v44, v49, v63, v53
	v_pk_fma_f16 v45, v49, v64, v54
	v_pk_fma_f16 v46, v49, v65, v50
	v_pk_fma_f16 v47, v49, v66, v51
	v_pk_fma_f16 v48, v49, v67, v52
	v_pk_fma_f16 v49, v49, v20, v21
	ds_read2_b32 v[20:21], v108 offset1:32
	ds_read_b128 v[50:53], v132 offset:768
	s_waitcnt lgkmcnt(0)
	v_mul_u32_u24_sdwa v54, v50, v135 dst_sel:DWORD dst_unused:UNUSED_PAD src0_sel:WORD_0 src1_sel:DWORD
	v_mul_u32_u24_sdwa v55, v50, v135 dst_sel:DWORD dst_unused:UNUSED_PAD src0_sel:WORD_1 src1_sel:DWORD
	v_mul_u32_u24_sdwa v56, v51, v135 dst_sel:DWORD dst_unused:UNUSED_PAD src0_sel:WORD_0 src1_sel:DWORD
	v_mul_u32_u24_sdwa v57, v51, v135 dst_sel:DWORD dst_unused:UNUSED_PAD src0_sel:WORD_1 src1_sel:DWORD
	;; [unrolled: 2-line block ×4, first 2 shown]
	ds_read_b128 v[50:53], v132 offset:1792
	v_pk_fma_f16 v22, v20, v57, v22
	v_pk_fma_f16 v23, v20, v58, v23
	;; [unrolled: 1-line block ×5, first 2 shown]
	s_waitcnt lgkmcnt(0)
	v_mul_u32_u24_sdwa v62, v50, v135 dst_sel:DWORD dst_unused:UNUSED_PAD src0_sel:WORD_0 src1_sel:DWORD
	v_mul_u32_u24_sdwa v63, v50, v135 dst_sel:DWORD dst_unused:UNUSED_PAD src0_sel:WORD_1 src1_sel:DWORD
	v_mul_u32_u24_sdwa v64, v51, v135 dst_sel:DWORD dst_unused:UNUSED_PAD src0_sel:WORD_0 src1_sel:DWORD
	v_mul_u32_u24_sdwa v65, v51, v135 dst_sel:DWORD dst_unused:UNUSED_PAD src0_sel:WORD_1 src1_sel:DWORD
	;; [unrolled: 2-line block ×4, first 2 shown]
	v_pk_fma_f16 v50, v20, v54, v17
	v_pk_fma_f16 v51, v20, v55, v18
	;; [unrolled: 1-line block ×11, first 2 shown]
	ds_read_b128 v[17:20], v132 offset:784
	s_waitcnt lgkmcnt(0)
	v_mul_u32_u24_sdwa v53, v17, v135 dst_sel:DWORD dst_unused:UNUSED_PAD src0_sel:WORD_0 src1_sel:DWORD
	v_mul_u32_u24_sdwa v54, v17, v135 dst_sel:DWORD dst_unused:UNUSED_PAD src0_sel:WORD_1 src1_sel:DWORD
	v_mul_u32_u24_sdwa v55, v18, v135 dst_sel:DWORD dst_unused:UNUSED_PAD src0_sel:WORD_0 src1_sel:DWORD
	v_mul_u32_u24_sdwa v56, v18, v135 dst_sel:DWORD dst_unused:UNUSED_PAD src0_sel:WORD_1 src1_sel:DWORD
	;; [unrolled: 2-line block ×4, first 2 shown]
	ds_read_b128 v[17:20], v132 offset:1808
	v_pk_fma_f16 v50, v21, v53, v50
	v_pk_fma_f16 v51, v21, v54, v51
	;; [unrolled: 1-line block ×8, first 2 shown]
	s_waitcnt lgkmcnt(0)
	v_mul_u32_u24_sdwa v61, v17, v135 dst_sel:DWORD dst_unused:UNUSED_PAD src0_sel:WORD_0 src1_sel:DWORD
	v_mul_u32_u24_sdwa v17, v17, v135 dst_sel:DWORD dst_unused:UNUSED_PAD src0_sel:WORD_1 src1_sel:DWORD
	v_mul_u32_u24_sdwa v62, v18, v135 dst_sel:DWORD dst_unused:UNUSED_PAD src0_sel:WORD_0 src1_sel:DWORD
	v_mul_u32_u24_sdwa v18, v18, v135 dst_sel:DWORD dst_unused:UNUSED_PAD src0_sel:WORD_1 src1_sel:DWORD
	;; [unrolled: 2-line block ×4, first 2 shown]
	v_pk_fma_f16 v42, v21, v61, v42
	v_pk_fma_f16 v43, v21, v17, v43
	;; [unrolled: 1-line block ×8, first 2 shown]
	ds_read2_b32 v[21:22], v108 offset0:64 offset1:96
	ds_read_b128 v[17:20], v132 offset:800
	s_waitcnt lgkmcnt(0)
	v_mul_u32_u24_sdwa v54, v17, v135 dst_sel:DWORD dst_unused:UNUSED_PAD src0_sel:WORD_0 src1_sel:DWORD
	v_mul_u32_u24_sdwa v55, v17, v135 dst_sel:DWORD dst_unused:UNUSED_PAD src0_sel:WORD_1 src1_sel:DWORD
	v_mul_u32_u24_sdwa v56, v18, v135 dst_sel:DWORD dst_unused:UNUSED_PAD src0_sel:WORD_0 src1_sel:DWORD
	v_mul_u32_u24_sdwa v57, v18, v135 dst_sel:DWORD dst_unused:UNUSED_PAD src0_sel:WORD_1 src1_sel:DWORD
	;; [unrolled: 2-line block ×4, first 2 shown]
	ds_read_b128 v[17:20], v132 offset:1824
	v_pk_fma_f16 v50, v21, v54, v50
	v_pk_fma_f16 v51, v21, v55, v51
	;; [unrolled: 1-line block ×8, first 2 shown]
	s_waitcnt lgkmcnt(0)
	v_mul_u32_u24_sdwa v62, v17, v135 dst_sel:DWORD dst_unused:UNUSED_PAD src0_sel:WORD_0 src1_sel:DWORD
	v_mul_u32_u24_sdwa v17, v17, v135 dst_sel:DWORD dst_unused:UNUSED_PAD src0_sel:WORD_1 src1_sel:DWORD
	v_mul_u32_u24_sdwa v63, v18, v135 dst_sel:DWORD dst_unused:UNUSED_PAD src0_sel:WORD_0 src1_sel:DWORD
	v_mul_u32_u24_sdwa v18, v18, v135 dst_sel:DWORD dst_unused:UNUSED_PAD src0_sel:WORD_1 src1_sel:DWORD
	;; [unrolled: 2-line block ×4, first 2 shown]
	v_pk_fma_f16 v42, v21, v62, v42
	v_pk_fma_f16 v43, v21, v17, v43
	;; [unrolled: 1-line block ×8, first 2 shown]
	ds_read_b128 v[17:20], v132 offset:816
	s_waitcnt lgkmcnt(0)
	v_mul_u32_u24_sdwa v49, v17, v135 dst_sel:DWORD dst_unused:UNUSED_PAD src0_sel:WORD_0 src1_sel:DWORD
	v_mul_u32_u24_sdwa v54, v17, v135 dst_sel:DWORD dst_unused:UNUSED_PAD src0_sel:WORD_1 src1_sel:DWORD
	v_mul_u32_u24_sdwa v55, v18, v135 dst_sel:DWORD dst_unused:UNUSED_PAD src0_sel:WORD_0 src1_sel:DWORD
	v_mul_u32_u24_sdwa v56, v18, v135 dst_sel:DWORD dst_unused:UNUSED_PAD src0_sel:WORD_1 src1_sel:DWORD
	;; [unrolled: 2-line block ×4, first 2 shown]
	ds_read_b128 v[17:20], v132 offset:1840
	v_pk_fma_f16 v49, v22, v49, v50
	v_pk_fma_f16 v50, v22, v54, v51
	;; [unrolled: 1-line block ×8, first 2 shown]
	s_waitcnt lgkmcnt(0)
	v_mul_u32_u24_sdwa v61, v17, v135 dst_sel:DWORD dst_unused:UNUSED_PAD src0_sel:WORD_0 src1_sel:DWORD
	v_mul_u32_u24_sdwa v17, v17, v135 dst_sel:DWORD dst_unused:UNUSED_PAD src0_sel:WORD_1 src1_sel:DWORD
	v_mul_u32_u24_sdwa v62, v18, v135 dst_sel:DWORD dst_unused:UNUSED_PAD src0_sel:WORD_0 src1_sel:DWORD
	v_mul_u32_u24_sdwa v18, v18, v135 dst_sel:DWORD dst_unused:UNUSED_PAD src0_sel:WORD_1 src1_sel:DWORD
	v_mul_u32_u24_sdwa v63, v19, v135 dst_sel:DWORD dst_unused:UNUSED_PAD src0_sel:WORD_0 src1_sel:DWORD
	v_mul_u32_u24_sdwa v19, v19, v135 dst_sel:DWORD dst_unused:UNUSED_PAD src0_sel:WORD_1 src1_sel:DWORD
	v_mul_u32_u24_sdwa v64, v20, v135 dst_sel:DWORD dst_unused:UNUSED_PAD src0_sel:WORD_0 src1_sel:DWORD
	v_mul_u32_u24_sdwa v20, v20, v135 dst_sel:DWORD dst_unused:UNUSED_PAD src0_sel:WORD_1 src1_sel:DWORD
	v_pk_fma_f16 v42, v22, v61, v42
	v_pk_fma_f16 v43, v22, v17, v43
	;; [unrolled: 1-line block ×8, first 2 shown]
	ds_read2_b32 v[21:22], v108 offset0:128 offset1:160
	ds_read_b128 v[17:20], v132 offset:832
	s_waitcnt lgkmcnt(0)
	v_mul_u32_u24_sdwa v54, v17, v135 dst_sel:DWORD dst_unused:UNUSED_PAD src0_sel:WORD_0 src1_sel:DWORD
	v_mul_u32_u24_sdwa v55, v17, v135 dst_sel:DWORD dst_unused:UNUSED_PAD src0_sel:WORD_1 src1_sel:DWORD
	v_mul_u32_u24_sdwa v56, v18, v135 dst_sel:DWORD dst_unused:UNUSED_PAD src0_sel:WORD_0 src1_sel:DWORD
	v_mul_u32_u24_sdwa v57, v18, v135 dst_sel:DWORD dst_unused:UNUSED_PAD src0_sel:WORD_1 src1_sel:DWORD
	v_mul_u32_u24_sdwa v58, v19, v135 dst_sel:DWORD dst_unused:UNUSED_PAD src0_sel:WORD_0 src1_sel:DWORD
	v_mul_u32_u24_sdwa v59, v19, v135 dst_sel:DWORD dst_unused:UNUSED_PAD src0_sel:WORD_1 src1_sel:DWORD
	v_mul_u32_u24_sdwa v60, v20, v135 dst_sel:DWORD dst_unused:UNUSED_PAD src0_sel:WORD_0 src1_sel:DWORD
	v_mul_u32_u24_sdwa v61, v20, v135 dst_sel:DWORD dst_unused:UNUSED_PAD src0_sel:WORD_1 src1_sel:DWORD
	ds_read_b128 v[17:20], v132 offset:1856
	v_pk_fma_f16 v49, v21, v54, v49
	v_pk_fma_f16 v50, v21, v55, v50
	;; [unrolled: 1-line block ×8, first 2 shown]
	s_waitcnt lgkmcnt(0)
	v_mul_u32_u24_sdwa v62, v17, v135 dst_sel:DWORD dst_unused:UNUSED_PAD src0_sel:WORD_0 src1_sel:DWORD
	v_mul_u32_u24_sdwa v17, v17, v135 dst_sel:DWORD dst_unused:UNUSED_PAD src0_sel:WORD_1 src1_sel:DWORD
	v_mul_u32_u24_sdwa v63, v18, v135 dst_sel:DWORD dst_unused:UNUSED_PAD src0_sel:WORD_0 src1_sel:DWORD
	v_mul_u32_u24_sdwa v18, v18, v135 dst_sel:DWORD dst_unused:UNUSED_PAD src0_sel:WORD_1 src1_sel:DWORD
	;; [unrolled: 2-line block ×4, first 2 shown]
	v_pk_fma_f16 v42, v21, v62, v42
	v_pk_fma_f16 v43, v21, v17, v43
	;; [unrolled: 1-line block ×8, first 2 shown]
	ds_read_b128 v[17:20], v132 offset:848
	s_waitcnt lgkmcnt(0)
	v_mul_u32_u24_sdwa v53, v17, v135 dst_sel:DWORD dst_unused:UNUSED_PAD src0_sel:WORD_0 src1_sel:DWORD
	v_mul_u32_u24_sdwa v54, v17, v135 dst_sel:DWORD dst_unused:UNUSED_PAD src0_sel:WORD_1 src1_sel:DWORD
	v_mul_u32_u24_sdwa v55, v18, v135 dst_sel:DWORD dst_unused:UNUSED_PAD src0_sel:WORD_0 src1_sel:DWORD
	v_mul_u32_u24_sdwa v56, v18, v135 dst_sel:DWORD dst_unused:UNUSED_PAD src0_sel:WORD_1 src1_sel:DWORD
	;; [unrolled: 2-line block ×4, first 2 shown]
	ds_read_b128 v[17:20], v132 offset:1872
	v_pk_fma_f16 v49, v22, v53, v49
	v_pk_fma_f16 v50, v22, v54, v50
	;; [unrolled: 1-line block ×8, first 2 shown]
	s_waitcnt lgkmcnt(0)
	v_mul_u32_u24_sdwa v61, v17, v135 dst_sel:DWORD dst_unused:UNUSED_PAD src0_sel:WORD_0 src1_sel:DWORD
	v_mul_u32_u24_sdwa v17, v17, v135 dst_sel:DWORD dst_unused:UNUSED_PAD src0_sel:WORD_1 src1_sel:DWORD
	v_mul_u32_u24_sdwa v62, v18, v135 dst_sel:DWORD dst_unused:UNUSED_PAD src0_sel:WORD_0 src1_sel:DWORD
	v_mul_u32_u24_sdwa v18, v18, v135 dst_sel:DWORD dst_unused:UNUSED_PAD src0_sel:WORD_1 src1_sel:DWORD
	;; [unrolled: 2-line block ×4, first 2 shown]
	v_pk_fma_f16 v42, v22, v61, v42
	v_pk_fma_f16 v43, v22, v17, v43
	;; [unrolled: 1-line block ×8, first 2 shown]
	ds_read2_b32 v[21:22], v108 offset0:192 offset1:224
	ds_read_b128 v[17:20], v132 offset:864
	s_waitcnt lgkmcnt(0)
	v_mul_u32_u24_sdwa v54, v17, v135 dst_sel:DWORD dst_unused:UNUSED_PAD src0_sel:WORD_0 src1_sel:DWORD
	v_mul_u32_u24_sdwa v55, v17, v135 dst_sel:DWORD dst_unused:UNUSED_PAD src0_sel:WORD_1 src1_sel:DWORD
	v_mul_u32_u24_sdwa v56, v18, v135 dst_sel:DWORD dst_unused:UNUSED_PAD src0_sel:WORD_0 src1_sel:DWORD
	v_mul_u32_u24_sdwa v57, v18, v135 dst_sel:DWORD dst_unused:UNUSED_PAD src0_sel:WORD_1 src1_sel:DWORD
	;; [unrolled: 2-line block ×4, first 2 shown]
	ds_read_b128 v[17:20], v132 offset:1888
	v_pk_fma_f16 v49, v21, v54, v49
	v_pk_fma_f16 v50, v21, v55, v50
	;; [unrolled: 1-line block ×8, first 2 shown]
	s_waitcnt lgkmcnt(0)
	v_mul_u32_u24_sdwa v62, v17, v135 dst_sel:DWORD dst_unused:UNUSED_PAD src0_sel:WORD_0 src1_sel:DWORD
	v_mul_u32_u24_sdwa v17, v17, v135 dst_sel:DWORD dst_unused:UNUSED_PAD src0_sel:WORD_1 src1_sel:DWORD
	v_mul_u32_u24_sdwa v63, v18, v135 dst_sel:DWORD dst_unused:UNUSED_PAD src0_sel:WORD_0 src1_sel:DWORD
	v_mul_u32_u24_sdwa v18, v18, v135 dst_sel:DWORD dst_unused:UNUSED_PAD src0_sel:WORD_1 src1_sel:DWORD
	;; [unrolled: 2-line block ×4, first 2 shown]
	v_pk_fma_f16 v42, v21, v62, v42
	v_pk_fma_f16 v43, v21, v17, v43
	;; [unrolled: 1-line block ×8, first 2 shown]
	ds_read_b128 v[17:20], v132 offset:880
	s_waitcnt lgkmcnt(0)
	v_mul_u32_u24_sdwa v53, v17, v135 dst_sel:DWORD dst_unused:UNUSED_PAD src0_sel:WORD_0 src1_sel:DWORD
	v_mul_u32_u24_sdwa v54, v17, v135 dst_sel:DWORD dst_unused:UNUSED_PAD src0_sel:WORD_1 src1_sel:DWORD
	v_mul_u32_u24_sdwa v55, v18, v135 dst_sel:DWORD dst_unused:UNUSED_PAD src0_sel:WORD_0 src1_sel:DWORD
	v_mul_u32_u24_sdwa v56, v18, v135 dst_sel:DWORD dst_unused:UNUSED_PAD src0_sel:WORD_1 src1_sel:DWORD
	;; [unrolled: 2-line block ×4, first 2 shown]
	ds_read_b128 v[17:20], v132 offset:1904
	v_pk_fma_f16 v49, v22, v53, v49
	v_pk_fma_f16 v50, v22, v54, v50
	v_pk_fma_f16 v51, v22, v55, v51
	v_pk_fma_f16 v52, v22, v56, v52
	v_pk_fma_f16 v23, v22, v57, v23
	v_pk_fma_f16 v24, v22, v58, v24
	v_pk_fma_f16 v40, v22, v59, v40
	v_pk_fma_f16 v41, v22, v60, v41
	s_waitcnt lgkmcnt(0)
	v_mul_u32_u24_sdwa v61, v17, v135 dst_sel:DWORD dst_unused:UNUSED_PAD src0_sel:WORD_0 src1_sel:DWORD
	v_mul_u32_u24_sdwa v17, v17, v135 dst_sel:DWORD dst_unused:UNUSED_PAD src0_sel:WORD_1 src1_sel:DWORD
	v_mul_u32_u24_sdwa v62, v18, v135 dst_sel:DWORD dst_unused:UNUSED_PAD src0_sel:WORD_0 src1_sel:DWORD
	v_mul_u32_u24_sdwa v18, v18, v135 dst_sel:DWORD dst_unused:UNUSED_PAD src0_sel:WORD_1 src1_sel:DWORD
	;; [unrolled: 2-line block ×4, first 2 shown]
	v_pk_fma_f16 v42, v22, v61, v42
	v_pk_fma_f16 v43, v22, v17, v43
	;; [unrolled: 1-line block ×8, first 2 shown]
	ds_read2_b32 v[21:22], v142 offset1:32
	ds_read_b128 v[17:20], v132 offset:896
	s_waitcnt lgkmcnt(0)
	v_mul_u32_u24_sdwa v54, v17, v135 dst_sel:DWORD dst_unused:UNUSED_PAD src0_sel:WORD_0 src1_sel:DWORD
	v_mul_u32_u24_sdwa v55, v17, v135 dst_sel:DWORD dst_unused:UNUSED_PAD src0_sel:WORD_1 src1_sel:DWORD
	v_mul_u32_u24_sdwa v56, v18, v135 dst_sel:DWORD dst_unused:UNUSED_PAD src0_sel:WORD_0 src1_sel:DWORD
	v_mul_u32_u24_sdwa v57, v18, v135 dst_sel:DWORD dst_unused:UNUSED_PAD src0_sel:WORD_1 src1_sel:DWORD
	;; [unrolled: 2-line block ×4, first 2 shown]
	ds_read_b128 v[17:20], v132 offset:1920
	v_pk_fma_f16 v49, v21, v54, v49
	v_pk_fma_f16 v50, v21, v55, v50
	;; [unrolled: 1-line block ×8, first 2 shown]
	s_waitcnt lgkmcnt(0)
	v_mul_u32_u24_sdwa v62, v17, v135 dst_sel:DWORD dst_unused:UNUSED_PAD src0_sel:WORD_0 src1_sel:DWORD
	v_mul_u32_u24_sdwa v17, v17, v135 dst_sel:DWORD dst_unused:UNUSED_PAD src0_sel:WORD_1 src1_sel:DWORD
	v_mul_u32_u24_sdwa v63, v18, v135 dst_sel:DWORD dst_unused:UNUSED_PAD src0_sel:WORD_0 src1_sel:DWORD
	v_mul_u32_u24_sdwa v18, v18, v135 dst_sel:DWORD dst_unused:UNUSED_PAD src0_sel:WORD_1 src1_sel:DWORD
	;; [unrolled: 2-line block ×4, first 2 shown]
	v_pk_fma_f16 v42, v21, v62, v42
	v_pk_fma_f16 v43, v21, v17, v43
	;; [unrolled: 1-line block ×8, first 2 shown]
	ds_read_b128 v[17:20], v132 offset:912
	s_waitcnt lgkmcnt(0)
	v_mul_u32_u24_sdwa v53, v17, v135 dst_sel:DWORD dst_unused:UNUSED_PAD src0_sel:WORD_0 src1_sel:DWORD
	v_mul_u32_u24_sdwa v54, v17, v135 dst_sel:DWORD dst_unused:UNUSED_PAD src0_sel:WORD_1 src1_sel:DWORD
	v_mul_u32_u24_sdwa v55, v18, v135 dst_sel:DWORD dst_unused:UNUSED_PAD src0_sel:WORD_0 src1_sel:DWORD
	v_mul_u32_u24_sdwa v56, v18, v135 dst_sel:DWORD dst_unused:UNUSED_PAD src0_sel:WORD_1 src1_sel:DWORD
	;; [unrolled: 2-line block ×4, first 2 shown]
	ds_read_b128 v[17:20], v132 offset:1936
	v_pk_fma_f16 v49, v22, v53, v49
	v_pk_fma_f16 v50, v22, v54, v50
	;; [unrolled: 1-line block ×8, first 2 shown]
	s_waitcnt lgkmcnt(0)
	v_mul_u32_u24_sdwa v61, v17, v135 dst_sel:DWORD dst_unused:UNUSED_PAD src0_sel:WORD_0 src1_sel:DWORD
	v_mul_u32_u24_sdwa v17, v17, v135 dst_sel:DWORD dst_unused:UNUSED_PAD src0_sel:WORD_1 src1_sel:DWORD
	v_mul_u32_u24_sdwa v62, v18, v135 dst_sel:DWORD dst_unused:UNUSED_PAD src0_sel:WORD_0 src1_sel:DWORD
	v_mul_u32_u24_sdwa v18, v18, v135 dst_sel:DWORD dst_unused:UNUSED_PAD src0_sel:WORD_1 src1_sel:DWORD
	v_mul_u32_u24_sdwa v63, v19, v135 dst_sel:DWORD dst_unused:UNUSED_PAD src0_sel:WORD_0 src1_sel:DWORD
	v_mul_u32_u24_sdwa v19, v19, v135 dst_sel:DWORD dst_unused:UNUSED_PAD src0_sel:WORD_1 src1_sel:DWORD
	v_mul_u32_u24_sdwa v64, v20, v135 dst_sel:DWORD dst_unused:UNUSED_PAD src0_sel:WORD_0 src1_sel:DWORD
	v_mul_u32_u24_sdwa v20, v20, v135 dst_sel:DWORD dst_unused:UNUSED_PAD src0_sel:WORD_1 src1_sel:DWORD
	v_pk_fma_f16 v42, v22, v61, v42
	v_pk_fma_f16 v43, v22, v17, v43
	;; [unrolled: 1-line block ×8, first 2 shown]
	ds_read2_b32 v[21:22], v142 offset0:64 offset1:96
	ds_read_b128 v[17:20], v132 offset:928
	s_waitcnt lgkmcnt(0)
	v_mul_u32_u24_sdwa v54, v17, v135 dst_sel:DWORD dst_unused:UNUSED_PAD src0_sel:WORD_0 src1_sel:DWORD
	v_mul_u32_u24_sdwa v55, v17, v135 dst_sel:DWORD dst_unused:UNUSED_PAD src0_sel:WORD_1 src1_sel:DWORD
	v_mul_u32_u24_sdwa v56, v18, v135 dst_sel:DWORD dst_unused:UNUSED_PAD src0_sel:WORD_0 src1_sel:DWORD
	v_mul_u32_u24_sdwa v57, v18, v135 dst_sel:DWORD dst_unused:UNUSED_PAD src0_sel:WORD_1 src1_sel:DWORD
	;; [unrolled: 2-line block ×4, first 2 shown]
	ds_read_b128 v[17:20], v132 offset:1952
	v_pk_fma_f16 v49, v21, v54, v49
	v_pk_fma_f16 v50, v21, v55, v50
	;; [unrolled: 1-line block ×8, first 2 shown]
	s_waitcnt lgkmcnt(0)
	v_mul_u32_u24_sdwa v62, v17, v135 dst_sel:DWORD dst_unused:UNUSED_PAD src0_sel:WORD_0 src1_sel:DWORD
	v_mul_u32_u24_sdwa v17, v17, v135 dst_sel:DWORD dst_unused:UNUSED_PAD src0_sel:WORD_1 src1_sel:DWORD
	v_mul_u32_u24_sdwa v63, v18, v135 dst_sel:DWORD dst_unused:UNUSED_PAD src0_sel:WORD_0 src1_sel:DWORD
	v_mul_u32_u24_sdwa v18, v18, v135 dst_sel:DWORD dst_unused:UNUSED_PAD src0_sel:WORD_1 src1_sel:DWORD
	;; [unrolled: 2-line block ×4, first 2 shown]
	v_pk_fma_f16 v42, v21, v62, v42
	v_pk_fma_f16 v43, v21, v17, v43
	;; [unrolled: 1-line block ×8, first 2 shown]
	ds_read_b128 v[17:20], v132 offset:944
	s_waitcnt lgkmcnt(0)
	v_mul_u32_u24_sdwa v53, v17, v135 dst_sel:DWORD dst_unused:UNUSED_PAD src0_sel:WORD_0 src1_sel:DWORD
	v_mul_u32_u24_sdwa v54, v17, v135 dst_sel:DWORD dst_unused:UNUSED_PAD src0_sel:WORD_1 src1_sel:DWORD
	v_mul_u32_u24_sdwa v55, v18, v135 dst_sel:DWORD dst_unused:UNUSED_PAD src0_sel:WORD_0 src1_sel:DWORD
	v_mul_u32_u24_sdwa v56, v18, v135 dst_sel:DWORD dst_unused:UNUSED_PAD src0_sel:WORD_1 src1_sel:DWORD
	;; [unrolled: 2-line block ×4, first 2 shown]
	ds_read_b128 v[17:20], v132 offset:1968
	v_pk_fma_f16 v49, v22, v53, v49
	v_pk_fma_f16 v50, v22, v54, v50
	v_pk_fma_f16 v51, v22, v55, v51
	v_pk_fma_f16 v52, v22, v56, v52
	v_pk_fma_f16 v23, v22, v57, v23
	v_pk_fma_f16 v24, v22, v58, v24
	v_pk_fma_f16 v40, v22, v59, v40
	v_pk_fma_f16 v41, v22, v60, v41
	s_waitcnt lgkmcnt(0)
	v_mul_u32_u24_sdwa v61, v17, v135 dst_sel:DWORD dst_unused:UNUSED_PAD src0_sel:WORD_0 src1_sel:DWORD
	v_mul_u32_u24_sdwa v17, v17, v135 dst_sel:DWORD dst_unused:UNUSED_PAD src0_sel:WORD_1 src1_sel:DWORD
	v_mul_u32_u24_sdwa v62, v18, v135 dst_sel:DWORD dst_unused:UNUSED_PAD src0_sel:WORD_0 src1_sel:DWORD
	v_mul_u32_u24_sdwa v18, v18, v135 dst_sel:DWORD dst_unused:UNUSED_PAD src0_sel:WORD_1 src1_sel:DWORD
	;; [unrolled: 2-line block ×4, first 2 shown]
	v_pk_fma_f16 v42, v22, v61, v42
	v_pk_fma_f16 v43, v22, v17, v43
	;; [unrolled: 1-line block ×8, first 2 shown]
	ds_read2_b32 v[21:22], v142 offset0:128 offset1:160
	ds_read_b128 v[17:20], v132 offset:960
	s_waitcnt lgkmcnt(0)
	v_mul_u32_u24_sdwa v54, v17, v135 dst_sel:DWORD dst_unused:UNUSED_PAD src0_sel:WORD_0 src1_sel:DWORD
	v_mul_u32_u24_sdwa v55, v17, v135 dst_sel:DWORD dst_unused:UNUSED_PAD src0_sel:WORD_1 src1_sel:DWORD
	v_mul_u32_u24_sdwa v56, v18, v135 dst_sel:DWORD dst_unused:UNUSED_PAD src0_sel:WORD_0 src1_sel:DWORD
	v_mul_u32_u24_sdwa v57, v18, v135 dst_sel:DWORD dst_unused:UNUSED_PAD src0_sel:WORD_1 src1_sel:DWORD
	;; [unrolled: 2-line block ×4, first 2 shown]
	ds_read_b128 v[17:20], v132 offset:1984
	v_pk_fma_f16 v49, v21, v54, v49
	v_pk_fma_f16 v50, v21, v55, v50
	v_pk_fma_f16 v51, v21, v56, v51
	v_pk_fma_f16 v52, v21, v57, v52
	v_pk_fma_f16 v23, v21, v58, v23
	v_pk_fma_f16 v24, v21, v59, v24
	v_pk_fma_f16 v40, v21, v60, v40
	v_pk_fma_f16 v41, v21, v61, v41
	s_waitcnt lgkmcnt(0)
	v_mul_u32_u24_sdwa v62, v17, v135 dst_sel:DWORD dst_unused:UNUSED_PAD src0_sel:WORD_0 src1_sel:DWORD
	v_mul_u32_u24_sdwa v17, v17, v135 dst_sel:DWORD dst_unused:UNUSED_PAD src0_sel:WORD_1 src1_sel:DWORD
	v_mul_u32_u24_sdwa v63, v18, v135 dst_sel:DWORD dst_unused:UNUSED_PAD src0_sel:WORD_0 src1_sel:DWORD
	v_mul_u32_u24_sdwa v18, v18, v135 dst_sel:DWORD dst_unused:UNUSED_PAD src0_sel:WORD_1 src1_sel:DWORD
	;; [unrolled: 2-line block ×4, first 2 shown]
	v_pk_fma_f16 v42, v21, v62, v42
	v_pk_fma_f16 v43, v21, v17, v43
	;; [unrolled: 1-line block ×8, first 2 shown]
	ds_read_b128 v[17:20], v132 offset:976
	s_waitcnt lgkmcnt(0)
	v_mul_u32_u24_sdwa v53, v17, v135 dst_sel:DWORD dst_unused:UNUSED_PAD src0_sel:WORD_0 src1_sel:DWORD
	v_mul_u32_u24_sdwa v54, v17, v135 dst_sel:DWORD dst_unused:UNUSED_PAD src0_sel:WORD_1 src1_sel:DWORD
	v_mul_u32_u24_sdwa v55, v18, v135 dst_sel:DWORD dst_unused:UNUSED_PAD src0_sel:WORD_0 src1_sel:DWORD
	v_mul_u32_u24_sdwa v56, v18, v135 dst_sel:DWORD dst_unused:UNUSED_PAD src0_sel:WORD_1 src1_sel:DWORD
	;; [unrolled: 2-line block ×4, first 2 shown]
	ds_read_b128 v[17:20], v132 offset:2000
	v_pk_fma_f16 v49, v22, v53, v49
	v_pk_fma_f16 v51, v22, v55, v51
	;; [unrolled: 1-line block ×8, first 2 shown]
	s_waitcnt lgkmcnt(0)
	v_mul_u32_u24_sdwa v61, v17, v135 dst_sel:DWORD dst_unused:UNUSED_PAD src0_sel:WORD_0 src1_sel:DWORD
	v_mul_u32_u24_sdwa v17, v17, v135 dst_sel:DWORD dst_unused:UNUSED_PAD src0_sel:WORD_1 src1_sel:DWORD
	v_mul_u32_u24_sdwa v64, v20, v135 dst_sel:DWORD dst_unused:UNUSED_PAD src0_sel:WORD_0 src1_sel:DWORD
	v_mul_u32_u24_sdwa v20, v20, v135 dst_sel:DWORD dst_unused:UNUSED_PAD src0_sel:WORD_1 src1_sel:DWORD
	v_mul_u32_u24_sdwa v62, v18, v135 dst_sel:DWORD dst_unused:UNUSED_PAD src0_sel:WORD_0 src1_sel:DWORD
	v_pk_fma_f16 v57, v22, v61, v42
	v_pk_fma_f16 v17, v22, v17, v43
	v_mul_u32_u24_sdwa v18, v18, v135 dst_sel:DWORD dst_unused:UNUSED_PAD src0_sel:WORD_1 src1_sel:DWORD
	v_pk_fma_f16 v61, v22, v20, v21
	ds_read2_b32 v[20:21], v142 offset0:192 offset1:224
	ds_read_b128 v[40:43], v132 offset:992
	v_mul_u32_u24_sdwa v63, v19, v135 dst_sel:DWORD dst_unused:UNUSED_PAD src0_sel:WORD_0 src1_sel:DWORD
	v_mul_u32_u24_sdwa v19, v19, v135 dst_sel:DWORD dst_unused:UNUSED_PAD src0_sel:WORD_1 src1_sel:DWORD
	v_pk_fma_f16 v58, v22, v62, v44
	v_pk_fma_f16 v18, v22, v18, v45
	;; [unrolled: 1-line block ×5, first 2 shown]
	s_waitcnt lgkmcnt(0)
	v_mul_u32_u24_sdwa v22, v40, v135 dst_sel:DWORD dst_unused:UNUSED_PAD src0_sel:WORD_0 src1_sel:DWORD
	v_mul_u32_u24_sdwa v23, v40, v135 dst_sel:DWORD dst_unused:UNUSED_PAD src0_sel:WORD_1 src1_sel:DWORD
	v_mul_u32_u24_sdwa v24, v41, v135 dst_sel:DWORD dst_unused:UNUSED_PAD src0_sel:WORD_0 src1_sel:DWORD
	v_mul_u32_u24_sdwa v44, v41, v135 dst_sel:DWORD dst_unused:UNUSED_PAD src0_sel:WORD_1 src1_sel:DWORD
	;; [unrolled: 2-line block ×4, first 2 shown]
	ds_read_b128 v[40:43], v132 offset:2016
	v_pk_fma_f16 v22, v20, v22, v49
	v_pk_fma_f16 v23, v20, v23, v50
	;; [unrolled: 1-line block ×3, first 2 shown]
	s_waitcnt lgkmcnt(0)
	v_mul_u32_u24_sdwa v62, v40, v135 dst_sel:DWORD dst_unused:UNUSED_PAD src0_sel:WORD_0 src1_sel:DWORD
	v_mul_u32_u24_sdwa v63, v40, v135 dst_sel:DWORD dst_unused:UNUSED_PAD src0_sel:WORD_1 src1_sel:DWORD
	v_mul_u32_u24_sdwa v64, v41, v135 dst_sel:DWORD dst_unused:UNUSED_PAD src0_sel:WORD_0 src1_sel:DWORD
	v_mul_u32_u24_sdwa v65, v41, v135 dst_sel:DWORD dst_unused:UNUSED_PAD src0_sel:WORD_1 src1_sel:DWORD
	;; [unrolled: 2-line block ×4, first 2 shown]
	v_pk_fma_f16 v40, v20, v44, v52
	v_pk_fma_f16 v41, v20, v45, v53
	;; [unrolled: 1-line block ×13, first 2 shown]
	ds_read_b128 v[17:20], v132 offset:1008
	s_waitcnt lgkmcnt(0)
	v_mul_u32_u24_sdwa v53, v17, v135 dst_sel:DWORD dst_unused:UNUSED_PAD src0_sel:WORD_0 src1_sel:DWORD
	v_mul_u32_u24_sdwa v54, v17, v135 dst_sel:DWORD dst_unused:UNUSED_PAD src0_sel:WORD_1 src1_sel:DWORD
	v_mul_u32_u24_sdwa v55, v18, v135 dst_sel:DWORD dst_unused:UNUSED_PAD src0_sel:WORD_0 src1_sel:DWORD
	v_mul_u32_u24_sdwa v56, v18, v135 dst_sel:DWORD dst_unused:UNUSED_PAD src0_sel:WORD_1 src1_sel:DWORD
	;; [unrolled: 2-line block ×4, first 2 shown]
	ds_read_b128 v[17:20], v132 offset:2032
	s_waitcnt lgkmcnt(0)
	s_barrier
	buffer_gl0_inv
	s_load_dword s15, s[0:1], 0x4
	v_pk_fma_f16 v164, v21, v53, v22
	v_pk_fma_f16 v163, v21, v54, v23
	;; [unrolled: 1-line block ×8, first 2 shown]
	v_mul_u32_u24_sdwa v61, v17, v135 dst_sel:DWORD dst_unused:UNUSED_PAD src0_sel:WORD_0 src1_sel:DWORD
	v_mul_u32_u24_sdwa v17, v17, v135 dst_sel:DWORD dst_unused:UNUSED_PAD src0_sel:WORD_1 src1_sel:DWORD
	v_mul_u32_u24_sdwa v62, v18, v135 dst_sel:DWORD dst_unused:UNUSED_PAD src0_sel:WORD_0 src1_sel:DWORD
	v_mul_u32_u24_sdwa v18, v18, v135 dst_sel:DWORD dst_unused:UNUSED_PAD src0_sel:WORD_1 src1_sel:DWORD
	;; [unrolled: 2-line block ×4, first 2 shown]
	s_waitcnt lgkmcnt(0)
	s_lshl_b32 s15, s15, 6
	v_pk_fma_f16 v150, v21, v61, v45
	v_pk_fma_f16 v149, v21, v17, v46
	;; [unrolled: 1-line block ×8, first 2 shown]
	s_add_i32 s6, s15, s6
	s_cmp_ge_i32 s6, s34
	s_cbranch_scc0 .LBB17_9
; %bb.10:
	s_clause 0x19
	buffer_load_dword v139, off, s[44:47], 0 offset:40
	buffer_load_dword v140, off, s[44:47], 0 offset:44
	;; [unrolled: 1-line block ×26, first 2 shown]
	v_mov_b32_e32 v17, v115
	v_mov_b32_e32 v23, 32
.LBB17_11:
	v_lshlrev_b32_e32 v62, 1, v78
	v_cmp_lt_i32_e32 vcc_lo, v121, v23
	s_cmp_lg_u64 s[16:17], 0
	s_cselect_b32 s0, -1, 0
	s_cmp_eq_u32 s28, 0
	v_cndmask_b32_e32 v0, v17, v121, vcc_lo
	v_cmp_lt_i32_e32 vcc_lo, v122, v23
	s_cselect_b32 s1, -1, 0
	s_and_b32 s0, s1, s0
	v_lshlrev_b32_e32 v0, 2, v0
	v_cndmask_b32_e32 v18, v17, v122, vcc_lo
	v_cmp_lt_i32_e32 vcc_lo, v100, v23
	ds_bpermute_b32 v21, v0, v25
	ds_bpermute_b32 v22, v0, v26
	v_cndmask_b32_e32 v19, v17, v100, vcc_lo
	v_cmp_lt_i32_e32 vcc_lo, v103, v23
	ds_bpermute_b32 v24, v0, v28
	ds_bpermute_b32 v40, v0, v29
	v_lshlrev_b32_e32 v18, 2, v18
	ds_bpermute_b32 v41, v0, v30
	v_cndmask_b32_e32 v20, v17, v103, vcc_lo
	v_cmp_lt_i32_e32 vcc_lo, v86, v23
	ds_bpermute_b32 v23, v0, v27
	ds_bpermute_b32 v42, v0, v31
	;; [unrolled: 1-line block ×9, first 2 shown]
	v_lshlrev_b32_e32 v19, 2, v19
	s_waitcnt lgkmcnt(13)
	v_add_f32_e32 v21, v25, v21
	s_waitcnt lgkmcnt(12)
	v_add_f32_e32 v22, v26, v22
	ds_bpermute_b32 v25, v0, v39
	ds_bpermute_b32 v0, v0, v116
	s_waitcnt lgkmcnt(13)
	v_add_f32_e32 v24, v28, v24
	ds_bpermute_b32 v26, v18, v21
	s_waitcnt lgkmcnt(13)
	v_add_f32_e32 v28, v29, v40
	s_waitcnt lgkmcnt(12)
	v_add_f32_e32 v30, v30, v41
	v_lshlrev_b32_e32 v20, 2, v20
	ds_bpermute_b32 v40, v18, v24
	s_waitcnt lgkmcnt(12)
	v_add_f32_e32 v23, v27, v23
	ds_bpermute_b32 v27, v18, v22
	s_waitcnt lgkmcnt(12)
	v_add_f32_e32 v31, v31, v42
	;; [unrolled: 3-line block ×4, first 2 shown]
	ds_bpermute_b32 v42, v18, v30
	ds_bpermute_b32 v43, v18, v31
	s_waitcnt lgkmcnt(13)
	v_add_f32_e32 v33, v33, v44
	s_waitcnt lgkmcnt(12)
	v_add_f32_e32 v34, v34, v45
	;; [unrolled: 2-line block ×7, first 2 shown]
	ds_bpermute_b32 v26, v18, v35
	v_add_f32_e32 v0, v116, v0
	ds_bpermute_b32 v44, v18, v32
	ds_bpermute_b32 v45, v18, v33
	;; [unrolled: 1-line block ×3, first 2 shown]
	s_waitcnt lgkmcnt(8)
	v_add_f32_e32 v22, v22, v27
	ds_bpermute_b32 v27, v18, v36
	ds_bpermute_b32 v48, v18, v37
	v_add_f32_e32 v24, v24, v40
	s_waitcnt lgkmcnt(8)
	v_add_f32_e32 v23, v23, v29
	ds_bpermute_b32 v29, v19, v21
	ds_bpermute_b32 v40, v18, v38
	;; [unrolled: 1-line block ×4, first 2 shown]
	v_add_f32_e32 v28, v28, v41
	ds_bpermute_b32 v47, v19, v22
	ds_bpermute_b32 v39, v19, v23
	;; [unrolled: 1-line block ×3, first 2 shown]
	s_waitcnt lgkmcnt(14)
	v_add_f32_e32 v30, v30, v42
	s_waitcnt lgkmcnt(13)
	v_add_f32_e32 v31, v31, v43
	;; [unrolled: 2-line block ×3, first 2 shown]
	v_cndmask_b32_e32 v17, v17, v86, vcc_lo
	s_waitcnt lgkmcnt(11)
	v_add_f32_e32 v32, v32, v44
	ds_bpermute_b32 v35, v19, v30
	ds_bpermute_b32 v42, v19, v31
	s_waitcnt lgkmcnt(12)
	v_add_f32_e32 v33, v33, v45
	s_waitcnt lgkmcnt(11)
	v_add_f32_e32 v34, v34, v46
	;; [unrolled: 2-line block ×4, first 2 shown]
	ds_bpermute_b32 v45, v19, v26
	s_waitcnt lgkmcnt(9)
	v_add_f32_e32 v21, v21, v29
	ds_bpermute_b32 v29, v19, v28
	s_waitcnt lgkmcnt(9)
	v_add_f32_e32 v38, v38, v40
	s_waitcnt lgkmcnt(8)
	v_add_f32_e32 v25, v25, v49
	;; [unrolled: 2-line block ×6, first 2 shown]
	ds_bpermute_b32 v18, v19, v32
	ds_bpermute_b32 v40, v19, v33
	;; [unrolled: 1-line block ×11, first 2 shown]
	s_waitcnt lgkmcnt(12)
	v_add_f32_e32 v26, v26, v45
	ds_bpermute_b32 v36, v20, v21
	s_waitcnt lgkmcnt(12)
	v_add_f32_e32 v28, v28, v29
	v_add_f32_e32 v29, v30, v35
	;; [unrolled: 1-line block ×3, first 2 shown]
	v_lshlrev_b32_e32 v17, 2, v17
	s_and_b32 vcc_lo, exec_lo, s0
	ds_bpermute_b32 v31, v20, v28
	s_waitcnt lgkmcnt(12)
	v_add_f32_e32 v18, v32, v18
	s_waitcnt lgkmcnt(11)
	v_add_f32_e32 v33, v33, v40
	;; [unrolled: 2-line block ×10, first 2 shown]
	ds_bpermute_b32 v39, v20, v29
	ds_bpermute_b32 v42, v20, v30
	s_waitcnt lgkmcnt(4)
	v_add_f32_e32 v24, v24, v44
	ds_bpermute_b32 v40, v20, v18
	ds_bpermute_b32 v41, v20, v33
	;; [unrolled: 1-line block ×6, first 2 shown]
	s_waitcnt lgkmcnt(8)
	v_add_f32_e32 v28, v28, v31
	ds_bpermute_b32 v19, v20, v38
	ds_bpermute_b32 v31, v20, v25
	;; [unrolled: 1-line block ×3, first 2 shown]
	v_add_f32_e32 v21, v21, v36
	ds_bpermute_b32 v36, v17, v22
	ds_bpermute_b32 v32, v17, v23
	;; [unrolled: 1-line block ×3, first 2 shown]
	s_waitcnt lgkmcnt(13)
	v_add_f32_e32 v29, v29, v39
	s_waitcnt lgkmcnt(12)
	v_add_f32_e32 v30, v30, v42
	ds_bpermute_b32 v39, v17, v24
	s_waitcnt lgkmcnt(12)
	v_add_f32_e32 v18, v18, v40
	s_waitcnt lgkmcnt(11)
	v_add_f32_e32 v33, v33, v41
	;; [unrolled: 2-line block ×6, first 2 shown]
	ds_bpermute_b32 v40, v17, v28
	s_waitcnt lgkmcnt(7)
	v_add_f32_e32 v19, v38, v19
	s_waitcnt lgkmcnt(6)
	v_add_f32_e32 v25, v25, v31
	;; [unrolled: 2-line block ×3, first 2 shown]
	ds_bpermute_b32 v42, v17, v29
	ds_bpermute_b32 v47, v17, v30
	;; [unrolled: 1-line block ×11, first 2 shown]
	s_waitcnt lgkmcnt(13)
	v_add_f32_e32 v61, v21, v35
	v_add_f32_e32 v59, v22, v36
	;; [unrolled: 1-line block ×3, first 2 shown]
	s_waitcnt lgkmcnt(12)
	v_add_f32_e32 v55, v24, v39
	s_waitcnt lgkmcnt(11)
	v_add_f32_e32 v53, v28, v40
	;; [unrolled: 2-line block ×13, first 2 shown]
	s_cbranch_vccz .LBB17_13
; %bb.12:
	s_ashr_i32 s31, s30, 31
	v_mov_b32_e32 v0, 0
	s_lshl_b64 s[0:1], s[30:31], 2
	v_max_f32_e32 v17, v1, v1
	s_add_u32 s0, s16, s0
	s_addc_u32 s1, s17, s1
	v_max_f32_e32 v18, v2, v2
	global_load_dwordx4 v[31:34], v0, s[0:1]
	v_max_f32_e32 v0, v3, v3
	v_max_f32_e32 v20, v4, v4
	;; [unrolled: 1-line block ×6, first 2 shown]
	v_mov_b32_e32 v178, v78
	v_max_f32_e32 v25, v9, v9
	v_max_f32_e32 v26, v10, v10
	;; [unrolled: 1-line block ×4, first 2 shown]
	v_mov_b32_e32 v36, 0x10001
	v_max_f32_e32 v46, v13, v13
	s_waitcnt vmcnt(0)
	v_max_f32_e32 v44, v31, v31
	v_max_f32_e32 v40, v33, v33
	;; [unrolled: 1-line block ×9, first 2 shown]
	v_sub_f32_e32 v0, v1, v17
	v_sub_f32_e32 v1, v31, v17
	;; [unrolled: 1-line block ×5, first 2 shown]
	v_mul_f32_e32 v67, 0x3fb8aa3b, v0
	v_mul_f32_e32 v68, 0x3fb8aa3b, v1
	;; [unrolled: 1-line block ×4, first 2 shown]
	v_sub_f32_e32 v50, v33, v19
	v_fma_f32 v91, 0x3fb8aa3b, v0, -v67
	v_rndne_f32_e32 v92, v67
	v_fma_f32 v93, 0x3fb8aa3b, v1, -v68
	v_rndne_f32_e32 v94, v68
	v_fma_f32 v95, 0x3fb8aa3b, v2, -v69
	v_fmac_f32_e32 v91, 0x32a5705f, v0
	v_sub_f32_e32 v67, v67, v92
	v_rndne_f32_e32 v96, v69
	v_fmac_f32_e32 v93, 0x32a5705f, v1
	v_sub_f32_e32 v68, v68, v94
	v_mul_f32_e32 v71, 0x3fb8aa3b, v3
	v_add_f32_e32 v67, v67, v91
	v_fma_f32 v97, 0x3fb8aa3b, v48, -v70
	v_rndne_f32_e32 v98, v70
	v_fmac_f32_e32 v95, 0x32a5705f, v2
	v_sub_f32_e32 v69, v69, v96
	v_add_f32_e32 v68, v68, v93
	v_exp_f32_e32 v67, v67
	v_sub_f32_e32 v4, v4, v20
	v_mul_f32_e32 v72, 0x3fb8aa3b, v50
	v_fma_f32 v99, 0x3fb8aa3b, v3, -v71
	v_rndne_f32_e32 v100, v71
	v_cvt_i32_f32_e32 v92, v92
	v_fmac_f32_e32 v97, 0x32a5705f, v48
	v_sub_f32_e32 v70, v70, v98
	v_add_f32_e32 v69, v69, v95
	v_exp_f32_e32 v68, v68
	v_sub_f32_e32 v52, v34, v20
	v_mul_f32_e32 v73, 0x3fb8aa3b, v4
	v_fma_f32 v101, 0x3fb8aa3b, v50, -v72
	v_rndne_f32_e32 v102, v72
	v_cvt_i32_f32_e32 v94, v94
	v_fmac_f32_e32 v99, 0x32a5705f, v3
	v_sub_f32_e32 v71, v71, v100
	v_add_f32_e32 v70, v70, v97
	v_exp_f32_e32 v69, v69
	v_ldexp_f32 v67, v67, v92
	v_cmp_ngt_f32_e32 vcc_lo, 0xc2ce8ed0, v0
	v_sub_f32_e32 v5, v5, v21
	v_mul_f32_e32 v74, 0x3fb8aa3b, v52
	v_fma_f32 v103, 0x3fb8aa3b, v4, -v73
	v_rndne_f32_e32 v104, v73
	v_cvt_i32_f32_e32 v96, v96
	v_fmac_f32_e32 v101, 0x32a5705f, v50
	v_sub_f32_e32 v72, v72, v102
	v_add_f32_e32 v71, v71, v99
	v_exp_f32_e32 v70, v70
	v_ldexp_f32 v68, v68, v94
	v_cndmask_b32_e32 v67, 0, v67, vcc_lo
	v_cmp_ngt_f32_e32 vcc_lo, 0xc2ce8ed0, v1
	v_max_f32_e32 v22, v22, v42
	v_sub_f32_e32 v54, v31, v21
	v_mul_f32_e32 v75, 0x3fb8aa3b, v5
	v_fma_f32 v105, 0x3fb8aa3b, v52, -v74
	v_rndne_f32_e32 v106, v74
	v_cvt_i32_f32_e32 v98, v98
	v_fmac_f32_e32 v103, 0x32a5705f, v4
	v_sub_f32_e32 v73, v73, v104
	v_add_f32_e32 v72, v72, v101
	v_exp_f32_e32 v71, v71
	v_ldexp_f32 v69, v69, v96
	v_cndmask_b32_e32 v68, 0, v68, vcc_lo
	v_cmp_ngt_f32_e32 vcc_lo, 0xc2ce8ed0, v2
	v_sub_f32_e32 v6, v6, v22
	v_mul_f32_e32 v76, 0x3fb8aa3b, v54
	v_fma_f32 v107, 0x3fb8aa3b, v5, -v75
	v_rndne_f32_e32 v108, v75
	v_cvt_i32_f32_e32 v100, v100
	v_fmac_f32_e32 v105, 0x32a5705f, v52
	v_sub_f32_e32 v74, v74, v106
	v_add_f32_e32 v73, v73, v103
	v_exp_f32_e32 v72, v72
	v_ldexp_f32 v70, v70, v98
	v_cndmask_b32_e32 v69, 0, v69, vcc_lo
	v_cmp_ngt_f32_e32 vcc_lo, 0xc2ce8ed0, v48
	v_max_f32_e32 v23, v23, v40
	v_sub_f32_e32 v56, v32, v22
	v_mul_f32_e32 v77, 0x3fb8aa3b, v6
	v_fma_f32 v109, 0x3fb8aa3b, v54, -v76
	v_rndne_f32_e32 v110, v76
	v_cvt_i32_f32_e32 v102, v102
	v_fmac_f32_e32 v107, 0x32a5705f, v5
	v_sub_f32_e32 v75, v75, v108
	v_add_f32_e32 v74, v74, v105
	v_exp_f32_e32 v73, v73
	v_ldexp_f32 v71, v71, v100
	v_cndmask_b32_e32 v70, 0, v70, vcc_lo
	;; [unrolled: 25-line block ×6, first 2 shown]
	v_cmp_ngt_f32_e32 vcc_lo, 0xc2ce8ed0, v7
	v_sub_f32_e32 v11, v11, v27
	v_mul_f32_e32 v86, 0x3fb8aa3b, v64
	v_fma_f32 v127, 0x3fb8aa3b, v10, -v85
	v_rndne_f32_e32 v128, v85
	v_cvt_i32_f32_e32 v120, v120
	v_fmac_f32_e32 v125, 0x32a5705f, v63
	v_sub_f32_e32 v84, v84, v126
	v_add_f32_e32 v83, v83, v123
	v_exp_f32_e32 v82, v82
	v_ldexp_f32 v80, v80, v118
	v_cndmask_b32_e32 v79, 0, v79, vcc_lo
	v_cmp_ngt_f32_e32 vcc_lo, 0xc2ce8ed0, v58
	v_sub_f32_e32 v65, v33, v27
	v_mul_f32_e32 v87, 0x3fb8aa3b, v11
	v_fma_f32 v129, 0x3fb8aa3b, v64, -v86
	v_rndne_f32_e32 v130, v86
	v_cvt_i32_f32_e32 v122, v122
	v_fmac_f32_e32 v127, 0x32a5705f, v10
	v_sub_f32_e32 v85, v85, v128
	v_add_f32_e32 v84, v84, v125
	v_exp_f32_e32 v83, v83
	v_ldexp_f32 v81, v81, v120
	v_cndmask_b32_e32 v80, 0, v80, vcc_lo
	v_cmp_ngt_f32_e32 vcc_lo, 0xc2ce8ed0, v8
	v_mul_f32_e32 v88, 0x3fb8aa3b, v65
	v_fma_f32 v131, 0x3fb8aa3b, v11, -v87
	v_rndne_f32_e32 v132, v87
	v_cvt_i32_f32_e32 v124, v124
	v_fmac_f32_e32 v129, 0x32a5705f, v64
	v_sub_f32_e32 v86, v86, v130
	v_add_f32_e32 v85, v85, v127
	v_exp_f32_e32 v84, v84
	v_ldexp_f32 v82, v82, v122
	v_cndmask_b32_e32 v81, 0, v81, vcc_lo
	v_cmp_ngt_f32_e32 vcc_lo, 0xc2ce8ed0, v60
	v_fma_f32 v133, 0x3fb8aa3b, v65, -v88
	v_rndne_f32_e32 v134, v88
	v_cvt_i32_f32_e32 v126, v126
	v_fmac_f32_e32 v131, 0x32a5705f, v11
	v_sub_f32_e32 v87, v87, v132
	v_add_f32_e32 v86, v86, v129
	v_exp_f32_e32 v85, v85
	v_ldexp_f32 v83, v83, v124
	v_cndmask_b32_e32 v82, 0, v82, vcc_lo
	v_cmp_ngt_f32_e32 vcc_lo, 0xc2ce8ed0, v9
	v_cvt_i32_f32_e32 v128, v128
	v_fmac_f32_e32 v133, 0x32a5705f, v65
	v_sub_f32_e32 v88, v88, v134
	v_add_f32_e32 v87, v87, v131
	v_exp_f32_e32 v86, v86
	v_ldexp_f32 v84, v84, v126
	v_cndmask_b32_e32 v83, 0, v83, vcc_lo
	v_cmp_ngt_f32_e32 vcc_lo, 0xc2ce8ed0, v63
	v_cvt_i32_f32_e32 v130, v130
	v_add_f32_e32 v88, v88, v133
	v_exp_f32_e32 v87, v87
	v_ldexp_f32 v85, v85, v128
	v_cndmask_b32_e32 v84, 0, v84, vcc_lo
	v_cmp_ngt_f32_e32 vcc_lo, 0xc2ce8ed0, v10
	v_cvt_i32_f32_e32 v132, v132
	v_exp_f32_e32 v88, v88
	v_ldexp_f32 v86, v86, v130
	v_cvt_i32_f32_e32 v134, v134
	v_cndmask_b32_e32 v85, 0, v85, vcc_lo
	v_cmp_ngt_f32_e32 vcc_lo, 0xc2ce8ed0, v64
	v_ldexp_f32 v87, v87, v132
	v_max_f32_e32 v28, v28, v38
	v_cndmask_b32_e32 v86, 0, v86, vcc_lo
	v_cmp_ngt_f32_e32 vcc_lo, 0xc2ce8ed0, v11
	v_ldexp_f32 v88, v88, v134
	v_sub_f32_e32 v12, v12, v28
	v_sub_f32_e32 v66, v34, v28
	v_cndmask_b32_e32 v87, 0, v87, vcc_lo
	v_cmp_ngt_f32_e32 vcc_lo, 0xc2ce8ed0, v65
	v_mul_f32_e32 v89, 0x3fb8aa3b, v12
	v_mul_f32_e32 v90, 0x3fb8aa3b, v66
	v_cndmask_b32_e32 v88, 0, v88, vcc_lo
	v_cmp_nlt_f32_e32 vcc_lo, 0x42b17218, v0
	v_fma_f32 v135, 0x3fb8aa3b, v12, -v89
	v_rndne_f32_e32 v136, v89
	v_fma_f32 v137, 0x3fb8aa3b, v66, -v90
	v_rndne_f32_e32 v138, v90
	v_cndmask_b32_e32 v0, 0x7f800000, v67, vcc_lo
	v_cmp_nlt_f32_e32 vcc_lo, 0x42b17218, v1
	v_fmac_f32_e32 v135, 0x32a5705f, v12
	v_sub_f32_e32 v89, v89, v136
	v_fmac_f32_e32 v137, 0x32a5705f, v66
	v_sub_f32_e32 v90, v90, v138
	v_cndmask_b32_e32 v67, 0x7f800000, v68, vcc_lo
	v_cmp_nlt_f32_e32 vcc_lo, 0x42b17218, v2
	v_add_f32_e32 v89, v89, v135
	v_add_f32_e32 v90, v90, v137
	v_fmac_f32_e32 v67, v61, v0
	v_cndmask_b32_e32 v1, 0x7f800000, v69, vcc_lo
	v_cmp_nlt_f32_e32 vcc_lo, 0x42b17218, v48
	v_exp_f32_e32 v89, v89
	v_cvt_f16_f32_e32 v0, v0
	v_mov_b32_e32 v61, v67
	v_cndmask_b32_e32 v48, 0x7f800000, v70, vcc_lo
	v_cmp_nlt_f32_e32 vcc_lo, 0x42b17218, v3
	v_mul_u32_u24_sdwa v0, v0, v36 dst_sel:DWORD dst_unused:UNUSED_PAD src0_sel:WORD_0 src1_sel:DWORD
	v_fmac_f32_e32 v48, v59, v1
	v_cndmask_b32_e32 v2, 0x7f800000, v71, vcc_lo
	v_cmp_nlt_f32_e32 vcc_lo, 0x42b17218, v50
	v_cvt_f16_f32_e32 v1, v1
	v_pk_mul_f16 v164, v164, v0
	v_mov_b32_e32 v59, v48
	v_cndmask_b32_e32 v50, 0x7f800000, v72, vcc_lo
	v_cmp_nlt_f32_e32 vcc_lo, 0x42b17218, v4
	v_mul_u32_u24_sdwa v1, v1, v36 dst_sel:DWORD dst_unused:UNUSED_PAD src0_sel:WORD_0 src1_sel:DWORD
	v_fmac_f32_e32 v50, v57, v2
	v_cndmask_b32_e32 v3, 0x7f800000, v73, vcc_lo
	v_cmp_nlt_f32_e32 vcc_lo, 0x42b17218, v52
	v_cvt_f16_f32_e32 v2, v2
	v_pk_mul_f16 v163, v163, v1
	v_cvt_i32_f32_e32 v1, v136
	v_mov_b32_e32 v57, v50
	v_cndmask_b32_e32 v52, 0x7f800000, v74, vcc_lo
	v_cmp_nlt_f32_e32 vcc_lo, 0x42b17218, v5
	v_mul_u32_u24_sdwa v2, v2, v36 dst_sel:DWORD dst_unused:UNUSED_PAD src0_sel:WORD_0 src1_sel:DWORD
	v_ldexp_f32 v1, v89, v1
	v_fmac_f32_e32 v52, v55, v3
	v_cndmask_b32_e32 v4, 0x7f800000, v75, vcc_lo
	v_cmp_nlt_f32_e32 vcc_lo, 0x42b17218, v54
	v_cvt_f16_f32_e32 v3, v3
	v_pk_mul_f16 v162, v162, v2
	v_exp_f32_e32 v2, v90
	v_mov_b32_e32 v55, v52
	v_cndmask_b32_e32 v54, 0x7f800000, v76, vcc_lo
	v_cmp_nlt_f32_e32 vcc_lo, 0x42b17218, v6
	v_mul_u32_u24_sdwa v3, v3, v36 dst_sel:DWORD dst_unused:UNUSED_PAD src0_sel:WORD_0 src1_sel:DWORD
	v_fmac_f32_e32 v54, v53, v4
	v_cndmask_b32_e32 v5, 0x7f800000, v77, vcc_lo
	v_cmp_nlt_f32_e32 vcc_lo, 0x42b17218, v56
	v_cvt_f16_f32_e32 v4, v4
	v_pk_mul_f16 v161, v161, v3
	v_mov_b32_e32 v53, v54
	v_cndmask_b32_e32 v56, 0x7f800000, v78, vcc_lo
	v_cmp_nlt_f32_e32 vcc_lo, 0x42b17218, v7
	v_mul_u32_u24_sdwa v4, v4, v36 dst_sel:DWORD dst_unused:UNUSED_PAD src0_sel:WORD_0 src1_sel:DWORD
	v_mov_b32_e32 v78, v178
	v_fmac_f32_e32 v56, v51, v5
	v_cndmask_b32_e32 v6, 0x7f800000, v79, vcc_lo
	v_cmp_nlt_f32_e32 vcc_lo, 0x42b17218, v58
	v_cvt_f16_f32_e32 v5, v5
	v_pk_mul_f16 v154, v154, v4
	v_mov_b32_e32 v51, v56
	v_cndmask_b32_e32 v58, 0x7f800000, v80, vcc_lo
	v_cmp_nlt_f32_e32 vcc_lo, 0x42b17218, v8
	v_mul_u32_u24_sdwa v5, v5, v36 dst_sel:DWORD dst_unused:UNUSED_PAD src0_sel:WORD_0 src1_sel:DWORD
	v_fmac_f32_e32 v58, v49, v6
	v_cndmask_b32_e32 v7, 0x7f800000, v81, vcc_lo
	v_cmp_nlt_f32_e32 vcc_lo, 0x42b17218, v60
	v_cvt_f16_f32_e32 v6, v6
	v_pk_mul_f16 v153, v153, v5
	v_cvt_i32_f32_e32 v5, v138
	v_mov_b32_e32 v49, v58
	v_cndmask_b32_e32 v60, 0x7f800000, v82, vcc_lo
	v_cmp_nlt_f32_e32 vcc_lo, 0x42b17218, v9
	v_mul_u32_u24_sdwa v6, v6, v36 dst_sel:DWORD dst_unused:UNUSED_PAD src0_sel:WORD_0 src1_sel:DWORD
	v_ldexp_f32 v2, v2, v5
	v_fmac_f32_e32 v60, v47, v7
	v_cndmask_b32_e32 v8, 0x7f800000, v83, vcc_lo
	v_cmp_nlt_f32_e32 vcc_lo, 0x42b17218, v63
	v_cvt_f16_f32_e32 v7, v7
	v_pk_mul_f16 v152, v152, v6
	v_mov_b32_e32 v47, v60
	v_cndmask_b32_e32 v63, 0x7f800000, v84, vcc_lo
	v_cmp_nlt_f32_e32 vcc_lo, 0x42b17218, v10
	v_mul_u32_u24_sdwa v7, v7, v36 dst_sel:DWORD dst_unused:UNUSED_PAD src0_sel:WORD_0 src1_sel:DWORD
	v_fmac_f32_e32 v63, v45, v8
	v_cndmask_b32_e32 v9, 0x7f800000, v85, vcc_lo
	v_cmp_nlt_f32_e32 vcc_lo, 0x42b17218, v64
	v_cvt_f16_f32_e32 v8, v8
	v_pk_mul_f16 v151, v151, v7
	v_mov_b32_e32 v45, v63
	v_cndmask_b32_e32 v64, 0x7f800000, v86, vcc_lo
	v_cmp_nlt_f32_e32 vcc_lo, 0x42b17218, v11
	v_mul_u32_u24_sdwa v8, v8, v36 dst_sel:DWORD dst_unused:UNUSED_PAD src0_sel:WORD_0 src1_sel:DWORD
	v_fmac_f32_e32 v64, v29, v9
	v_cndmask_b32_e32 v10, 0x7f800000, v87, vcc_lo
	v_cmp_nlt_f32_e32 vcc_lo, 0x42b17218, v65
	v_max_f32_e32 v29, v46, v44
	v_cvt_f16_f32_e32 v9, v9
	v_pk_mul_f16 v150, v150, v8
	v_cvt_f16_f32_e32 v11, v10
	v_cndmask_b32_e32 v0, 0x7f800000, v88, vcc_lo
	v_cmp_ngt_f32_e32 vcc_lo, 0xc2ce8ed0, v12
	v_sub_f32_e32 v3, v13, v29
	v_sub_f32_e32 v7, v31, v29
	v_mul_u32_u24_sdwa v4, v11, v36 dst_sel:DWORD dst_unused:UNUSED_PAD src0_sel:WORD_0 src1_sel:DWORD
	v_mul_u32_u24_sdwa v9, v9, v36 dst_sel:DWORD dst_unused:UNUSED_PAD src0_sel:WORD_0 src1_sel:DWORD
	v_cndmask_b32_e32 v1, 0, v1, vcc_lo
	v_cmp_nlt_f32_e32 vcc_lo, 0x42b17218, v12
	v_mul_f32_e32 v6, 0x3fb8aa3b, v3
	v_pk_mul_f16 v148, v148, v4
	v_pk_mul_f16 v149, v149, v9
	v_fmac_f32_e32 v0, v43, v10
	v_cndmask_b32_e32 v1, 0x7f800000, v1, vcc_lo
	v_cmp_ngt_f32_e32 vcc_lo, 0xc2ce8ed0, v66
	v_fma_f32 v4, 0x3fb8aa3b, v3, -v6
	v_rndne_f32_e32 v5, v6
	v_mov_b32_e32 v43, v0
	v_cvt_f16_f32_e32 v8, v1
	v_cndmask_b32_e32 v2, 0, v2, vcc_lo
	v_cmp_nlt_f32_e32 vcc_lo, 0x42b17218, v66
	v_fmac_f32_e32 v4, 0x32a5705f, v3
	v_sub_f32_e32 v6, v6, v5
	v_cvt_i32_f32_e32 v5, v5
	v_cndmask_b32_e32 v44, 0x7f800000, v2, vcc_lo
	v_max_f32_e32 v2, v14, v14
	v_add_f32_e32 v4, v6, v4
	v_mul_f32_e32 v6, 0x3fb8aa3b, v7
	v_cmp_ngt_f32_e32 vcc_lo, 0xc2ce8ed0, v3
	v_fmac_f32_e32 v44, v30, v1
	v_max_f32_e32 v30, v2, v42
	v_mul_u32_u24_sdwa v1, v8, v36 dst_sel:DWORD dst_unused:UNUSED_PAD src0_sel:WORD_0 src1_sel:DWORD
	v_exp_f32_e32 v2, v4
	v_fma_f32 v4, 0x3fb8aa3b, v7, -v6
	v_rndne_f32_e32 v8, v6
	v_sub_f32_e32 v9, v14, v30
	v_sub_f32_e32 v10, v32, v30
	v_pk_mul_f16 v147, v147, v1
	v_fmac_f32_e32 v4, 0x32a5705f, v7
	v_sub_f32_e32 v6, v6, v8
	v_mul_f32_e32 v11, 0x3fb8aa3b, v9
	v_mul_f32_e32 v1, 0x3fb8aa3b, v10
	v_ldexp_f32 v2, v2, v5
	v_cvt_i32_f32_e32 v8, v8
	v_add_f32_e32 v4, v6, v4
	v_fma_f32 v5, 0x3fb8aa3b, v9, -v11
	v_rndne_f32_e32 v6, v11
	v_fma_f32 v12, 0x3fb8aa3b, v10, -v1
	v_rndne_f32_e32 v13, v1
	v_exp_f32_e32 v4, v4
	v_fmac_f32_e32 v5, 0x32a5705f, v9
	v_sub_f32_e32 v11, v11, v6
	v_fmac_f32_e32 v12, 0x32a5705f, v10
	v_sub_f32_e32 v1, v1, v13
	v_cndmask_b32_e32 v2, 0, v2, vcc_lo
	v_cmp_nlt_f32_e32 vcc_lo, 0x42b17218, v3
	v_add_f32_e32 v5, v11, v5
	v_cvt_i32_f32_e32 v6, v6
	v_add_f32_e32 v1, v1, v12
	v_ldexp_f32 v4, v4, v8
	v_cndmask_b32_e32 v2, 0x7f800000, v2, vcc_lo
	v_exp_f32_e32 v3, v5
	v_cmp_ngt_f32_e32 vcc_lo, 0xc2ce8ed0, v7
	v_exp_f32_e32 v1, v1
	v_cvt_i32_f32_e32 v8, v13
	v_cvt_f16_f32_e32 v5, v2
	v_max_f32_e32 v11, v15, v15
	v_cndmask_b32_e32 v4, 0, v4, vcc_lo
	v_cmp_nlt_f32_e32 vcc_lo, 0x42b17218, v7
	v_ldexp_f32 v3, v3, v6
	v_max_f32_e32 v31, v11, v40
	v_cndmask_b32_e32 v42, 0x7f800000, v4, vcc_lo
	v_cmp_ngt_f32_e32 vcc_lo, 0xc2ce8ed0, v9
	v_ldexp_f32 v1, v1, v8
	v_mul_u32_u24_sdwa v4, v5, v36 dst_sel:DWORD dst_unused:UNUSED_PAD src0_sel:WORD_0 src1_sel:DWORD
	v_max_f32_e32 v5, v16, v16
	v_sub_f32_e32 v6, v15, v31
	v_cndmask_b32_e32 v3, 0, v3, vcc_lo
	v_cmp_ngt_f32_e32 vcc_lo, 0xc2ce8ed0, v10
	v_fmac_f32_e32 v42, v41, v2
	v_max_f32_e32 v32, v5, v38
	v_pk_mul_f16 v146, v146, v4
	v_sub_f32_e32 v8, v33, v31
	v_cndmask_b32_e32 v1, 0, v1, vcc_lo
	v_cmp_nlt_f32_e32 vcc_lo, 0x42b17218, v9
	v_sub_f32_e32 v2, v16, v32
	v_sub_f32_e32 v12, v34, v32
	v_mul_f32_e32 v11, 0x3fb8aa3b, v8
	v_mov_b32_e32 v41, v42
	v_cndmask_b32_e32 v3, 0x7f800000, v3, vcc_lo
	v_cmp_nlt_f32_e32 vcc_lo, 0x42b17218, v10
	v_mul_f32_e32 v7, 0x3fb8aa3b, v2
	v_mul_f32_e32 v13, 0x3fb8aa3b, v12
	v_rndne_f32_e32 v14, v11
	v_cndmask_b32_e32 v38, 0x7f800000, v1, vcc_lo
	v_mul_f32_e32 v1, 0x3fb8aa3b, v6
	v_fma_f32 v9, 0x3fb8aa3b, v2, -v7
	v_rndne_f32_e32 v10, v7
	v_rndne_f32_e32 v15, v13
	v_cmp_ngt_f32_e32 vcc_lo, 0xc2ce8ed0, v6
	v_fma_f32 v4, 0x3fb8aa3b, v6, -v1
	v_rndne_f32_e32 v5, v1
	v_fmac_f32_e32 v9, 0x32a5705f, v2
	v_fmac_f32_e32 v38, v39, v3
	v_cvt_f16_f32_e32 v3, v3
	v_fmac_f32_e32 v4, 0x32a5705f, v6
	v_sub_f32_e32 v1, v1, v5
	v_cvt_i32_f32_e32 v5, v5
	v_mov_b32_e32 v39, v38
	v_mul_u32_u24_sdwa v3, v3, v36 dst_sel:DWORD dst_unused:UNUSED_PAD src0_sel:WORD_0 src1_sel:DWORD
	v_add_f32_e32 v1, v1, v4
	v_sub_f32_e32 v4, v7, v10
	v_fma_f32 v7, 0x3fb8aa3b, v8, -v11
	v_sub_f32_e32 v11, v11, v14
	v_cvt_i32_f32_e32 v10, v10
	v_exp_f32_e32 v1, v1
	v_add_f32_e32 v4, v4, v9
	v_fmac_f32_e32 v7, 0x32a5705f, v8
	v_fma_f32 v9, 0x3fb8aa3b, v12, -v13
	v_sub_f32_e32 v13, v13, v15
	v_pk_mul_f16 v145, v145, v3
	v_exp_f32_e32 v4, v4
	v_add_f32_e32 v7, v11, v7
	v_fmac_f32_e32 v9, 0x32a5705f, v12
	v_ldexp_f32 v1, v1, v5
	v_exp_f32_e32 v7, v7
	v_add_f32_e32 v5, v13, v9
	v_cvt_i32_f32_e32 v9, v14
	v_cndmask_b32_e32 v1, 0, v1, vcc_lo
	v_ldexp_f32 v4, v4, v10
	v_cmp_ngt_f32_e32 vcc_lo, 0xc2ce8ed0, v2
	v_exp_f32_e32 v5, v5
	v_cvt_i32_f32_e32 v10, v15
	v_cndmask_b32_e32 v4, 0, v4, vcc_lo
	v_cmp_nlt_f32_e32 vcc_lo, 0x42b17218, v6
	v_ldexp_f32 v6, v7, v9
	v_cndmask_b32_e32 v1, 0x7f800000, v1, vcc_lo
	v_cmp_nlt_f32_e32 vcc_lo, 0x42b17218, v2
	v_cndmask_b32_e32 v2, 0x7f800000, v4, vcc_lo
	v_cmp_ngt_f32_e32 vcc_lo, 0xc2ce8ed0, v8
	v_ldexp_f32 v4, v5, v10
	v_cvt_f16_f32_e32 v7, v2
	v_cndmask_b32_e32 v5, 0, v6, vcc_lo
	v_cmp_ngt_f32_e32 vcc_lo, 0xc2ce8ed0, v12
	v_cvt_f16_f32_e32 v6, v1
	v_cndmask_b32_e32 v4, 0, v4, vcc_lo
	v_cmp_nlt_f32_e32 vcc_lo, 0x42b17218, v8
	v_cndmask_b32_e32 v33, 0x7f800000, v5, vcc_lo
	v_cmp_nlt_f32_e32 vcc_lo, 0x42b17218, v12
	v_mul_u32_u24_sdwa v5, v6, v36 dst_sel:DWORD dst_unused:UNUSED_PAD src0_sel:WORD_0 src1_sel:DWORD
	v_fmac_f32_e32 v33, v37, v1
	v_cndmask_b32_e32 v34, 0x7f800000, v4, vcc_lo
	v_mul_u32_u24_sdwa v4, v7, v36 dst_sel:DWORD dst_unused:UNUSED_PAD src0_sel:WORD_0 src1_sel:DWORD
	v_pk_mul_f16 v144, v144, v5
	v_mov_b32_e32 v37, v33
	v_fmac_f32_e32 v34, v35, v2
	v_pk_mul_f16 v143, v143, v4
	v_mov_b32_e32 v1, v17
	v_mov_b32_e32 v2, v18
	;; [unrolled: 1-line block ×19, first 2 shown]
.LBB17_13:
	s_mov_b32 s0, exec_lo
	s_waitcnt vmcnt(0)
	v_cmpx_gt_i32_e64 s2, v181
	s_cbranch_execz .LBB17_90
; %bb.14:
	s_load_dword s1, s[4:5], 0xd4
	v_mov_b32_e32 v20, 1.0
	s_waitcnt lgkmcnt(0)
	s_cmp_lg_u32 s1, 1
	s_cselect_b32 s6, -1, 0
	s_cmp_eq_u32 s1, 1
	s_cselect_b32 s4, -1, 0
	s_and_b32 vcc_lo, exec_lo, s6
	s_cbranch_vccnz .LBB17_16
; %bb.15:
	v_div_scale_f32 v0, null, v61, v61, 1.0
	v_rcp_f32_e32 v17, v0
	v_fma_f32 v18, -v0, v17, 1.0
	v_fmac_f32_e32 v17, v18, v17
	v_div_scale_f32 v18, vcc_lo, 1.0, v61, 1.0
	v_mul_f32_e32 v19, v18, v17
	v_fma_f32 v20, -v0, v19, v18
	v_fmac_f32_e32 v19, v20, v17
	v_fma_f32 v0, -v0, v19, v18
	v_div_fmas_f32 v0, v0, v17, v19
	v_div_fixup_f32 v20, v0, v61, 1.0
.LBB17_16:
	s_mul_i32 s5, s7, s2
	v_mov_b32_e32 v22, 0
	s_add_i32 s5, s5, s14
	v_cmp_eq_u32_e32 vcc_lo, 0, v78
	v_add_nc_u32_e32 v0, s5, v180
	s_and_b32 s7, vcc_lo, s6
	v_mul_lo_u32 v19, v0, s3
	v_add_nc_u32_e32 v0, s30, v19
	v_mad_u64_u32 v[17:18], null, s1, v0, s[28:29]
	v_cvt_f32_f16_e32 v0, v164
	v_cvt_f32_f16_sdwa v18, v164 dst_sel:DWORD dst_unused:UNUSED_PAD src0_sel:WORD_1
	v_mul_f32_e32 v23, v20, v0
	v_lshl_add_u32 v21, v17, 6, v62
	v_mul_f32_e32 v24, v20, v18
	v_lshlrev_b64 v[21:22], 2, v[21:22]
	v_add_co_u32 v20, s0, s20, v21
	v_add_co_ci_u32_e64 v21, null, s21, v22, s0
	global_store_dwordx2 v[20:21], v[23:24], off
	s_and_saveexec_b32 s0, s7
	s_cbranch_execz .LBB17_18
; %bb.17:
	v_ashrrev_i32_e32 v18, 31, v17
	v_mov_b32_e32 v60, v1
	v_lshlrev_b64 v[17:18], 3, v[17:18]
	v_add_co_u32 v17, vcc_lo, s22, v17
	v_add_co_ci_u32_e64 v18, null, s23, v18, vcc_lo
	global_store_dwordx2 v[17:18], v[60:61], off
.LBB17_18:
	s_or_b32 exec_lo, exec_lo, s0
	v_cndmask_b32_e64 v17, 0, 1, s4
	v_mov_b32_e32 v18, 1.0
	s_andn2_b32 vcc_lo, exec_lo, s4
	s_cbranch_vccnz .LBB17_20
; %bb.19:
	v_div_scale_f32 v0, null, v59, v59, 1.0
	v_rcp_f32_e32 v1, v0
	v_fma_f32 v18, -v0, v1, 1.0
	v_fmac_f32_e32 v1, v18, v1
	v_div_scale_f32 v18, vcc_lo, 1.0, v59, 1.0
	v_mul_f32_e32 v20, v18, v1
	v_fma_f32 v21, -v0, v20, v18
	v_fmac_f32_e32 v20, v21, v1
	v_fma_f32 v0, -v0, v20, v18
	v_div_fmas_f32 v0, v0, v1, v20
	v_div_fixup_f32 v18, v0, v59, 1.0
.LBB17_20:
	s_add_i32 s6, s30, 1
	v_mov_b32_e32 v21, 0
	v_add_nc_u32_e32 v0, s6, v19
	v_cvt_f32_f16_sdwa v23, v163 dst_sel:DWORD dst_unused:UNUSED_PAD src0_sel:WORD_1
	v_mad_u64_u32 v[0:1], null, s1, v0, s[28:29]
	v_cvt_f32_f16_e32 v1, v163
	v_mul_f32_e32 v23, v18, v23
	v_mul_f32_e32 v22, v18, v1
	v_lshl_add_u32 v20, v0, 6, v62
	v_lshlrev_b64 v[20:21], 2, v[20:21]
	v_add_co_u32 v20, vcc_lo, s20, v20
	v_add_co_ci_u32_e64 v21, null, s21, v21, vcc_lo
	global_store_dwordx2 v[20:21], v[22:23], off
	s_and_saveexec_b32 s0, s7
	s_cbranch_execz .LBB17_22
; %bb.21:
	v_ashrrev_i32_e32 v1, 31, v0
	v_mov_b32_e32 v58, v2
	v_lshlrev_b64 v[0:1], 3, v[0:1]
	v_add_co_u32 v0, vcc_lo, s22, v0
	v_add_co_ci_u32_e64 v1, null, s23, v1, vcc_lo
	global_store_dwordx2 v[0:1], v[58:59], off
.LBB17_22:
	s_or_b32 exec_lo, exec_lo, s0
	v_cmp_ne_u32_e32 vcc_lo, 1, v17
	v_mov_b32_e32 v2, 1.0
	s_cbranch_vccnz .LBB17_24
; %bb.23:
	v_div_scale_f32 v0, null, v57, v57, 1.0
	v_rcp_f32_e32 v1, v0
	v_fma_f32 v2, -v0, v1, 1.0
	v_fmac_f32_e32 v1, v2, v1
	v_div_scale_f32 v2, vcc_lo, 1.0, v57, 1.0
	v_mul_f32_e32 v18, v2, v1
	v_fma_f32 v20, -v0, v18, v2
	v_fmac_f32_e32 v18, v20, v1
	v_fma_f32 v0, -v0, v18, v2
	v_div_fmas_f32 v0, v0, v1, v18
	v_div_fixup_f32 v2, v0, v57, 1.0
.LBB17_24:
	s_add_i32 s4, s30, 2
	v_mov_b32_e32 v21, 0
	v_add_nc_u32_e32 v0, s4, v19
	v_cvt_f32_f16_sdwa v18, v162 dst_sel:DWORD dst_unused:UNUSED_PAD src0_sel:WORD_1
	v_mad_u64_u32 v[0:1], null, s1, v0, s[28:29]
	v_cvt_f32_f16_e32 v1, v162
	v_mul_f32_e32 v1, v2, v1
	v_lshl_add_u32 v20, v0, 6, v62
	v_mul_f32_e32 v2, v2, v18
	v_lshlrev_b64 v[20:21], 2, v[20:21]
	v_add_co_u32 v20, vcc_lo, s20, v20
	v_add_co_ci_u32_e64 v21, null, s21, v21, vcc_lo
	global_store_dwordx2 v[20:21], v[1:2], off
	s_and_saveexec_b32 s0, s7
	s_cbranch_execz .LBB17_26
; %bb.25:
	v_ashrrev_i32_e32 v1, 31, v0
	v_mov_b32_e32 v56, v3
	v_lshlrev_b64 v[0:1], 3, v[0:1]
	v_add_co_u32 v0, vcc_lo, s22, v0
	v_add_co_ci_u32_e64 v1, null, s23, v1, vcc_lo
	global_store_dwordx2 v[0:1], v[56:57], off
.LBB17_26:
	s_or_b32 exec_lo, exec_lo, s0
	v_cmp_ne_u32_e32 vcc_lo, 1, v17
	v_mov_b32_e32 v2, 1.0
	s_cbranch_vccnz .LBB17_28
; %bb.27:
	v_div_scale_f32 v0, null, v55, v55, 1.0
	v_rcp_f32_e32 v1, v0
	v_fma_f32 v2, -v0, v1, 1.0
	v_fmac_f32_e32 v1, v2, v1
	v_div_scale_f32 v2, vcc_lo, 1.0, v55, 1.0
	v_mul_f32_e32 v3, v2, v1
	v_fma_f32 v18, -v0, v3, v2
	v_fmac_f32_e32 v3, v18, v1
	v_fma_f32 v0, -v0, v3, v2
	v_div_fmas_f32 v0, v0, v1, v3
	v_div_fixup_f32 v2, v0, v55, 1.0
.LBB17_28:
	s_add_i32 s0, s30, 3
	v_cvt_f32_f16_sdwa v3, v161 dst_sel:DWORD dst_unused:UNUSED_PAD src0_sel:WORD_1
	v_add_nc_u32_e32 v0, s0, v19
	v_mov_b32_e32 v19, 0
	v_mad_u64_u32 v[0:1], null, s1, v0, s[28:29]
	v_cvt_f32_f16_e32 v1, v161
	v_mul_f32_e32 v1, v2, v1
	v_lshl_add_u32 v18, v0, 6, v62
	v_mul_f32_e32 v2, v2, v3
	v_lshlrev_b64 v[18:19], 2, v[18:19]
	v_add_co_u32 v18, vcc_lo, s20, v18
	v_add_co_ci_u32_e64 v19, null, s21, v19, vcc_lo
	global_store_dwordx2 v[18:19], v[1:2], off
	s_and_saveexec_b32 s8, s7
	s_cbranch_execz .LBB17_30
; %bb.29:
	v_ashrrev_i32_e32 v1, 31, v0
	v_mov_b32_e32 v54, v4
	v_lshlrev_b64 v[0:1], 3, v[0:1]
	v_add_co_u32 v0, vcc_lo, s22, v0
	v_add_co_ci_u32_e64 v1, null, s23, v1, vcc_lo
	global_store_dwordx2 v[0:1], v[54:55], off
.LBB17_30:
	s_or_b32 exec_lo, exec_lo, s8
	v_cmp_gt_i32_e32 vcc_lo, s2, v179
	s_and_b32 exec_lo, exec_lo, vcc_lo
	s_cbranch_execz .LBB17_90
; %bb.31:
	v_cmp_ne_u32_e32 vcc_lo, 1, v17
	v_mov_b32_e32 v2, 1.0
	s_cbranch_vccnz .LBB17_33
; %bb.32:
	v_div_scale_f32 v0, null, v53, v53, 1.0
	v_rcp_f32_e32 v1, v0
	v_fma_f32 v2, -v0, v1, 1.0
	v_fmac_f32_e32 v1, v2, v1
	v_div_scale_f32 v2, vcc_lo, 1.0, v53, 1.0
	v_mul_f32_e32 v3, v2, v1
	v_fma_f32 v4, -v0, v3, v2
	v_fmac_f32_e32 v3, v4, v1
	v_fma_f32 v0, -v0, v3, v2
	v_div_fmas_f32 v0, v0, v1, v3
	v_div_fixup_f32 v2, v0, v53, 1.0
.LBB17_33:
	v_add_nc_u32_e32 v0, s5, v176
	v_mov_b32_e32 v4, 0
	v_cvt_f32_f16_sdwa v18, v154 dst_sel:DWORD dst_unused:UNUSED_PAD src0_sel:WORD_1
	v_mad_u64_u32 v[0:1], null, v0, s3, s[30:31]
	v_mad_u64_u32 v[0:1], null, s1, v0, s[28:29]
	v_cvt_f32_f16_e32 v1, v154
	v_mul_f32_e32 v1, v2, v1
	v_lshl_add_u32 v3, v0, 6, v62
	v_mul_f32_e32 v2, v2, v18
	v_lshlrev_b64 v[3:4], 2, v[3:4]
	v_add_co_u32 v3, vcc_lo, s20, v3
	v_add_co_ci_u32_e64 v4, null, s21, v4, vcc_lo
	global_store_dwordx2 v[3:4], v[1:2], off
	s_and_saveexec_b32 s8, s7
	s_cbranch_execz .LBB17_35
; %bb.34:
	v_ashrrev_i32_e32 v1, 31, v0
	v_mov_b32_e32 v52, v5
	v_lshlrev_b64 v[0:1], 3, v[0:1]
	v_add_co_u32 v0, vcc_lo, s22, v0
	v_add_co_ci_u32_e64 v1, null, s23, v1, vcc_lo
	global_store_dwordx2 v[0:1], v[52:53], off
.LBB17_35:
	s_or_b32 exec_lo, exec_lo, s8
	v_cmp_gt_i32_e32 vcc_lo, s2, v177
	s_and_b32 exec_lo, exec_lo, vcc_lo
	s_cbranch_execz .LBB17_90
; %bb.36:
	v_cmp_ne_u32_e32 vcc_lo, 1, v17
	v_mov_b32_e32 v2, 1.0
	s_cbranch_vccnz .LBB17_38
; %bb.37:
	v_div_scale_f32 v0, null, v51, v51, 1.0
	v_rcp_f32_e32 v1, v0
	v_fma_f32 v2, -v0, v1, 1.0
	v_fmac_f32_e32 v1, v2, v1
	v_div_scale_f32 v2, vcc_lo, 1.0, v51, 1.0
	v_mul_f32_e32 v3, v2, v1
	v_fma_f32 v4, -v0, v3, v2
	v_fmac_f32_e32 v3, v4, v1
	v_fma_f32 v0, -v0, v3, v2
	v_div_fmas_f32 v0, v0, v1, v3
	v_div_fixup_f32 v2, v0, v51, 1.0
.LBB17_38:
	v_add_nc_u32_e32 v0, s5, v175
	v_mov_b32_e32 v4, 0
	v_cvt_f32_f16_sdwa v5, v153 dst_sel:DWORD dst_unused:UNUSED_PAD src0_sel:WORD_1
	v_mad_u64_u32 v[0:1], null, v0, s3, s[6:7]
	;; [unrolled: 44-line block ×12, first 2 shown]
	v_mad_u64_u32 v[0:1], null, s1, v0, s[28:29]
	v_cvt_f32_f16_e32 v1, v143
	v_mul_f32_e32 v1, v2, v1
	v_lshl_add_u32 v3, v0, 6, v62
	v_mul_f32_e32 v2, v2, v5
	v_lshlrev_b64 v[3:4], 2, v[3:4]
	v_add_co_u32 v3, vcc_lo, s20, v3
	v_add_co_ci_u32_e64 v4, null, s21, v4, vcc_lo
	global_store_dwordx2 v[3:4], v[1:2], off
	s_and_b32 exec_lo, exec_lo, s7
	s_cbranch_execz .LBB17_90
; %bb.89:
	v_ashrrev_i32_e32 v1, 31, v0
	v_mov_b32_e32 v34, v16
	v_lshlrev_b64 v[0:1], 3, v[0:1]
	v_add_co_u32 v0, vcc_lo, s22, v0
	v_add_co_ci_u32_e64 v1, null, s23, v1, vcc_lo
	global_store_dwordx2 v[0:1], v[34:35], off
.LBB17_90:
	s_endpgm
	.section	.rodata,"a",@progbits
	.p2align	6, 0x0
	.amdhsa_kernel _ZL15flash_attn_tileILi64ELi64ELi16ELi4ELb0EEvPKcS1_S1_S1_S1_PKiPfP15HIP_vector_typeIfLj2EEffffjfiS5_IjLj3EEiiiiiiiiiiiliiliiiiil
		.amdhsa_group_segment_fixed_size 25600
		.amdhsa_private_segment_fixed_size 148
		.amdhsa_kernarg_size 464
		.amdhsa_user_sgpr_count 6
		.amdhsa_user_sgpr_private_segment_buffer 1
		.amdhsa_user_sgpr_dispatch_ptr 0
		.amdhsa_user_sgpr_queue_ptr 0
		.amdhsa_user_sgpr_kernarg_segment_ptr 1
		.amdhsa_user_sgpr_dispatch_id 0
		.amdhsa_user_sgpr_flat_scratch_init 0
		.amdhsa_user_sgpr_private_segment_size 0
		.amdhsa_wavefront_size32 1
		.amdhsa_uses_dynamic_stack 0
		.amdhsa_system_sgpr_private_segment_wavefront_offset 1
		.amdhsa_system_sgpr_workgroup_id_x 1
		.amdhsa_system_sgpr_workgroup_id_y 1
		.amdhsa_system_sgpr_workgroup_id_z 1
		.amdhsa_system_sgpr_workgroup_info 0
		.amdhsa_system_vgpr_workitem_id 1
		.amdhsa_next_free_vgpr 192
		.amdhsa_next_free_sgpr 48
		.amdhsa_reserve_vcc 1
		.amdhsa_reserve_flat_scratch 0
		.amdhsa_float_round_mode_32 0
		.amdhsa_float_round_mode_16_64 0
		.amdhsa_float_denorm_mode_32 3
		.amdhsa_float_denorm_mode_16_64 3
		.amdhsa_dx10_clamp 1
		.amdhsa_ieee_mode 1
		.amdhsa_fp16_overflow 0
		.amdhsa_workgroup_processor_mode 1
		.amdhsa_memory_ordered 1
		.amdhsa_forward_progress 1
		.amdhsa_shared_vgpr_count 0
		.amdhsa_exception_fp_ieee_invalid_op 0
		.amdhsa_exception_fp_denorm_src 0
		.amdhsa_exception_fp_ieee_div_zero 0
		.amdhsa_exception_fp_ieee_overflow 0
		.amdhsa_exception_fp_ieee_underflow 0
		.amdhsa_exception_fp_ieee_inexact 0
		.amdhsa_exception_int_div_zero 0
	.end_amdhsa_kernel
	.section	.text._ZL15flash_attn_tileILi64ELi64ELi16ELi4ELb0EEvPKcS1_S1_S1_S1_PKiPfP15HIP_vector_typeIfLj2EEffffjfiS5_IjLj3EEiiiiiiiiiiiliiliiiiil,"axG",@progbits,_ZL15flash_attn_tileILi64ELi64ELi16ELi4ELb0EEvPKcS1_S1_S1_S1_PKiPfP15HIP_vector_typeIfLj2EEffffjfiS5_IjLj3EEiiiiiiiiiiiliiliiiiil,comdat
.Lfunc_end17:
	.size	_ZL15flash_attn_tileILi64ELi64ELi16ELi4ELb0EEvPKcS1_S1_S1_S1_PKiPfP15HIP_vector_typeIfLj2EEffffjfiS5_IjLj3EEiiiiiiiiiiiliiliiiiil, .Lfunc_end17-_ZL15flash_attn_tileILi64ELi64ELi16ELi4ELb0EEvPKcS1_S1_S1_S1_PKiPfP15HIP_vector_typeIfLj2EEffffjfiS5_IjLj3EEiiiiiiiiiiiliiliiiiil
                                        ; -- End function
	.set _ZL15flash_attn_tileILi64ELi64ELi16ELi4ELb0EEvPKcS1_S1_S1_S1_PKiPfP15HIP_vector_typeIfLj2EEffffjfiS5_IjLj3EEiiiiiiiiiiiliiliiiiil.num_vgpr, 192
	.set _ZL15flash_attn_tileILi64ELi64ELi16ELi4ELb0EEvPKcS1_S1_S1_S1_PKiPfP15HIP_vector_typeIfLj2EEffffjfiS5_IjLj3EEiiiiiiiiiiiliiliiiiil.num_agpr, 0
	.set _ZL15flash_attn_tileILi64ELi64ELi16ELi4ELb0EEvPKcS1_S1_S1_S1_PKiPfP15HIP_vector_typeIfLj2EEffffjfiS5_IjLj3EEiiiiiiiiiiiliiliiiiil.numbered_sgpr, 48
	.set _ZL15flash_attn_tileILi64ELi64ELi16ELi4ELb0EEvPKcS1_S1_S1_S1_PKiPfP15HIP_vector_typeIfLj2EEffffjfiS5_IjLj3EEiiiiiiiiiiiliiliiiiil.num_named_barrier, 0
	.set _ZL15flash_attn_tileILi64ELi64ELi16ELi4ELb0EEvPKcS1_S1_S1_S1_PKiPfP15HIP_vector_typeIfLj2EEffffjfiS5_IjLj3EEiiiiiiiiiiiliiliiiiil.private_seg_size, 148
	.set _ZL15flash_attn_tileILi64ELi64ELi16ELi4ELb0EEvPKcS1_S1_S1_S1_PKiPfP15HIP_vector_typeIfLj2EEffffjfiS5_IjLj3EEiiiiiiiiiiiliiliiiiil.uses_vcc, 1
	.set _ZL15flash_attn_tileILi64ELi64ELi16ELi4ELb0EEvPKcS1_S1_S1_S1_PKiPfP15HIP_vector_typeIfLj2EEffffjfiS5_IjLj3EEiiiiiiiiiiiliiliiiiil.uses_flat_scratch, 0
	.set _ZL15flash_attn_tileILi64ELi64ELi16ELi4ELb0EEvPKcS1_S1_S1_S1_PKiPfP15HIP_vector_typeIfLj2EEffffjfiS5_IjLj3EEiiiiiiiiiiiliiliiiiil.has_dyn_sized_stack, 0
	.set _ZL15flash_attn_tileILi64ELi64ELi16ELi4ELb0EEvPKcS1_S1_S1_S1_PKiPfP15HIP_vector_typeIfLj2EEffffjfiS5_IjLj3EEiiiiiiiiiiiliiliiiiil.has_recursion, 0
	.set _ZL15flash_attn_tileILi64ELi64ELi16ELi4ELb0EEvPKcS1_S1_S1_S1_PKiPfP15HIP_vector_typeIfLj2EEffffjfiS5_IjLj3EEiiiiiiiiiiiliiliiiiil.has_indirect_call, 0
	.section	.AMDGPU.csdata,"",@progbits
; Kernel info:
; codeLenInByte = 61992
; TotalNumSgprs: 50
; NumVgprs: 192
; ScratchSize: 148
; MemoryBound: 0
; FloatMode: 240
; IeeeMode: 1
; LDSByteSize: 25600 bytes/workgroup (compile time only)
; SGPRBlocks: 0
; VGPRBlocks: 23
; NumSGPRsForWavesPerEU: 50
; NumVGPRsForWavesPerEU: 192
; Occupancy: 5
; WaveLimiterHint : 0
; COMPUTE_PGM_RSRC2:SCRATCH_EN: 1
; COMPUTE_PGM_RSRC2:USER_SGPR: 6
; COMPUTE_PGM_RSRC2:TRAP_HANDLER: 0
; COMPUTE_PGM_RSRC2:TGID_X_EN: 1
; COMPUTE_PGM_RSRC2:TGID_Y_EN: 1
; COMPUTE_PGM_RSRC2:TGID_Z_EN: 1
; COMPUTE_PGM_RSRC2:TIDIG_COMP_CNT: 1
	.section	.text._ZL25flash_attn_mask_to_KV_maxILi16EEvPK7__half2Piiii,"axG",@progbits,_ZL25flash_attn_mask_to_KV_maxILi16EEvPK7__half2Piiii,comdat
	.globl	_ZL25flash_attn_mask_to_KV_maxILi16EEvPK7__half2Piiii ; -- Begin function _ZL25flash_attn_mask_to_KV_maxILi16EEvPK7__half2Piiii
	.p2align	8
	.type	_ZL25flash_attn_mask_to_KV_maxILi16EEvPK7__half2Piiii,@function
_ZL25flash_attn_mask_to_KV_maxILi16EEvPK7__half2Piiii: ; @_ZL25flash_attn_mask_to_KV_maxILi16EEvPK7__half2Piiii
; %bb.0:
	s_load_dwordx4 s[8:11], s[4:5], 0x0
	s_mov_b32 s0, exec_lo
	v_cmpx_gt_u32_e32 32, v0
; %bb.1:
	v_lshlrev_b32_e32 v1, 2, v0
	v_mov_b32_e32 v2, 1
	ds_write_b32 v1, v2
; %bb.2:
	s_or_b32 exec_lo, exec_lo, s0
	s_clause 0x1
	s_load_dwordx4 s[12:15], s[4:5], 0x10
	s_load_dword s1, s[4:5], 0x20
	v_and_b32_e32 v1, 31, v0
	v_lshrrev_b32_e32 v5, 3, v0
	v_mov_b32_e32 v2, 0
	v_mov_b32_e32 v6, 0x204
	s_waitcnt lgkmcnt(0)
	v_lshlrev_b32_e32 v7, 2, v1
	s_barrier
	buffer_gl0_inv
	s_mul_i32 s0, s6, s13
	s_mul_i32 s2, s14, s7
	s_lshl_b32 s0, s0, 4
	s_add_i32 s2, s2, s0
	v_cmp_eq_u32_e64 s0, 0, v1
	s_ashr_i32 s3, s2, 31
	s_lshl_b64 s[4:5], s[2:3], 2
	s_add_u32 s3, s8, s4
	s_addc_u32 s4, s9, s5
	s_lshl_b32 s5, s12, 8
	s_branch .LBB18_4
.LBB18_3:                               ;   in Loop: Header=BB18_4 Depth=1
	s_or_b32 exec_lo, exec_lo, s8
	s_waitcnt lgkmcnt(0)
	s_barrier
	buffer_gl0_inv
	ds_read_b32 v1, v7
	s_waitcnt lgkmcnt(0)
	s_barrier
	buffer_gl0_inv
	v_cmp_ne_u32_e32 vcc_lo, 0, v1
	s_cmp_lg_u32 vcc_lo, exec_lo
	s_cselect_b32 s8, -1, 0
	s_and_b32 vcc_lo, exec_lo, s8
	s_cbranch_vccnz .LBB18_68
.LBB18_4:                               ; =>This Inner Loop Header: Depth=1
	s_mov_b32 s2, s5
	s_addk_i32 s5, 0xff00
	s_cmp_lt_i32 s5, 0
	s_cbranch_scc1 .LBB18_67
; %bb.5:                                ;   in Loop: Header=BB18_4 Depth=1
	s_lshr_b32 s8, s5, 1
	v_add_nc_u32_e32 v1, s8, v0
	v_lshlrev_b64 v[3:4], 2, v[1:2]
	v_add_co_u32 v3, vcc_lo, s3, v3
	v_add_co_ci_u32_e64 v4, null, s4, v4, vcc_lo
	global_load_dword v3, v[3:4], off
	s_waitcnt vmcnt(0)
	v_cmp_class_f16_e64 s8, v3, 0x204
	v_cmp_class_f16_sdwa s9, v3, v6 src0_sel:WORD_1 src1_sel:DWORD
	s_and_b32 s12, s8, s9
	s_mov_b32 s9, 0
	s_and_saveexec_b32 s8, s12
	s_cbranch_execz .LBB18_65
; %bb.6:                                ;   in Loop: Header=BB18_4 Depth=1
	v_add_nc_u32_e32 v3, s13, v1
	s_mov_b32 s12, 0
	v_ashrrev_i32_e32 v4, 31, v3
	v_lshlrev_b64 v[8:9], 2, v[3:4]
	v_add_co_u32 v8, vcc_lo, s3, v8
	v_add_co_ci_u32_e64 v9, null, s4, v9, vcc_lo
	global_load_dword v1, v[8:9], off
	s_waitcnt vmcnt(0)
	v_cmp_class_f16_e64 s14, v1, 0x204
	s_and_saveexec_b32 s9, s14
	s_cbranch_execz .LBB18_64
; %bb.7:                                ;   in Loop: Header=BB18_4 Depth=1
	v_cmp_class_f16_sdwa s15, v1, v6 src0_sel:WORD_1 src1_sel:DWORD
	s_mov_b32 s14, 0
	s_and_saveexec_b32 s12, s15
	s_cbranch_execz .LBB18_63
; %bb.8:                                ;   in Loop: Header=BB18_4 Depth=1
	v_add_nc_u32_e32 v3, s13, v3
	s_mov_b32 s15, 0
	v_ashrrev_i32_e32 v4, 31, v3
	v_lshlrev_b64 v[8:9], 2, v[3:4]
	v_add_co_u32 v8, vcc_lo, s3, v8
	v_add_co_ci_u32_e64 v9, null, s4, v9, vcc_lo
	global_load_dword v1, v[8:9], off
	s_waitcnt vmcnt(0)
	v_cmp_class_f16_e64 s16, v1, 0x204
	s_and_saveexec_b32 s14, s16
	s_cbranch_execz .LBB18_62
; %bb.9:                                ;   in Loop: Header=BB18_4 Depth=1
	v_cmp_class_f16_sdwa s17, v1, v6 src0_sel:WORD_1 src1_sel:DWORD
	s_mov_b32 s16, 0
	s_and_saveexec_b32 s15, s17
	s_cbranch_execz .LBB18_61
; %bb.10:                               ;   in Loop: Header=BB18_4 Depth=1
	v_add_nc_u32_e32 v3, s13, v3
	s_mov_b32 s17, 0
	v_ashrrev_i32_e32 v4, 31, v3
	v_lshlrev_b64 v[8:9], 2, v[3:4]
	v_add_co_u32 v8, vcc_lo, s3, v8
	v_add_co_ci_u32_e64 v9, null, s4, v9, vcc_lo
	global_load_dword v1, v[8:9], off
	s_waitcnt vmcnt(0)
	v_cmp_class_f16_e64 s18, v1, 0x204
	s_and_saveexec_b32 s16, s18
	s_cbranch_execz .LBB18_60
; %bb.11:                               ;   in Loop: Header=BB18_4 Depth=1
	v_cmp_class_f16_sdwa s19, v1, v6 src0_sel:WORD_1 src1_sel:DWORD
	s_mov_b32 s18, 0
	s_and_saveexec_b32 s17, s19
	s_cbranch_execz .LBB18_59
; %bb.12:                               ;   in Loop: Header=BB18_4 Depth=1
	v_add_nc_u32_e32 v3, s13, v3
	s_mov_b32 s19, 0
	v_ashrrev_i32_e32 v4, 31, v3
	v_lshlrev_b64 v[8:9], 2, v[3:4]
	v_add_co_u32 v8, vcc_lo, s3, v8
	v_add_co_ci_u32_e64 v9, null, s4, v9, vcc_lo
	global_load_dword v1, v[8:9], off
	s_waitcnt vmcnt(0)
	v_cmp_class_f16_e64 s20, v1, 0x204
	s_and_saveexec_b32 s18, s20
	s_cbranch_execz .LBB18_58
; %bb.13:                               ;   in Loop: Header=BB18_4 Depth=1
	;; [unrolled: 17-line block ×12, first 2 shown]
	v_cmp_class_f16_sdwa s42, v1, v6 src0_sel:WORD_1 src1_sel:DWORD
	s_mov_b32 s41, 0
	s_and_saveexec_b32 s40, s42
	s_cbranch_execz .LBB18_37
; %bb.34:                               ;   in Loop: Header=BB18_4 Depth=1
	v_add_nc_u32_e32 v3, s13, v3
	v_ashrrev_i32_e32 v4, 31, v3
	v_lshlrev_b64 v[3:4], 2, v[3:4]
	v_add_co_u32 v3, vcc_lo, s3, v3
	v_add_co_ci_u32_e64 v4, null, s4, v4, vcc_lo
	global_load_dword v1, v[3:4], off
	s_waitcnt vmcnt(0)
	v_cmp_class_f16_e64 s43, v1, 0x204
	s_and_saveexec_b32 s42, s43
; %bb.35:                               ;   in Loop: Header=BB18_4 Depth=1
	v_cmp_class_f16_sdwa s41, v1, v6 src0_sel:WORD_1 src1_sel:DWORD
	s_and_b32 s41, s41, exec_lo
; %bb.36:                               ;   in Loop: Header=BB18_4 Depth=1
	s_or_b32 exec_lo, exec_lo, s42
	s_and_b32 s41, s41, exec_lo
.LBB18_37:                              ;   in Loop: Header=BB18_4 Depth=1
	s_or_b32 exec_lo, exec_lo, s40
	s_and_b32 s40, s41, exec_lo
.LBB18_38:                              ;   in Loop: Header=BB18_4 Depth=1
	s_or_b32 exec_lo, exec_lo, s39
	s_and_b32 s39, s40, exec_lo
.LBB18_39:                              ;   in Loop: Header=BB18_4 Depth=1
	s_or_b32 exec_lo, exec_lo, s38
	s_and_b32 s38, s39, exec_lo
.LBB18_40:                              ;   in Loop: Header=BB18_4 Depth=1
	s_or_b32 exec_lo, exec_lo, s37
	s_and_b32 s37, s38, exec_lo
.LBB18_41:                              ;   in Loop: Header=BB18_4 Depth=1
	s_or_b32 exec_lo, exec_lo, s36
	s_and_b32 s36, s37, exec_lo
.LBB18_42:                              ;   in Loop: Header=BB18_4 Depth=1
	s_or_b32 exec_lo, exec_lo, s35
	s_and_b32 s35, s36, exec_lo
.LBB18_43:                              ;   in Loop: Header=BB18_4 Depth=1
	s_or_b32 exec_lo, exec_lo, s34
	s_and_b32 s34, s35, exec_lo
.LBB18_44:                              ;   in Loop: Header=BB18_4 Depth=1
	s_or_b32 exec_lo, exec_lo, s33
	s_and_b32 s33, s34, exec_lo
.LBB18_45:                              ;   in Loop: Header=BB18_4 Depth=1
	s_or_b32 exec_lo, exec_lo, s31
	s_and_b32 s31, s33, exec_lo
.LBB18_46:                              ;   in Loop: Header=BB18_4 Depth=1
	s_or_b32 exec_lo, exec_lo, s30
	s_and_b32 s30, s31, exec_lo
.LBB18_47:                              ;   in Loop: Header=BB18_4 Depth=1
	s_or_b32 exec_lo, exec_lo, s29
	s_and_b32 s29, s30, exec_lo
.LBB18_48:                              ;   in Loop: Header=BB18_4 Depth=1
	s_or_b32 exec_lo, exec_lo, s28
	s_and_b32 s28, s29, exec_lo
.LBB18_49:                              ;   in Loop: Header=BB18_4 Depth=1
	s_or_b32 exec_lo, exec_lo, s27
	s_and_b32 s27, s28, exec_lo
.LBB18_50:                              ;   in Loop: Header=BB18_4 Depth=1
	s_or_b32 exec_lo, exec_lo, s26
	s_and_b32 s26, s27, exec_lo
.LBB18_51:                              ;   in Loop: Header=BB18_4 Depth=1
	s_or_b32 exec_lo, exec_lo, s25
	s_and_b32 s25, s26, exec_lo
.LBB18_52:                              ;   in Loop: Header=BB18_4 Depth=1
	s_or_b32 exec_lo, exec_lo, s24
	s_and_b32 s24, s25, exec_lo
.LBB18_53:                              ;   in Loop: Header=BB18_4 Depth=1
	s_or_b32 exec_lo, exec_lo, s23
	s_and_b32 s23, s24, exec_lo
.LBB18_54:                              ;   in Loop: Header=BB18_4 Depth=1
	s_or_b32 exec_lo, exec_lo, s22
	s_and_b32 s22, s23, exec_lo
.LBB18_55:                              ;   in Loop: Header=BB18_4 Depth=1
	s_or_b32 exec_lo, exec_lo, s21
	s_and_b32 s21, s22, exec_lo
.LBB18_56:                              ;   in Loop: Header=BB18_4 Depth=1
	s_or_b32 exec_lo, exec_lo, s20
	s_and_b32 s20, s21, exec_lo
.LBB18_57:                              ;   in Loop: Header=BB18_4 Depth=1
	s_or_b32 exec_lo, exec_lo, s19
	s_and_b32 s19, s20, exec_lo
.LBB18_58:                              ;   in Loop: Header=BB18_4 Depth=1
	s_or_b32 exec_lo, exec_lo, s18
	s_and_b32 s18, s19, exec_lo
.LBB18_59:                              ;   in Loop: Header=BB18_4 Depth=1
	s_or_b32 exec_lo, exec_lo, s17
	s_and_b32 s17, s18, exec_lo
.LBB18_60:                              ;   in Loop: Header=BB18_4 Depth=1
	s_or_b32 exec_lo, exec_lo, s16
	s_and_b32 s16, s17, exec_lo
.LBB18_61:                              ;   in Loop: Header=BB18_4 Depth=1
	s_or_b32 exec_lo, exec_lo, s15
	s_and_b32 s15, s16, exec_lo
.LBB18_62:                              ;   in Loop: Header=BB18_4 Depth=1
	s_or_b32 exec_lo, exec_lo, s14
	s_and_b32 s14, s15, exec_lo
.LBB18_63:                              ;   in Loop: Header=BB18_4 Depth=1
	s_or_b32 exec_lo, exec_lo, s12
	s_and_b32 s12, s14, exec_lo
.LBB18_64:                              ;   in Loop: Header=BB18_4 Depth=1
	s_or_b32 exec_lo, exec_lo, s9
	s_and_b32 s9, s12, exec_lo
.LBB18_65:                              ;   in Loop: Header=BB18_4 Depth=1
	s_or_b32 exec_lo, exec_lo, s8
	v_cndmask_b32_e64 v1, 0, 1, s9
	s_mov_b32 s12, exec_lo
	v_cmp_ne_u32_e32 vcc_lo, 0, v1
	s_and_saveexec_b32 s8, s0
	s_cbranch_execz .LBB18_3
; %bb.66:                               ;   in Loop: Header=BB18_4 Depth=1
	s_cmp_eq_u32 vcc_lo, s12
	s_cselect_b32 s9, -1, 0
	v_cndmask_b32_e64 v1, 0, 1, s9
	ds_write_b32 v5, v1
	s_branch .LBB18_3
.LBB18_67:                              ;   in Loop: Header=BB18_4 Depth=1
	s_cbranch_execz .LBB18_4
.LBB18_68:
	s_mov_b32 s0, exec_lo
	v_cmpx_eq_u32_e32 0, v0
	s_cbranch_execz .LBB18_70
; %bb.69:
	s_mul_i32 s0, s1, s7
	v_mov_b32_e32 v0, 0
	s_add_i32 s0, s0, s6
	v_mov_b32_e32 v1, s2
	s_ashr_i32 s1, s0, 31
	s_lshl_b64 s[0:1], s[0:1], 2
	s_add_u32 s0, s10, s0
	s_addc_u32 s1, s11, s1
	global_store_dword v0, v1, s[0:1]
.LBB18_70:
	s_endpgm
	.section	.rodata,"a",@progbits
	.p2align	6, 0x0
	.amdhsa_kernel _ZL25flash_attn_mask_to_KV_maxILi16EEvPK7__half2Piiii
		.amdhsa_group_segment_fixed_size 128
		.amdhsa_private_segment_fixed_size 0
		.amdhsa_kernarg_size 288
		.amdhsa_user_sgpr_count 6
		.amdhsa_user_sgpr_private_segment_buffer 1
		.amdhsa_user_sgpr_dispatch_ptr 0
		.amdhsa_user_sgpr_queue_ptr 0
		.amdhsa_user_sgpr_kernarg_segment_ptr 1
		.amdhsa_user_sgpr_dispatch_id 0
		.amdhsa_user_sgpr_flat_scratch_init 0
		.amdhsa_user_sgpr_private_segment_size 0
		.amdhsa_wavefront_size32 1
		.amdhsa_uses_dynamic_stack 0
		.amdhsa_system_sgpr_private_segment_wavefront_offset 0
		.amdhsa_system_sgpr_workgroup_id_x 1
		.amdhsa_system_sgpr_workgroup_id_y 1
		.amdhsa_system_sgpr_workgroup_id_z 0
		.amdhsa_system_sgpr_workgroup_info 0
		.amdhsa_system_vgpr_workitem_id 0
		.amdhsa_next_free_vgpr 10
		.amdhsa_next_free_sgpr 44
		.amdhsa_reserve_vcc 1
		.amdhsa_reserve_flat_scratch 0
		.amdhsa_float_round_mode_32 0
		.amdhsa_float_round_mode_16_64 0
		.amdhsa_float_denorm_mode_32 3
		.amdhsa_float_denorm_mode_16_64 3
		.amdhsa_dx10_clamp 1
		.amdhsa_ieee_mode 1
		.amdhsa_fp16_overflow 0
		.amdhsa_workgroup_processor_mode 1
		.amdhsa_memory_ordered 1
		.amdhsa_forward_progress 1
		.amdhsa_shared_vgpr_count 0
		.amdhsa_exception_fp_ieee_invalid_op 0
		.amdhsa_exception_fp_denorm_src 0
		.amdhsa_exception_fp_ieee_div_zero 0
		.amdhsa_exception_fp_ieee_overflow 0
		.amdhsa_exception_fp_ieee_underflow 0
		.amdhsa_exception_fp_ieee_inexact 0
		.amdhsa_exception_int_div_zero 0
	.end_amdhsa_kernel
	.section	.text._ZL25flash_attn_mask_to_KV_maxILi16EEvPK7__half2Piiii,"axG",@progbits,_ZL25flash_attn_mask_to_KV_maxILi16EEvPK7__half2Piiii,comdat
.Lfunc_end18:
	.size	_ZL25flash_attn_mask_to_KV_maxILi16EEvPK7__half2Piiii, .Lfunc_end18-_ZL25flash_attn_mask_to_KV_maxILi16EEvPK7__half2Piiii
                                        ; -- End function
	.set _ZL25flash_attn_mask_to_KV_maxILi16EEvPK7__half2Piiii.num_vgpr, 10
	.set _ZL25flash_attn_mask_to_KV_maxILi16EEvPK7__half2Piiii.num_agpr, 0
	.set _ZL25flash_attn_mask_to_KV_maxILi16EEvPK7__half2Piiii.numbered_sgpr, 44
	.set _ZL25flash_attn_mask_to_KV_maxILi16EEvPK7__half2Piiii.num_named_barrier, 0
	.set _ZL25flash_attn_mask_to_KV_maxILi16EEvPK7__half2Piiii.private_seg_size, 0
	.set _ZL25flash_attn_mask_to_KV_maxILi16EEvPK7__half2Piiii.uses_vcc, 1
	.set _ZL25flash_attn_mask_to_KV_maxILi16EEvPK7__half2Piiii.uses_flat_scratch, 0
	.set _ZL25flash_attn_mask_to_KV_maxILi16EEvPK7__half2Piiii.has_dyn_sized_stack, 0
	.set _ZL25flash_attn_mask_to_KV_maxILi16EEvPK7__half2Piiii.has_recursion, 0
	.set _ZL25flash_attn_mask_to_KV_maxILi16EEvPK7__half2Piiii.has_indirect_call, 0
	.section	.AMDGPU.csdata,"",@progbits
; Kernel info:
; codeLenInByte = 1956
; TotalNumSgprs: 46
; NumVgprs: 10
; ScratchSize: 0
; MemoryBound: 0
; FloatMode: 240
; IeeeMode: 1
; LDSByteSize: 128 bytes/workgroup (compile time only)
; SGPRBlocks: 0
; VGPRBlocks: 1
; NumSGPRsForWavesPerEU: 46
; NumVGPRsForWavesPerEU: 10
; Occupancy: 16
; WaveLimiterHint : 0
; COMPUTE_PGM_RSRC2:SCRATCH_EN: 0
; COMPUTE_PGM_RSRC2:USER_SGPR: 6
; COMPUTE_PGM_RSRC2:TRAP_HANDLER: 0
; COMPUTE_PGM_RSRC2:TGID_X_EN: 1
; COMPUTE_PGM_RSRC2:TGID_Y_EN: 1
; COMPUTE_PGM_RSRC2:TGID_Z_EN: 0
; COMPUTE_PGM_RSRC2:TIDIG_COMP_CNT: 0
	.section	.text._ZL33flash_attn_stream_k_fixup_uniformILi64ELi16ELi4EEvPfPK15HIP_vector_typeIfLj2EEiiiiiiS1_IjLj3EES5_S5_,"axG",@progbits,_ZL33flash_attn_stream_k_fixup_uniformILi64ELi16ELi4EEvPfPK15HIP_vector_typeIfLj2EEiiiiiiS1_IjLj3EES5_S5_,comdat
	.globl	_ZL33flash_attn_stream_k_fixup_uniformILi64ELi16ELi4EEvPfPK15HIP_vector_typeIfLj2EEiiiiiiS1_IjLj3EES5_S5_ ; -- Begin function _ZL33flash_attn_stream_k_fixup_uniformILi64ELi16ELi4EEvPfPK15HIP_vector_typeIfLj2EEiiiiiiS1_IjLj3EES5_S5_
	.p2align	8
	.type	_ZL33flash_attn_stream_k_fixup_uniformILi64ELi16ELi4EEvPfPK15HIP_vector_typeIfLj2EEiiiiiiS1_IjLj3EES5_S5_,@function
_ZL33flash_attn_stream_k_fixup_uniformILi64ELi16ELi4EEvPfPK15HIP_vector_typeIfLj2EEiiiiiiS1_IjLj3EES5_S5_: ; @_ZL33flash_attn_stream_k_fixup_uniformILi64ELi16ELi4EEvPfPK15HIP_vector_typeIfLj2EEiiiiiiS1_IjLj3EES5_S5_
; %bb.0:
	s_clause 0x2
	s_load_dwordx8 s[12:19], s[4:5], 0x1c
	s_load_dwordx4 s[20:23], s[4:5], 0x3c
	s_load_dwordx2 s[10:11], s[4:5], 0x10
	s_waitcnt lgkmcnt(0)
	s_mul_hi_u32 s0, s15, s6
	s_add_i32 s0, s6, s0
	s_lshr_b32 s0, s0, s16
	s_mul_i32 s1, s0, s17
	s_sub_i32 s2, s6, s1
	s_mul_hi_u32 s1, s2, s18
	s_add_i32 s1, s2, s1
	s_lshr_b32 s1, s1, s19
	s_mul_i32 s3, s1, s20
	s_sub_i32 s2, s2, s3
	s_mul_hi_u32 s3, s2, s21
	s_add_i32 s3, s2, s3
	s_lshr_b32 s3, s3, s22
	s_mul_i32 s9, s3, s23
	s_lshl_b32 s15, s3, 2
	s_sub_i32 s9, s2, s9
	s_lshl_b32 s2, s9, 4
	s_add_i32 s2, s2, s7
	s_cmp_lt_i32 s2, s10
	s_cselect_b32 s2, -1, 0
	s_add_i32 s3, s15, s8
	s_cmp_lt_i32 s3, s13
	s_cselect_b32 s3, -1, 0
	s_and_b32 s2, s2, s3
	s_andn2_b32 vcc_lo, exec_lo, s2
	s_cbranch_vccnz .LBB19_6
; %bb.1:
	s_mul_i32 s0, s0, s10
	s_mul_i32 s10, s1, s13
	s_add_i32 s0, s0, s7
	s_mul_i32 s0, s0, s11
	s_add_i32 s13, s0, s8
	s_load_dwordx4 s[0:3], s[4:5], 0x0
	s_add_i32 s4, s13, s10
	s_mul_i32 s5, s11, s9
	s_add_i32 s4, s4, s15
	s_lshl_b32 s5, s5, 10
	s_lshl_b32 s4, s4, 6
	;; [unrolled: 1-line block ×3, first 2 shown]
	s_add_i32 s5, s5, s4
	s_mul_i32 s4, s14, s6
	v_or_b32_e32 v1, s5, v0
	s_add_i32 s11, s4, s14
	v_ashrrev_i32_e32 v2, 31, v1
	v_lshlrev_b64 v[1:2], 2, v[1:2]
	s_waitcnt lgkmcnt(0)
	v_add_co_u32 v1, vcc_lo, s0, v1
	v_add_co_ci_u32_e64 v2, null, s1, v2, vcc_lo
	s_add_i32 s0, s10, s8
	s_lshl_b32 s1, s11, 6
	s_add_i32 s0, s0, s1
	global_load_dword v5, v[1:2], off
	s_sub_i32 s0, s0, 64
	s_ashr_i32 s1, s0, 31
	s_lshl_b64 s[0:1], s[0:1], 3
	s_add_u32 s0, s2, s0
	s_addc_u32 s1, s3, s1
	s_add_i32 s5, s11, -2
	s_load_dword s13, s[0:1], 0x4
	s_cmp_lt_i32 s5, s4
	s_cbranch_scc1 .LBB19_4
; %bb.2:
	s_lshl_b32 s16, s12, 8
	s_load_dword s15, s[0:1], 0x0
	s_ashr_i32 s17, s16, 31
	s_waitcnt lgkmcnt(0)
	v_mov_b32_e32 v6, s13
	s_lshl_b64 s[0:1], s[16:17], 2
	s_add_u32 s5, s2, s0
	s_addc_u32 s9, s3, s1
	s_add_i32 s6, s6, 1
	s_lshl_b32 s0, s7, 8
	s_lshl_b32 s1, s8, 6
	s_mul_i32 s6, s14, s6
	s_add_i32 s0, s1, s0
	s_lshl_b32 s1, s6, 12
	s_add_i32 s0, s0, s1
	s_lshl_b32 s1, s6, 6
	v_or_b32_e32 v0, s0, v0
	s_lshl_b32 s0, s12, 6
	s_add_i32 s1, s8, s1
	s_add_i32 s6, s11, -1
	s_add_i32 s0, s1, s0
	v_add_nc_u32_e32 v3, 0xffffe000, v0
	v_mov_b32_e32 v0, s15
	s_add_i32 s0, s0, s10
	s_addk_i32 s0, 0xff80
.LBB19_3:                               ; =>This Inner Loop Header: Depth=1
	v_ashrrev_i32_e32 v4, 31, v3
	s_ashr_i32 s1, s0, 31
	s_lshl_b64 s[10:11], s[0:1], 3
	s_add_u32 s10, s2, s10
	v_lshlrev_b64 v[7:8], 2, v[3:4]
	s_addc_u32 s11, s3, s11
	v_add_nc_u32_e32 v3, 0xfffff000, v3
	s_add_i32 s6, s6, -1
	s_sub_i32 s0, s0, 64
	s_cmp_le_i32 s6, s4
	v_add_co_u32 v7, vcc_lo, s5, v7
	v_add_co_ci_u32_e64 v8, null, s9, v8, vcc_lo
	s_load_dwordx2 s[10:11], s[10:11], 0x0
	global_load_dword v4, v[7:8], off
	v_max_f32_e32 v7, v0, v0
	s_waitcnt lgkmcnt(0)
	v_max_f32_e64 v8, s10, s10
	v_max_f32_e32 v7, v7, v8
	v_sub_f32_e32 v8, s10, v7
	v_sub_f32_e32 v0, v0, v7
	v_mul_f32_e32 v9, 0x3fb8aa3b, v8
	v_mul_f32_e32 v12, 0x3fb8aa3b, v0
	v_cmp_ngt_f32_e32 vcc_lo, 0xc2ce8ed0, v8
	v_fma_f32 v10, 0x3fb8aa3b, v8, -v9
	v_rndne_f32_e32 v11, v9
	v_fma_f32 v13, 0x3fb8aa3b, v0, -v12
	v_rndne_f32_e32 v14, v12
	v_fmac_f32_e32 v10, 0x32a5705f, v8
	v_sub_f32_e32 v9, v9, v11
	v_fmac_f32_e32 v13, 0x32a5705f, v0
	v_cvt_i32_f32_e32 v11, v11
	v_add_f32_e32 v9, v9, v10
	v_sub_f32_e32 v10, v12, v14
	v_exp_f32_e32 v9, v9
	v_add_f32_e32 v10, v10, v13
	v_exp_f32_e32 v10, v10
	v_ldexp_f32 v9, v9, v11
	v_cvt_i32_f32_e32 v11, v14
	v_cndmask_b32_e32 v9, 0, v9, vcc_lo
	v_cmp_nlt_f32_e32 vcc_lo, 0x42b17218, v8
	v_ldexp_f32 v10, v10, v11
	v_mov_b32_e32 v11, v6
	v_cndmask_b32_e32 v9, 0x7f800000, v9, vcc_lo
	v_cmp_ngt_f32_e32 vcc_lo, 0xc2ce8ed0, v0
	v_cndmask_b32_e32 v10, 0, v10, vcc_lo
	v_cmp_le_f32_e32 vcc_lo, 0xc1a00000, v8
	v_cndmask_b32_e32 v8, 0, v9, vcc_lo
	v_cmp_nlt_f32_e32 vcc_lo, 0x42b17218, v0
	s_waitcnt vmcnt(1)
	v_mov_b32_e32 v9, v5
	v_cndmask_b32_e32 v5, 0x7f800000, v10, vcc_lo
	v_mul_f32_e32 v10, s11, v8
	v_cmp_le_f32_e32 vcc_lo, 0xc1a00000, v0
	v_mov_b32_e32 v0, v7
	v_mov_b32_e32 v6, v10
	v_cndmask_b32_e32 v12, 0, v5, vcc_lo
	v_fmac_f32_e32 v6, v11, v12
	s_waitcnt vmcnt(0)
	v_mul_f32_e32 v5, v4, v8
	v_fmac_f32_e32 v5, v9, v12
	s_cbranch_scc0 .LBB19_3
	s_branch .LBB19_5
.LBB19_4:
	s_waitcnt lgkmcnt(0)
	v_mov_b32_e32 v6, s13
.LBB19_5:
	s_waitcnt vmcnt(0)
	v_div_scale_f32 v0, null, v6, v6, v5
	v_rcp_f32_e32 v3, v0
	v_fma_f32 v4, -v0, v3, 1.0
	v_fmac_f32_e32 v3, v4, v3
	v_div_scale_f32 v4, vcc_lo, v5, v6, v5
	v_mul_f32_e32 v7, v4, v3
	v_fma_f32 v8, -v0, v7, v4
	v_fmac_f32_e32 v7, v8, v3
	v_fma_f32 v0, -v0, v7, v4
	v_div_fmas_f32 v0, v0, v3, v7
	v_div_fixup_f32 v0, v0, v6, v5
	global_store_dword v[1:2], v0, off
.LBB19_6:
	s_endpgm
	.section	.rodata,"a",@progbits
	.p2align	6, 0x0
	.amdhsa_kernel _ZL33flash_attn_stream_k_fixup_uniformILi64ELi16ELi4EEvPfPK15HIP_vector_typeIfLj2EEiiiiiiS1_IjLj3EES5_S5_
		.amdhsa_group_segment_fixed_size 0
		.amdhsa_private_segment_fixed_size 0
		.amdhsa_kernarg_size 76
		.amdhsa_user_sgpr_count 6
		.amdhsa_user_sgpr_private_segment_buffer 1
		.amdhsa_user_sgpr_dispatch_ptr 0
		.amdhsa_user_sgpr_queue_ptr 0
		.amdhsa_user_sgpr_kernarg_segment_ptr 1
		.amdhsa_user_sgpr_dispatch_id 0
		.amdhsa_user_sgpr_flat_scratch_init 0
		.amdhsa_user_sgpr_private_segment_size 0
		.amdhsa_wavefront_size32 1
		.amdhsa_uses_dynamic_stack 0
		.amdhsa_system_sgpr_private_segment_wavefront_offset 0
		.amdhsa_system_sgpr_workgroup_id_x 1
		.amdhsa_system_sgpr_workgroup_id_y 1
		.amdhsa_system_sgpr_workgroup_id_z 1
		.amdhsa_system_sgpr_workgroup_info 0
		.amdhsa_system_vgpr_workitem_id 0
		.amdhsa_next_free_vgpr 15
		.amdhsa_next_free_sgpr 24
		.amdhsa_reserve_vcc 1
		.amdhsa_reserve_flat_scratch 0
		.amdhsa_float_round_mode_32 0
		.amdhsa_float_round_mode_16_64 0
		.amdhsa_float_denorm_mode_32 3
		.amdhsa_float_denorm_mode_16_64 3
		.amdhsa_dx10_clamp 1
		.amdhsa_ieee_mode 1
		.amdhsa_fp16_overflow 0
		.amdhsa_workgroup_processor_mode 1
		.amdhsa_memory_ordered 1
		.amdhsa_forward_progress 1
		.amdhsa_shared_vgpr_count 0
		.amdhsa_exception_fp_ieee_invalid_op 0
		.amdhsa_exception_fp_denorm_src 0
		.amdhsa_exception_fp_ieee_div_zero 0
		.amdhsa_exception_fp_ieee_overflow 0
		.amdhsa_exception_fp_ieee_underflow 0
		.amdhsa_exception_fp_ieee_inexact 0
		.amdhsa_exception_int_div_zero 0
	.end_amdhsa_kernel
	.section	.text._ZL33flash_attn_stream_k_fixup_uniformILi64ELi16ELi4EEvPfPK15HIP_vector_typeIfLj2EEiiiiiiS1_IjLj3EES5_S5_,"axG",@progbits,_ZL33flash_attn_stream_k_fixup_uniformILi64ELi16ELi4EEvPfPK15HIP_vector_typeIfLj2EEiiiiiiS1_IjLj3EES5_S5_,comdat
.Lfunc_end19:
	.size	_ZL33flash_attn_stream_k_fixup_uniformILi64ELi16ELi4EEvPfPK15HIP_vector_typeIfLj2EEiiiiiiS1_IjLj3EES5_S5_, .Lfunc_end19-_ZL33flash_attn_stream_k_fixup_uniformILi64ELi16ELi4EEvPfPK15HIP_vector_typeIfLj2EEiiiiiiS1_IjLj3EES5_S5_
                                        ; -- End function
	.set _ZL33flash_attn_stream_k_fixup_uniformILi64ELi16ELi4EEvPfPK15HIP_vector_typeIfLj2EEiiiiiiS1_IjLj3EES5_S5_.num_vgpr, 15
	.set _ZL33flash_attn_stream_k_fixup_uniformILi64ELi16ELi4EEvPfPK15HIP_vector_typeIfLj2EEiiiiiiS1_IjLj3EES5_S5_.num_agpr, 0
	.set _ZL33flash_attn_stream_k_fixup_uniformILi64ELi16ELi4EEvPfPK15HIP_vector_typeIfLj2EEiiiiiiS1_IjLj3EES5_S5_.numbered_sgpr, 24
	.set _ZL33flash_attn_stream_k_fixup_uniformILi64ELi16ELi4EEvPfPK15HIP_vector_typeIfLj2EEiiiiiiS1_IjLj3EES5_S5_.num_named_barrier, 0
	.set _ZL33flash_attn_stream_k_fixup_uniformILi64ELi16ELi4EEvPfPK15HIP_vector_typeIfLj2EEiiiiiiS1_IjLj3EES5_S5_.private_seg_size, 0
	.set _ZL33flash_attn_stream_k_fixup_uniformILi64ELi16ELi4EEvPfPK15HIP_vector_typeIfLj2EEiiiiiiS1_IjLj3EES5_S5_.uses_vcc, 1
	.set _ZL33flash_attn_stream_k_fixup_uniformILi64ELi16ELi4EEvPfPK15HIP_vector_typeIfLj2EEiiiiiiS1_IjLj3EES5_S5_.uses_flat_scratch, 0
	.set _ZL33flash_attn_stream_k_fixup_uniformILi64ELi16ELi4EEvPfPK15HIP_vector_typeIfLj2EEiiiiiiS1_IjLj3EES5_S5_.has_dyn_sized_stack, 0
	.set _ZL33flash_attn_stream_k_fixup_uniformILi64ELi16ELi4EEvPfPK15HIP_vector_typeIfLj2EEiiiiiiS1_IjLj3EES5_S5_.has_recursion, 0
	.set _ZL33flash_attn_stream_k_fixup_uniformILi64ELi16ELi4EEvPfPK15HIP_vector_typeIfLj2EEiiiiiiS1_IjLj3EES5_S5_.has_indirect_call, 0
	.section	.AMDGPU.csdata,"",@progbits
; Kernel info:
; codeLenInByte = 848
; TotalNumSgprs: 26
; NumVgprs: 15
; ScratchSize: 0
; MemoryBound: 0
; FloatMode: 240
; IeeeMode: 1
; LDSByteSize: 0 bytes/workgroup (compile time only)
; SGPRBlocks: 0
; VGPRBlocks: 1
; NumSGPRsForWavesPerEU: 26
; NumVGPRsForWavesPerEU: 15
; Occupancy: 16
; WaveLimiterHint : 0
; COMPUTE_PGM_RSRC2:SCRATCH_EN: 0
; COMPUTE_PGM_RSRC2:USER_SGPR: 6
; COMPUTE_PGM_RSRC2:TRAP_HANDLER: 0
; COMPUTE_PGM_RSRC2:TGID_X_EN: 1
; COMPUTE_PGM_RSRC2:TGID_Y_EN: 1
; COMPUTE_PGM_RSRC2:TGID_Z_EN: 1
; COMPUTE_PGM_RSRC2:TIDIG_COMP_CNT: 0
	.section	.text._ZL33flash_attn_stream_k_fixup_generalILi64ELi16ELi4EEvPfPK15HIP_vector_typeIfLj2EEiiiiS1_IjLj3EES5_S5_S5_,"axG",@progbits,_ZL33flash_attn_stream_k_fixup_generalILi64ELi16ELi4EEvPfPK15HIP_vector_typeIfLj2EEiiiiS1_IjLj3EES5_S5_S5_,comdat
	.globl	_ZL33flash_attn_stream_k_fixup_generalILi64ELi16ELi4EEvPfPK15HIP_vector_typeIfLj2EEiiiiS1_IjLj3EES5_S5_S5_ ; -- Begin function _ZL33flash_attn_stream_k_fixup_generalILi64ELi16ELi4EEvPfPK15HIP_vector_typeIfLj2EEiiiiS1_IjLj3EES5_S5_S5_
	.p2align	8
	.type	_ZL33flash_attn_stream_k_fixup_generalILi64ELi16ELi4EEvPfPK15HIP_vector_typeIfLj2EEiiiiS1_IjLj3EES5_S5_S5_,@function
_ZL33flash_attn_stream_k_fixup_generalILi64ELi16ELi4EEvPfPK15HIP_vector_typeIfLj2EEiiiiS1_IjLj3EES5_S5_S5_: ; @_ZL33flash_attn_stream_k_fixup_generalILi64ELi16ELi4EEvPfPK15HIP_vector_typeIfLj2EEiiiiS1_IjLj3EES5_S5_S5_
; %bb.0:
	s_clause 0x1
	s_load_dwordx4 s[0:3], s[4:5], 0x10
	s_load_dword s9, s[4:5], 0x50
	s_mov_b32 s16, 0
	s_waitcnt lgkmcnt(0)
	s_mul_hi_i32 s17, s3, s6
	s_mul_i32 s18, s3, s6
	s_cmp_lg_u64 s[16:17], 0
	s_cbranch_scc0 .LBB20_21
; %bb.1:
	s_add_u32 s10, s9, 0
	s_addc_u32 s11, 0, 0
	s_xor_b64 s[10:11], s[10:11], 0
	v_cvt_f32_u32_e32 v1, s10
	v_cvt_f32_u32_e32 v2, s11
	s_sub_u32 s14, 0, s10
	s_subb_u32 s15, 0, s11
	v_fmamk_f32 v1, v2, 0x4f800000, v1
	v_rcp_f32_e32 v1, v1
	v_mul_f32_e32 v1, 0x5f7ffffc, v1
	v_mul_f32_e32 v2, 0x2f800000, v1
	v_trunc_f32_e32 v2, v2
	v_fmamk_f32 v1, v2, 0xcf800000, v1
	v_cvt_u32_f32_e32 v2, v2
	v_cvt_u32_f32_e32 v1, v1
	v_readfirstlane_b32 s12, v2
	v_readfirstlane_b32 s13, v1
	s_mul_i32 s19, s14, s12
	s_mul_hi_u32 s21, s14, s13
	s_mul_i32 s20, s15, s13
	s_add_i32 s19, s21, s19
	s_mul_i32 s22, s14, s13
	s_add_i32 s19, s19, s20
	s_mul_hi_u32 s21, s13, s22
	s_mul_i32 s24, s13, s19
	s_mul_hi_u32 s23, s12, s22
	s_mul_i32 s20, s12, s22
	s_mul_hi_u32 s22, s13, s19
	s_add_u32 s21, s21, s24
	s_addc_u32 s22, 0, s22
	s_mul_hi_u32 s25, s12, s19
	s_add_u32 s20, s21, s20
	s_mul_i32 s19, s12, s19
	s_addc_u32 s20, s22, s23
	s_addc_u32 s21, s25, 0
	s_add_u32 s19, s20, s19
	s_addc_u32 s20, 0, s21
	s_add_u32 s13, s13, s19
	s_cselect_b32 s19, -1, 0
	s_mul_hi_u32 s21, s14, s13
	s_cmp_lg_u32 s19, 0
	s_mul_i32 s19, s14, s13
	s_addc_u32 s12, s12, s20
	s_mul_i32 s15, s15, s13
	s_mul_i32 s14, s14, s12
	s_mul_hi_u32 s20, s13, s19
	s_add_i32 s14, s21, s14
	s_mul_hi_u32 s21, s12, s19
	s_add_i32 s14, s14, s15
	s_mul_i32 s15, s12, s19
	s_mul_i32 s23, s13, s14
	s_mul_hi_u32 s22, s13, s14
	s_add_u32 s20, s20, s23
	s_addc_u32 s22, 0, s22
	s_mul_hi_u32 s19, s12, s14
	s_add_u32 s15, s20, s15
	s_mul_i32 s14, s12, s14
	s_addc_u32 s15, s22, s21
	s_addc_u32 s19, s19, 0
	s_add_u32 s14, s15, s14
	s_addc_u32 s15, 0, s19
	s_add_u32 s19, s13, s14
	s_cselect_b32 s13, -1, 0
	s_cmp_lg_u32 s13, 0
	s_addc_u32 s20, s12, s15
	s_ashr_i32 s12, s17, 31
	s_add_u32 s14, s18, s12
	s_mov_b32 s13, s12
	s_addc_u32 s15, s17, s12
	s_xor_b64 s[14:15], s[14:15], s[12:13]
	s_mul_i32 s21, s14, s20
	s_mul_hi_u32 s22, s14, s19
	s_mul_hi_u32 s17, s14, s20
	;; [unrolled: 1-line block ×3, first 2 shown]
	s_mul_i32 s19, s15, s19
	s_add_u32 s21, s22, s21
	s_addc_u32 s17, 0, s17
	s_mul_hi_u32 s23, s15, s20
	s_add_u32 s19, s21, s19
	s_mul_i32 s20, s15, s20
	s_addc_u32 s17, s17, s24
	s_addc_u32 s19, s23, 0
	s_add_u32 s17, s17, s20
	s_addc_u32 s19, 0, s19
	s_mul_hi_u32 s20, s10, s17
	s_mul_i32 s21, s10, s19
	s_mul_i32 s22, s11, s17
	s_add_i32 s20, s20, s21
	s_mul_i32 s21, s10, s17
	s_add_i32 s20, s20, s22
	s_sub_i32 s22, s15, s20
	s_sub_u32 s14, s14, s21
	s_cselect_b32 s21, -1, 0
	s_cmp_lg_u32 s21, 0
	s_subb_u32 s22, s22, s11
	s_sub_u32 s23, s14, s10
	s_cselect_b32 s24, -1, 0
	s_cmp_lg_u32 s24, 0
	s_subb_u32 s22, s22, 0
	s_cmp_ge_u32 s22, s11
	s_cselect_b32 s24, -1, 0
	s_cmp_ge_u32 s23, s10
	s_cselect_b32 s23, -1, 0
	s_cmp_eq_u32 s22, s11
	s_cselect_b32 s22, s23, s24
	s_add_u32 s23, s17, 1
	s_addc_u32 s24, s19, 0
	s_add_u32 s25, s17, 2
	s_addc_u32 s26, s19, 0
	s_cmp_lg_u32 s22, 0
	s_cselect_b32 s22, s25, s23
	s_cselect_b32 s23, s26, s24
	s_cmp_lg_u32 s21, 0
	s_subb_u32 s15, s15, s20
	s_cmp_ge_u32 s15, s11
	s_cselect_b32 s20, -1, 0
	s_cmp_ge_u32 s14, s10
	s_cselect_b32 s10, -1, 0
	s_cmp_eq_u32 s15, s11
	s_cselect_b32 s10, s10, s20
	s_cmp_lg_u32 s10, 0
	s_cselect_b32 s11, s23, s19
	s_cselect_b32 s10, s22, s17
	s_xor_b64 s[12:13], s[12:13], 0
	s_xor_b64 s[10:11], s[10:11], s[12:13]
	s_sub_u32 s10, s10, s12
	s_load_dwordx4 s[12:15], s[4:5], 0x44
	s_andn2_b32 vcc_lo, exec_lo, s16
	s_cbranch_vccnz .LBB20_3
.LBB20_2:
	v_cvt_f32_u32_e32 v1, s9
	s_sub_i32 s11, 0, s9
	v_rcp_iflag_f32_e32 v1, v1
	v_mul_f32_e32 v1, 0x4f7ffffe, v1
	v_cvt_u32_f32_e32 v1, v1
	v_readfirstlane_b32 s10, v1
	s_mul_i32 s11, s11, s10
	s_mul_hi_u32 s11, s10, s11
	s_add_i32 s10, s10, s11
	s_mul_hi_u32 s10, s18, s10
	s_mul_i32 s11, s10, s9
	s_waitcnt lgkmcnt(0)
	s_add_i32 s15, s10, 1
	s_sub_i32 s11, s18, s11
	s_sub_i32 s16, s11, s9
	s_cmp_ge_u32 s11, s9
	s_cselect_b32 s10, s15, s10
	s_cselect_b32 s11, s16, s11
	s_add_i32 s15, s10, 1
	s_cmp_ge_u32 s11, s9
	s_cselect_b32 s10, s15, s10
.LBB20_3:
	s_add_i32 s11, s6, 1
	s_mov_b32 s16, 0
	s_mul_hi_i32 s17, s3, s11
	s_mul_i32 s11, s3, s11
	s_cmp_lg_u64 s[16:17], 0
	s_cbranch_scc0 .LBB20_22
; %bb.4:
	s_add_u32 s18, s9, 0
	s_addc_u32 s19, 0, 0
	s_xor_b64 s[18:19], s[18:19], 0
	v_cvt_f32_u32_e32 v1, s18
	v_cvt_f32_u32_e32 v2, s19
	s_sub_u32 s21, 0, s18
	s_subb_u32 s22, 0, s19
	v_fmamk_f32 v1, v2, 0x4f800000, v1
	v_rcp_f32_e32 v1, v1
	v_mul_f32_e32 v1, 0x5f7ffffc, v1
	v_mul_f32_e32 v2, 0x2f800000, v1
	v_trunc_f32_e32 v2, v2
	v_fmamk_f32 v1, v2, 0xcf800000, v1
	v_cvt_u32_f32_e32 v2, v2
	v_cvt_u32_f32_e32 v1, v1
	s_waitcnt lgkmcnt(0)
	v_readfirstlane_b32 s15, v2
	v_readfirstlane_b32 s20, v1
	s_mul_i32 s23, s21, s15
	s_mul_hi_u32 s25, s21, s20
	s_mul_i32 s24, s22, s20
	s_add_i32 s23, s25, s23
	s_mul_i32 s26, s21, s20
	s_add_i32 s23, s23, s24
	s_mul_hi_u32 s25, s20, s26
	s_mul_i32 s28, s20, s23
	s_mul_hi_u32 s27, s15, s26
	s_mul_i32 s24, s15, s26
	s_mul_hi_u32 s26, s20, s23
	s_add_u32 s25, s25, s28
	s_addc_u32 s26, 0, s26
	s_mul_hi_u32 s29, s15, s23
	s_add_u32 s24, s25, s24
	s_mul_i32 s23, s15, s23
	s_addc_u32 s24, s26, s27
	s_addc_u32 s25, s29, 0
	s_add_u32 s23, s24, s23
	s_addc_u32 s24, 0, s25
	s_add_u32 s20, s20, s23
	s_cselect_b32 s23, -1, 0
	s_mul_hi_u32 s25, s21, s20
	s_cmp_lg_u32 s23, 0
	s_mul_i32 s23, s21, s20
	s_addc_u32 s15, s15, s24
	s_mul_i32 s22, s22, s20
	s_mul_i32 s21, s21, s15
	s_mul_hi_u32 s24, s20, s23
	s_add_i32 s21, s25, s21
	s_mul_hi_u32 s25, s15, s23
	s_add_i32 s21, s21, s22
	s_mul_i32 s22, s15, s23
	s_mul_i32 s27, s20, s21
	s_mul_hi_u32 s26, s20, s21
	s_add_u32 s24, s24, s27
	s_addc_u32 s26, 0, s26
	s_mul_hi_u32 s23, s15, s21
	s_add_u32 s22, s24, s22
	s_mul_i32 s21, s15, s21
	s_addc_u32 s22, s26, s25
	s_addc_u32 s23, s23, 0
	s_add_u32 s21, s22, s21
	s_addc_u32 s22, 0, s23
	s_add_u32 s24, s20, s21
	s_cselect_b32 s20, -1, 0
	s_cmp_lg_u32 s20, 0
	s_addc_u32 s15, s15, s22
	s_ashr_i32 s20, s17, 31
	s_add_u32 s22, s11, s20
	s_mov_b32 s21, s20
	s_addc_u32 s23, s17, s20
	s_xor_b64 s[22:23], s[22:23], s[20:21]
	s_mul_i32 s25, s22, s15
	s_mul_hi_u32 s26, s22, s24
	s_mul_hi_u32 s17, s22, s15
	;; [unrolled: 1-line block ×3, first 2 shown]
	s_mul_i32 s24, s23, s24
	s_add_u32 s25, s26, s25
	s_addc_u32 s17, 0, s17
	s_mul_hi_u32 s27, s23, s15
	s_add_u32 s24, s25, s24
	s_mul_i32 s15, s23, s15
	s_addc_u32 s17, s17, s28
	s_addc_u32 s24, s27, 0
	s_add_u32 s15, s17, s15
	s_addc_u32 s17, 0, s24
	s_mul_hi_u32 s24, s18, s15
	s_mul_i32 s25, s18, s17
	s_mul_i32 s26, s19, s15
	s_add_i32 s24, s24, s25
	s_mul_i32 s25, s18, s15
	s_add_i32 s24, s24, s26
	s_sub_i32 s26, s23, s24
	s_sub_u32 s22, s22, s25
	s_cselect_b32 s25, -1, 0
	s_cmp_lg_u32 s25, 0
	s_subb_u32 s26, s26, s19
	s_sub_u32 s27, s22, s18
	s_cselect_b32 s28, -1, 0
	s_cmp_lg_u32 s28, 0
	s_subb_u32 s26, s26, 0
	s_cmp_ge_u32 s26, s19
	s_cselect_b32 s28, -1, 0
	s_cmp_ge_u32 s27, s18
	s_cselect_b32 s27, -1, 0
	s_cmp_eq_u32 s26, s19
	s_cselect_b32 s26, s27, s28
	s_add_u32 s27, s15, 1
	s_addc_u32 s28, s17, 0
	s_add_u32 s29, s15, 2
	s_addc_u32 s30, s17, 0
	s_cmp_lg_u32 s26, 0
	s_cselect_b32 s26, s29, s27
	s_cselect_b32 s27, s30, s28
	s_cmp_lg_u32 s25, 0
	s_subb_u32 s23, s23, s24
	s_cmp_ge_u32 s23, s19
	s_cselect_b32 s24, -1, 0
	s_cmp_ge_u32 s22, s18
	s_cselect_b32 s18, -1, 0
	s_cmp_eq_u32 s23, s19
	s_cselect_b32 s18, s18, s24
	s_cmp_lg_u32 s18, 0
	s_cselect_b32 s19, s27, s17
	s_cselect_b32 s18, s26, s15
	s_xor_b64 s[20:21], s[20:21], 0
	s_xor_b64 s[18:19], s[18:19], s[20:21]
	s_sub_u32 s18, s18, s20
	s_andn2_b32 vcc_lo, exec_lo, s16
	s_cbranch_vccnz .LBB20_6
.LBB20_5:
	v_cvt_f32_u32_e32 v1, s9
	s_sub_i32 s16, 0, s9
	v_rcp_iflag_f32_e32 v1, v1
	v_mul_f32_e32 v1, 0x4f7ffffe, v1
	v_cvt_u32_f32_e32 v1, v1
	s_waitcnt lgkmcnt(0)
	v_readfirstlane_b32 s15, v1
	s_mul_i32 s16, s16, s15
	s_mul_hi_u32 s16, s15, s16
	s_add_i32 s15, s15, s16
	s_mul_hi_u32 s15, s11, s15
	s_mul_i32 s16, s15, s9
	s_sub_i32 s11, s11, s16
	s_add_i32 s16, s15, 1
	s_sub_i32 s17, s11, s9
	s_cmp_ge_u32 s11, s9
	s_cselect_b32 s15, s16, s15
	s_cselect_b32 s11, s17, s11
	s_add_i32 s16, s15, 1
	s_cmp_ge_u32 s11, s9
	s_cselect_b32 s18, s16, s15
.LBB20_6:
	s_cmp_eq_u32 s10, s18
	s_waitcnt lgkmcnt(0)
	s_mul_hi_u32 s11, s10, s12
	s_cselect_b32 s15, -1, 0
	s_add_i32 s11, s11, s10
	s_lshr_b32 s11, s11, s13
	s_mul_i32 s16, s11, s14
	s_cmp_eq_u32 s16, s10
	s_mul_hi_u32 s16, s18, s12
	s_cselect_b32 s17, -1, 0
	s_add_i32 s16, s16, s18
	s_lshr_b32 s16, s16, s13
	s_cmp_eq_u32 s11, s16
	s_mul_i32 s16, s16, s14
	s_cselect_b32 s19, -1, 0
	s_cmp_lg_u32 s16, s18
	s_cselect_b32 s16, -1, 0
	s_or_b32 s15, s15, s17
	s_and_b32 s16, s19, s16
	s_or_b32 s15, s15, s16
	s_and_b32 vcc_lo, exec_lo, s15
	s_cbranch_vccnz .LBB20_24
; %bb.7:
	s_clause 0x1
	s_load_dwordx8 s[20:27], s[4:5], 0x20
	s_load_dword s16, s[4:5], 0x40
	s_waitcnt lgkmcnt(0)
	s_mul_hi_u32 s15, s10, s20
	s_add_i32 s15, s15, s10
	s_lshr_b32 s15, s15, s21
	s_mul_i32 s17, s15, s22
	s_sub_i32 s17, s10, s17
	s_mul_hi_u32 s18, s17, s23
	s_add_i32 s18, s17, s18
	s_lshr_b32 s22, s18, s24
	s_mul_i32 s18, s22, s25
	s_sub_i32 s17, s17, s18
	s_mul_hi_u32 s18, s17, s26
	s_add_i32 s18, s17, s18
	s_lshr_b32 s18, s18, s27
	s_mul_i32 s16, s18, s16
	s_lshl_b32 s24, s18, 2
	s_sub_i32 s16, s17, s16
	s_mul_hi_u32 s17, s16, s12
	s_add_i32 s16, s16, s17
	s_lshr_b32 s23, s16, s13
	s_lshl_b32 s16, s23, 4
	s_add_i32 s16, s16, s7
	s_cmp_lt_i32 s16, s0
	s_cselect_b32 s16, -1, 0
	s_add_i32 s17, s24, s8
	s_cmp_lt_i32 s17, s2
	s_cselect_b32 s17, -1, 0
	s_and_b32 s16, s16, s17
	s_andn2_b32 vcc_lo, exec_lo, s16
	s_cbranch_vccnz .LBB20_24
; %bb.8:
	s_load_dwordx4 s[16:19], s[4:5], 0x0
	s_mov_b32 s4, 0
	s_lshl_b32 s20, s9, 8
	s_mov_b32 s21, s4
	s_lshl_b32 s5, s7, 2
	s_lshl_b64 s[20:21], s[20:21], 2
	s_mul_i32 s0, s15, s0
	s_add_i32 s15, s5, s8
	s_mul_i32 s22, s22, s2
	v_cvt_f32_u32_e32 v4, s9
	v_rcp_iflag_f32_e32 v4, v4
	s_waitcnt lgkmcnt(0)
	s_add_u32 s20, s18, s20
	s_addc_u32 s21, s19, s21
	s_add_i32 s0, s0, s7
	s_mul_i32 s0, s0, s1
	s_mul_i32 s1, s1, s23
	s_add_i32 s0, s0, s8
	s_lshl_b32 s1, s1, 10
	s_add_i32 s0, s0, s22
	v_mul_f32_e32 v4, 0x4f7ffffe, v4
	s_add_i32 s0, s0, s24
	s_lshl_b32 s0, s0, 6
	s_add_i32 s1, s1, s0
	s_lshl_b32 s0, s6, 6
	v_or_b32_e32 v1, s1, v0
	s_add_i32 s0, s15, s0
	v_lshl_or_b32 v0, s15, 6, v0
	s_ashr_i32 s1, s0, 31
	v_cvt_u32_f32_e32 v4, v4
	v_ashrrev_i32_e32 v2, 31, v1
	s_lshl_b64 s[0:1], s[0:1], 3
	s_add_u32 s0, s18, s0
	s_addc_u32 s1, s19, s1
	v_lshlrev_b64 v[1:2], 2, v[1:2]
	s_load_dwordx2 s[0:1], s[0:1], 0x0
	s_add_i32 s8, s6, -1
	s_sub_i32 s2, 0, s9
	v_add_co_u32 v1, vcc_lo, s16, v1
	v_add_co_ci_u32_e64 v2, null, s17, v2, vcc_lo
	global_load_dword v3, v[1:2], off
	s_waitcnt lgkmcnt(0)
	v_mov_b32_e32 v5, s1
	v_mov_b32_e32 v6, s0
.LBB20_9:                               ; =>This Inner Loop Header: Depth=1
	s_mul_hi_i32 s5, s8, s3
	s_mul_i32 s6, s8, s3
	s_cmp_lg_u64 s[4:5], 0
	s_mov_b32 s7, -1
                                        ; implicit-def: $sgpr0_sgpr1
	s_cbranch_scc0 .LBB20_11
; %bb.10:                               ;   in Loop: Header=BB20_9 Depth=1
	s_add_u32 s0, s9, 0
	s_addc_u32 s1, 0, 0
	s_xor_b64 s[0:1], s[0:1], 0
	v_cvt_f32_u32_e32 v7, s0
	v_cvt_f32_u32_e32 v8, s1
	s_sub_u32 s17, 0, s0
	s_subb_u32 s22, 0, s1
	v_fmac_f32_e32 v7, 0x4f800000, v8
	v_rcp_f32_e32 v7, v7
	v_mul_f32_e32 v7, 0x5f7ffffc, v7
	v_mul_f32_e32 v8, 0x2f800000, v7
	v_trunc_f32_e32 v8, v8
	v_fmac_f32_e32 v7, 0xcf800000, v8
	v_cvt_u32_f32_e32 v8, v8
	v_cvt_u32_f32_e32 v7, v7
	v_readfirstlane_b32 s7, v8
	v_readfirstlane_b32 s16, v7
	s_mul_i32 s23, s17, s7
	s_mul_hi_u32 s25, s17, s16
	s_mul_i32 s24, s22, s16
	s_add_i32 s23, s25, s23
	s_mul_i32 s26, s17, s16
	s_add_i32 s23, s23, s24
	s_mul_hi_u32 s25, s16, s26
	s_mul_i32 s28, s16, s23
	s_mul_hi_u32 s27, s7, s26
	s_mul_i32 s24, s7, s26
	s_mul_hi_u32 s26, s16, s23
	s_add_u32 s25, s25, s28
	s_addc_u32 s26, 0, s26
	s_mul_hi_u32 s29, s7, s23
	s_add_u32 s24, s25, s24
	s_mul_i32 s23, s7, s23
	s_addc_u32 s24, s26, s27
	s_addc_u32 s25, s29, 0
	s_add_u32 s23, s24, s23
	s_addc_u32 s24, 0, s25
	s_add_u32 s16, s16, s23
	s_cselect_b32 s23, -1, 0
	s_mul_hi_u32 s25, s17, s16
	s_cmp_lg_u32 s23, 0
	s_mul_i32 s23, s17, s16
	s_addc_u32 s7, s7, s24
	s_mul_i32 s22, s22, s16
	s_mul_i32 s17, s17, s7
	s_mul_hi_u32 s24, s16, s23
	s_add_i32 s17, s25, s17
	s_mul_hi_u32 s25, s7, s23
	s_add_i32 s17, s17, s22
	s_mul_i32 s22, s7, s23
	s_mul_i32 s27, s16, s17
	s_mul_hi_u32 s26, s16, s17
	s_add_u32 s24, s24, s27
	s_addc_u32 s26, 0, s26
	s_mul_hi_u32 s23, s7, s17
	s_add_u32 s22, s24, s22
	s_mul_i32 s17, s7, s17
	s_addc_u32 s22, s26, s25
	s_addc_u32 s23, s23, 0
	s_add_u32 s17, s22, s17
	s_addc_u32 s22, 0, s23
	s_add_u32 s24, s16, s17
	s_cselect_b32 s16, -1, 0
	s_cmp_lg_u32 s16, 0
	s_addc_u32 s7, s7, s22
	s_ashr_i32 s16, s5, 31
	s_add_u32 s22, s6, s16
	s_mov_b32 s17, s16
	s_addc_u32 s23, s5, s16
	s_xor_b64 s[22:23], s[22:23], s[16:17]
	s_mul_i32 s25, s22, s7
	s_mul_hi_u32 s26, s22, s24
	s_mul_hi_u32 s5, s22, s7
	;; [unrolled: 1-line block ×3, first 2 shown]
	s_mul_i32 s24, s23, s24
	s_add_u32 s25, s26, s25
	s_addc_u32 s5, 0, s5
	s_mul_hi_u32 s27, s23, s7
	s_add_u32 s24, s25, s24
	s_mul_i32 s7, s23, s7
	s_addc_u32 s5, s5, s28
	s_addc_u32 s24, s27, 0
	s_add_u32 s5, s5, s7
	s_addc_u32 s7, 0, s24
	s_mul_hi_u32 s24, s0, s5
	s_mul_i32 s25, s0, s7
	s_mul_i32 s26, s1, s5
	s_add_i32 s24, s24, s25
	s_mul_i32 s25, s0, s5
	s_add_i32 s24, s24, s26
	s_sub_i32 s26, s23, s24
	s_sub_u32 s22, s22, s25
	s_cselect_b32 s25, -1, 0
	s_cmp_lg_u32 s25, 0
	s_subb_u32 s26, s26, s1
	s_sub_u32 s27, s22, s0
	s_cselect_b32 s28, -1, 0
	s_cmp_lg_u32 s28, 0
	s_subb_u32 s26, s26, 0
	s_cmp_ge_u32 s26, s1
	s_cselect_b32 s28, -1, 0
	s_cmp_ge_u32 s27, s0
	s_cselect_b32 s27, -1, 0
	s_cmp_eq_u32 s26, s1
	s_cselect_b32 s26, s27, s28
	s_add_u32 s27, s5, 1
	s_addc_u32 s28, s7, 0
	s_add_u32 s29, s5, 2
	s_addc_u32 s30, s7, 0
	s_cmp_lg_u32 s26, 0
	s_cselect_b32 s26, s29, s27
	s_cselect_b32 s27, s30, s28
	s_cmp_lg_u32 s25, 0
	s_subb_u32 s23, s23, s24
	s_cmp_ge_u32 s23, s1
	s_cselect_b32 s24, -1, 0
	s_cmp_ge_u32 s22, s0
	s_cselect_b32 s0, -1, 0
	s_cmp_eq_u32 s23, s1
	s_cselect_b32 s0, s0, s24
	s_cmp_lg_u32 s0, 0
	s_cselect_b32 s1, s27, s7
	s_cselect_b32 s0, s26, s5
	s_xor_b64 s[16:17], s[16:17], 0
	s_mov_b32 s7, 0
	s_xor_b64 s[0:1], s[0:1], s[16:17]
	s_sub_u32 s0, s0, s16
.LBB20_11:                              ;   in Loop: Header=BB20_9 Depth=1
	s_andn2_b32 vcc_lo, exec_lo, s7
	s_cbranch_vccnz .LBB20_13
; %bb.12:                               ;   in Loop: Header=BB20_9 Depth=1
	v_readfirstlane_b32 s0, v4
	s_mul_i32 s1, s2, s0
	s_mul_hi_u32 s1, s0, s1
	s_add_i32 s0, s0, s1
	s_mul_hi_u32 s0, s6, s0
	s_mul_i32 s1, s0, s9
	s_add_i32 s5, s0, 1
	s_sub_i32 s1, s6, s1
	s_sub_i32 s6, s1, s9
	s_cmp_ge_u32 s1, s9
	s_cselect_b32 s0, s5, s0
	s_cselect_b32 s1, s6, s1
	s_add_i32 s5, s0, 1
	s_cmp_ge_u32 s1, s9
	s_cselect_b32 s0, s5, s0
.LBB20_13:                              ;   in Loop: Header=BB20_9 Depth=1
	s_cmp_lg_u32 s10, s0
	s_mov_b32 s6, -1
                                        ; implicit-def: $sgpr5
                                        ; implicit-def: $vgpr8
                                        ; implicit-def: $vgpr7
                                        ; implicit-def: $vgpr9
                                        ; implicit-def: $sgpr1
                                        ; implicit-def: $sgpr16
	s_cbranch_scc0 .LBB20_18
; %bb.14:                               ;   in Loop: Header=BB20_9 Depth=1
	s_add_i32 s1, s8, s9
	s_mov_b32 s7, s4
	s_lshl_b32 s1, s1, 6
	s_mov_b32 s16, s10
	s_add_i32 s6, s1, s15
	s_mul_hi_u32 s1, s0, s12
	s_lshl_b64 s[6:7], s[6:7], 3
	s_add_u32 s6, s18, s6
	s_addc_u32 s7, s19, s7
	s_add_i32 s1, s1, s0
	s_lshr_b32 s1, s1, s13
	s_mul_i32 s5, s1, s14
	s_cmp_eq_u32 s5, s0
	s_cselect_b32 s5, -1, 0
	s_cmp_lt_u32 s1, s11
	s_cselect_b32 s1, -1, 0
	s_or_b32 s1, s1, s5
	s_mov_b32 s5, -1
	s_and_b32 vcc_lo, exec_lo, s1
	s_mov_b32 s1, s8
	s_cbranch_vccnz .LBB20_16
; %bb.15:                               ;   in Loop: Header=BB20_9 Depth=1
	s_add_i32 s1, s8, -1
	s_mov_b32 s5, 0
	s_mov_b32 s16, s0
.LBB20_16:                              ;   in Loop: Header=BB20_9 Depth=1
	v_lshl_add_u32 v7, s8, 12, v0
	s_load_dwordx2 s[6:7], s[6:7], 0x0
	v_ashrrev_i32_e32 v8, 31, v7
	v_lshlrev_b64 v[7:8], 2, v[7:8]
	v_add_co_u32 v7, vcc_lo, s20, v7
	v_add_co_ci_u32_e64 v8, null, s21, v8, vcc_lo
	s_waitcnt lgkmcnt(0)
	v_max_f32_e64 v9, s6, s6
	global_load_dword v8, v[7:8], off
	v_max_f32_e32 v7, v6, v6
	v_max_f32_e32 v7, v7, v9
	v_sub_f32_e32 v9, s6, v7
	v_sub_f32_e32 v10, v6, v7
	v_mul_f32_e32 v11, 0x3fb8aa3b, v9
	v_mul_f32_e32 v12, 0x3fb8aa3b, v10
	v_cmp_ngt_f32_e32 vcc_lo, 0xc2ce8ed0, v9
	v_fma_f32 v13, 0x3fb8aa3b, v9, -v11
	v_rndne_f32_e32 v14, v11
	v_fma_f32 v15, 0x3fb8aa3b, v10, -v12
	v_rndne_f32_e32 v16, v12
	v_fmac_f32_e32 v13, 0x32a5705f, v9
	v_sub_f32_e32 v11, v11, v14
	v_fmac_f32_e32 v15, 0x32a5705f, v10
	v_sub_f32_e32 v12, v12, v16
	v_add_f32_e32 v11, v11, v13
	v_cvt_i32_f32_e32 v13, v14
	v_add_f32_e32 v12, v12, v15
	v_cvt_i32_f32_e32 v14, v16
	v_exp_f32_e32 v11, v11
	v_exp_f32_e32 v12, v12
	v_ldexp_f32 v11, v11, v13
	v_ldexp_f32 v12, v12, v14
	v_cndmask_b32_e32 v11, 0, v11, vcc_lo
	v_cmp_ngt_f32_e32 vcc_lo, 0xc2ce8ed0, v10
	v_cndmask_b32_e32 v12, 0, v12, vcc_lo
	v_cmp_nlt_f32_e32 vcc_lo, 0x42b17218, v9
	v_cndmask_b32_e32 v11, 0x7f800000, v11, vcc_lo
	v_cmp_nlt_f32_e32 vcc_lo, 0x42b17218, v10
	v_cndmask_b32_e32 v12, 0x7f800000, v12, vcc_lo
	v_cmp_le_f32_e32 vcc_lo, 0xc1a00000, v9
	v_cndmask_b32_e32 v9, 0, v11, vcc_lo
	v_cmp_le_f32_e32 vcc_lo, 0xc1a00000, v10
	v_cndmask_b32_e32 v10, 0, v12, vcc_lo
	s_waitcnt vmcnt(0)
	v_mul_f32_e32 v8, v8, v9
	v_mul_f32_e32 v9, s7, v9
	v_fmac_f32_e32 v8, v3, v10
	v_fmac_f32_e32 v9, v5, v10
	s_cbranch_execz .LBB20_19
.LBB20_17:                              ;   in Loop: Header=BB20_9 Depth=1
	s_andn2_b32 vcc_lo, exec_lo, s5
	s_cbranch_vccnz .LBB20_20
	s_branch .LBB20_23
.LBB20_18:                              ;   in Loop: Header=BB20_9 Depth=1
	s_andn2_b32 vcc_lo, exec_lo, s6
	s_cbranch_vccnz .LBB20_17
.LBB20_19:                              ;   in Loop: Header=BB20_9 Depth=1
	v_mov_b32_e32 v9, v5
	v_mov_b32_e32 v7, v6
	s_waitcnt vmcnt(0)
	v_mov_b32_e32 v8, v3
	s_add_i32 s1, s8, -1
	s_mov_b32 s16, s10
	s_cbranch_execz .LBB20_23
.LBB20_20:                              ;   in Loop: Header=BB20_9 Depth=1
	v_mov_b32_e32 v5, v9
	v_mov_b32_e32 v6, v7
	s_waitcnt vmcnt(0)
	v_mov_b32_e32 v3, v8
	s_mov_b32 s10, s16
	s_mov_b32 s8, s1
	s_branch .LBB20_9
.LBB20_21:
                                        ; implicit-def: $sgpr10_sgpr11
	s_load_dwordx4 s[12:15], s[4:5], 0x44
	s_branch .LBB20_2
.LBB20_22:
                                        ; implicit-def: $sgpr18_sgpr19
	s_branch .LBB20_5
.LBB20_23:
	v_div_scale_f32 v0, null, v9, v9, v8
	s_waitcnt vmcnt(0)
	v_rcp_f32_e32 v3, v0
	v_fma_f32 v4, -v0, v3, 1.0
	v_fmac_f32_e32 v3, v4, v3
	v_div_scale_f32 v4, vcc_lo, v8, v9, v8
	v_mul_f32_e32 v5, v4, v3
	v_fma_f32 v6, -v0, v5, v4
	v_fmac_f32_e32 v5, v6, v3
	v_fma_f32 v0, -v0, v5, v4
	v_div_fmas_f32 v0, v0, v3, v5
	v_div_fixup_f32 v0, v0, v9, v8
	global_store_dword v[1:2], v0, off
.LBB20_24:
	s_endpgm
	.section	.rodata,"a",@progbits
	.p2align	6, 0x0
	.amdhsa_kernel _ZL33flash_attn_stream_k_fixup_generalILi64ELi16ELi4EEvPfPK15HIP_vector_typeIfLj2EEiiiiS1_IjLj3EES5_S5_S5_
		.amdhsa_group_segment_fixed_size 0
		.amdhsa_private_segment_fixed_size 0
		.amdhsa_kernarg_size 336
		.amdhsa_user_sgpr_count 6
		.amdhsa_user_sgpr_private_segment_buffer 1
		.amdhsa_user_sgpr_dispatch_ptr 0
		.amdhsa_user_sgpr_queue_ptr 0
		.amdhsa_user_sgpr_kernarg_segment_ptr 1
		.amdhsa_user_sgpr_dispatch_id 0
		.amdhsa_user_sgpr_flat_scratch_init 0
		.amdhsa_user_sgpr_private_segment_size 0
		.amdhsa_wavefront_size32 1
		.amdhsa_uses_dynamic_stack 0
		.amdhsa_system_sgpr_private_segment_wavefront_offset 0
		.amdhsa_system_sgpr_workgroup_id_x 1
		.amdhsa_system_sgpr_workgroup_id_y 1
		.amdhsa_system_sgpr_workgroup_id_z 1
		.amdhsa_system_sgpr_workgroup_info 0
		.amdhsa_system_vgpr_workitem_id 0
		.amdhsa_next_free_vgpr 17
		.amdhsa_next_free_sgpr 31
		.amdhsa_reserve_vcc 1
		.amdhsa_reserve_flat_scratch 0
		.amdhsa_float_round_mode_32 0
		.amdhsa_float_round_mode_16_64 0
		.amdhsa_float_denorm_mode_32 3
		.amdhsa_float_denorm_mode_16_64 3
		.amdhsa_dx10_clamp 1
		.amdhsa_ieee_mode 1
		.amdhsa_fp16_overflow 0
		.amdhsa_workgroup_processor_mode 1
		.amdhsa_memory_ordered 1
		.amdhsa_forward_progress 1
		.amdhsa_shared_vgpr_count 0
		.amdhsa_exception_fp_ieee_invalid_op 0
		.amdhsa_exception_fp_denorm_src 0
		.amdhsa_exception_fp_ieee_div_zero 0
		.amdhsa_exception_fp_ieee_overflow 0
		.amdhsa_exception_fp_ieee_underflow 0
		.amdhsa_exception_fp_ieee_inexact 0
		.amdhsa_exception_int_div_zero 0
	.end_amdhsa_kernel
	.section	.text._ZL33flash_attn_stream_k_fixup_generalILi64ELi16ELi4EEvPfPK15HIP_vector_typeIfLj2EEiiiiS1_IjLj3EES5_S5_S5_,"axG",@progbits,_ZL33flash_attn_stream_k_fixup_generalILi64ELi16ELi4EEvPfPK15HIP_vector_typeIfLj2EEiiiiS1_IjLj3EES5_S5_S5_,comdat
.Lfunc_end20:
	.size	_ZL33flash_attn_stream_k_fixup_generalILi64ELi16ELi4EEvPfPK15HIP_vector_typeIfLj2EEiiiiS1_IjLj3EES5_S5_S5_, .Lfunc_end20-_ZL33flash_attn_stream_k_fixup_generalILi64ELi16ELi4EEvPfPK15HIP_vector_typeIfLj2EEiiiiS1_IjLj3EES5_S5_S5_
                                        ; -- End function
	.set _ZL33flash_attn_stream_k_fixup_generalILi64ELi16ELi4EEvPfPK15HIP_vector_typeIfLj2EEiiiiS1_IjLj3EES5_S5_S5_.num_vgpr, 17
	.set _ZL33flash_attn_stream_k_fixup_generalILi64ELi16ELi4EEvPfPK15HIP_vector_typeIfLj2EEiiiiS1_IjLj3EES5_S5_S5_.num_agpr, 0
	.set _ZL33flash_attn_stream_k_fixup_generalILi64ELi16ELi4EEvPfPK15HIP_vector_typeIfLj2EEiiiiS1_IjLj3EES5_S5_S5_.numbered_sgpr, 31
	.set _ZL33flash_attn_stream_k_fixup_generalILi64ELi16ELi4EEvPfPK15HIP_vector_typeIfLj2EEiiiiS1_IjLj3EES5_S5_S5_.num_named_barrier, 0
	.set _ZL33flash_attn_stream_k_fixup_generalILi64ELi16ELi4EEvPfPK15HIP_vector_typeIfLj2EEiiiiS1_IjLj3EES5_S5_S5_.private_seg_size, 0
	.set _ZL33flash_attn_stream_k_fixup_generalILi64ELi16ELi4EEvPfPK15HIP_vector_typeIfLj2EEiiiiS1_IjLj3EES5_S5_S5_.uses_vcc, 1
	.set _ZL33flash_attn_stream_k_fixup_generalILi64ELi16ELi4EEvPfPK15HIP_vector_typeIfLj2EEiiiiS1_IjLj3EES5_S5_S5_.uses_flat_scratch, 0
	.set _ZL33flash_attn_stream_k_fixup_generalILi64ELi16ELi4EEvPfPK15HIP_vector_typeIfLj2EEiiiiS1_IjLj3EES5_S5_S5_.has_dyn_sized_stack, 0
	.set _ZL33flash_attn_stream_k_fixup_generalILi64ELi16ELi4EEvPfPK15HIP_vector_typeIfLj2EEiiiiS1_IjLj3EES5_S5_S5_.has_recursion, 0
	.set _ZL33flash_attn_stream_k_fixup_generalILi64ELi16ELi4EEvPfPK15HIP_vector_typeIfLj2EEiiiiS1_IjLj3EES5_S5_S5_.has_indirect_call, 0
	.section	.AMDGPU.csdata,"",@progbits
; Kernel info:
; codeLenInByte = 2944
; TotalNumSgprs: 33
; NumVgprs: 17
; ScratchSize: 0
; MemoryBound: 0
; FloatMode: 240
; IeeeMode: 1
; LDSByteSize: 0 bytes/workgroup (compile time only)
; SGPRBlocks: 0
; VGPRBlocks: 2
; NumSGPRsForWavesPerEU: 33
; NumVGPRsForWavesPerEU: 17
; Occupancy: 16
; WaveLimiterHint : 0
; COMPUTE_PGM_RSRC2:SCRATCH_EN: 0
; COMPUTE_PGM_RSRC2:USER_SGPR: 6
; COMPUTE_PGM_RSRC2:TRAP_HANDLER: 0
; COMPUTE_PGM_RSRC2:TGID_X_EN: 1
; COMPUTE_PGM_RSRC2:TGID_Y_EN: 1
; COMPUTE_PGM_RSRC2:TGID_Z_EN: 1
; COMPUTE_PGM_RSRC2:TIDIG_COMP_CNT: 0
	.section	.text._ZL15flash_attn_tileILi64ELi64ELi8ELi4ELb0EEvPKcS1_S1_S1_S1_PKiPfP15HIP_vector_typeIfLj2EEffffjfiS5_IjLj3EEiiiiiiiiiiiliiliiiiil,"axG",@progbits,_ZL15flash_attn_tileILi64ELi64ELi8ELi4ELb0EEvPKcS1_S1_S1_S1_PKiPfP15HIP_vector_typeIfLj2EEffffjfiS5_IjLj3EEiiiiiiiiiiiliiliiiiil,comdat
	.globl	_ZL15flash_attn_tileILi64ELi64ELi8ELi4ELb0EEvPKcS1_S1_S1_S1_PKiPfP15HIP_vector_typeIfLj2EEffffjfiS5_IjLj3EEiiiiiiiiiiiliiliiiiil ; -- Begin function _ZL15flash_attn_tileILi64ELi64ELi8ELi4ELb0EEvPKcS1_S1_S1_S1_PKiPfP15HIP_vector_typeIfLj2EEffffjfiS5_IjLj3EEiiiiiiiiiiiliiliiiiil
	.p2align	8
	.type	_ZL15flash_attn_tileILi64ELi64ELi8ELi4ELb0EEvPKcS1_S1_S1_S1_PKiPfP15HIP_vector_typeIfLj2EEffffjfiS5_IjLj3EEiiiiiiiiiiiliiliiiiil,@function
_ZL15flash_attn_tileILi64ELi64ELi8ELi4ELb0EEvPKcS1_S1_S1_S1_PKiPfP15HIP_vector_typeIfLj2EEffffjfiS5_IjLj3EEiiiiiiiiiiiliiliiiiil: ; @_ZL15flash_attn_tileILi64ELi64ELi8ELi4ELb0EEvPKcS1_S1_S1_S1_PKiPfP15HIP_vector_typeIfLj2EEffffjfiS5_IjLj3EEiiiiiiiiiiiliiliiiiil
; %bb.0:
	s_clause 0x1
	s_load_dwordx4 s[0:3], s[4:5], 0x5c
	s_load_dwordx2 s[34:35], s[4:5], 0x80
	s_mov_b32 s28, s7
	s_mov_b64 s[36:37], 0
	s_waitcnt lgkmcnt(0)
	s_ashr_i32 s7, s3, 31
	s_lshr_b32 s7, s7, 30
	s_add_i32 s7, s3, s7
	s_ashr_i32 s7, s7, 2
	v_cvt_f32_u32_e32 v2, s7
	s_sub_i32 s10, 0, s7
	v_rcp_iflag_f32_e32 v2, v2
	v_mul_f32_e32 v2, 0x4f7ffffe, v2
	v_cvt_u32_f32_e32 v2, v2
	v_readfirstlane_b32 s9, v2
	s_mul_i32 s10, s10, s9
	s_mul_hi_u32 s10, s9, s10
	s_add_i32 s9, s9, s10
	s_mul_hi_u32 s9, s8, s9
	s_mul_i32 s10, s9, s7
	s_add_i32 s11, s9, 1
	s_sub_i32 s10, s8, s10
	s_sub_i32 s12, s10, s7
	s_cmp_ge_u32 s10, s7
	s_cselect_b32 s9, s11, s9
	s_cselect_b32 s10, s12, s10
	s_add_i32 s11, s9, 1
	s_cmp_ge_u32 s10, s7
	s_cselect_b32 s29, s11, s9
	s_abs_i32 s7, s35
	s_lshl_b32 s8, s8, 2
	v_cvt_f32_u32_e32 v2, s7
	s_sub_i32 s10, 0, s7
	s_mul_i32 s11, s29, s3
	s_abs_i32 s12, s3
	s_sub_i32 s30, s8, s11
	v_rcp_iflag_f32_e32 v2, v2
	v_mul_f32_e32 v2, 0x4f7ffffe, v2
	v_cvt_u32_f32_e32 v2, v2
	v_readfirstlane_b32 s9, v2
	s_mul_i32 s10, s10, s9
	s_mul_hi_u32 s10, s9, s10
	s_add_i32 s9, s9, s10
	s_mul_hi_u32 s8, s12, s9
	s_xor_b32 s9, s3, s35
	s_mul_i32 s10, s8, s7
	s_ashr_i32 s9, s9, 31
	s_sub_i32 s10, s12, s10
	s_add_i32 s11, s8, 1
	s_sub_i32 s12, s10, s7
	s_cmp_ge_u32 s10, s7
	s_cselect_b32 s8, s11, s8
	s_cselect_b32 s10, s12, s10
	s_add_i32 s11, s8, 1
	s_cmp_ge_u32 s10, s7
	s_cselect_b32 s7, s11, s8
	s_xor_b32 s7, s7, s9
	s_sub_i32 s33, s7, s9
	s_clause 0x1
	s_load_dwordx16 s[8:23], s[4:5], 0x0
	s_load_dwordx2 s[38:39], s[4:5], 0xb8
	s_abs_i32 s31, s33
	v_cvt_f32_u32_e32 v2, s31
	v_rcp_iflag_f32_e32 v2, v2
	v_mul_f32_e32 v2, 0x4f7ffffe, v2
	s_waitcnt lgkmcnt(0)
	s_cmp_eq_u64 s[14:15], 0
	v_cvt_u32_f32_e32 v2, v2
	v_readfirstlane_b32 s35, v2
	s_cbranch_scc1 .LBB21_2
; %bb.1:
	s_abs_i32 s7, s38
	s_abs_i32 s26, s29
	v_cvt_f32_u32_e32 v2, s7
	s_sub_i32 s25, 0, s7
	v_rcp_iflag_f32_e32 v2, v2
	v_mul_f32_e32 v2, 0x4f7ffffe, v2
	v_cvt_u32_f32_e32 v2, v2
	v_readfirstlane_b32 s24, v2
	s_mul_i32 s25, s25, s24
	s_mul_hi_u32 s25, s24, s25
	s_add_i32 s24, s24, s25
	s_mul_hi_u32 s27, s26, s24
	s_load_dwordx2 s[24:25], s[4:5], 0xc8
	s_mul_i32 s27, s27, s7
	s_sub_i32 s26, s26, s27
	s_ashr_i32 s27, s29, 31
	s_sub_i32 s36, s26, s7
	s_cmp_ge_u32 s26, s7
	s_cselect_b32 s26, s36, s26
	s_sub_i32 s36, s26, s7
	s_cmp_ge_u32 s26, s7
	s_cselect_b32 s7, s36, s26
	s_xor_b32 s7, s7, s27
	s_sub_i32 s7, s7, s27
	s_ashr_i32 s26, s7, 31
	s_waitcnt lgkmcnt(0)
	s_mul_hi_u32 s27, s24, s7
	s_mul_i32 s26, s24, s26
	s_mul_i32 s25, s25, s7
	s_add_i32 s26, s27, s26
	s_mul_i32 s7, s24, s7
	s_add_i32 s26, s26, s25
	s_add_u32 s36, s14, s7
	s_addc_u32 s37, s15, s26
.LBB21_2:
	v_lshlrev_b32_e32 v41, 1, v1
	s_lshl_b32 s14, s6, 3
	s_load_dwordx4 s[24:27], s[4:5], 0x70
	v_lshlrev_b32_e32 v11, 3, v1
	v_lshlrev_b32_e32 v26, 3, v0
	v_add_nc_u32_e32 v42, s14, v41
	v_or_b32_e32 v23, 4, v11
	v_or_b32_e32 v24, 5, v11
	v_mul_hi_u32 v2, v42, s0
	v_or_b32_e32 v25, 6, v11
	v_or_b32_e32 v27, 7, v11
	v_lshrrev_b32_e32 v38, 2, v23
	v_lshrrev_b32_e32 v37, 2, v24
	;; [unrolled: 1-line block ×4, first 2 shown]
	v_add_nc_u32_e32 v2, v42, v2
	v_add_nc_u32_e32 v40, s14, v38
	;; [unrolled: 1-line block ×4, first 2 shown]
	s_waitcnt lgkmcnt(0)
	s_mul_i32 s7, s29, s26
	v_lshrrev_b32_e32 v2, s1, v2
	s_mul_i32 s15, s30, s25
	s_ashr_i32 s27, s7, 31
	s_add_u32 s7, s8, s7
	s_addc_u32 s8, s9, s27
	v_mul_lo_u32 v2, v2, s2
	s_ashr_i32 s9, s15, 31
	s_add_u32 s7, s7, s15
	s_mov_b32 s26, s24
	s_addc_u32 s15, s8, s9
	s_ashr_i32 s27, s24, 31
	v_mul_hi_u32 v5, v40, s0
	s_lshr_b64 s[8:9], s[26:27], 2
	v_sub_nc_u32_e32 v2, v42, v2
	s_lshr_b32 s9, s27, 2
	v_mul_hi_u32 v13, v39, s0
	v_mul_hi_u32 v15, v36, s0
	v_add_nc_u32_e32 v35, s14, v33
	v_mad_u64_u32 v[3:4], null, s8, v2, 0
	v_add_nc_u32_e32 v6, v40, v5
	s_mov_b32 s26, s25
	s_ashr_i32 s27, s25, 31
	v_add_nc_u32_e32 v13, v39, v13
	v_add_nc_u32_e32 v15, v36, v15
	s_and_b32 s38, s25, -4
	v_mad_u64_u32 v[4:5], null, s9, v2, v[4:5]
	v_lshrrev_b32_e32 v5, s1, v6
	v_lshrrev_b32_e32 v13, s1, v13
	s_lshr_b64 s[24:25], s[26:27], 2
	v_mul_hi_u32 v17, v35, s0
	s_add_u32 s38, s7, s38
	v_mul_lo_u32 v5, v5, s2
	v_lshlrev_b64 v[3:4], 2, v[3:4]
	v_mul_lo_u32 v16, v13, s2
	s_mul_i32 s40, s27, 12
	s_addc_u32 s41, s15, s27
	s_lshl_b64 s[26:27], s[24:25], 3
	s_mul_hi_u32 s25, s24, 12
	s_add_u32 s26, s7, s26
	v_sub_nc_u32_e32 v14, v40, v5
	v_add_co_u32 v5, vcc_lo, s7, v3
	v_add_co_ci_u32_e64 v6, null, s15, v4, vcc_lo
	v_mad_u64_u32 v[11:12], null, s8, v14, 0
	v_add_co_u32 v7, vcc_lo, s38, v3
	s_addc_u32 s27, s15, s27
	v_add_co_ci_u32_e64 v8, null, s41, v4, vcc_lo
	v_add_co_u32 v9, vcc_lo, s26, v3
	v_mad_u64_u32 v[12:13], null, s9, v14, v[12:13]
	v_lshrrev_b32_e32 v13, s1, v15
	v_add_co_ci_u32_e64 v10, null, s27, v4, vcc_lo
	v_add_co_u32 v5, vcc_lo, v5, v26
	v_sub_nc_u32_e32 v18, v39, v16
	v_add_nc_u32_e32 v16, v35, v17
	v_mul_lo_u32 v17, v13, s2
	v_add_co_ci_u32_e64 v6, null, 0, v6, vcc_lo
	v_add_co_u32 v7, vcc_lo, v7, v26
	s_mul_i32 s24, s24, 12
	s_add_i32 s25, s25, s40
	v_add_co_ci_u32_e64 v8, null, 0, v8, vcc_lo
	v_add_co_u32 v9, vcc_lo, v9, v26
	s_add_u32 s24, s7, s24
	v_add_co_ci_u32_e64 v10, null, 0, v10, vcc_lo
	s_addc_u32 s25, s15, s25
	v_add_co_u32 v14, vcc_lo, s24, v3
	v_add_co_ci_u32_e64 v15, null, s25, v4, vcc_lo
	v_lshrrev_b32_e32 v16, s1, v16
	v_sub_nc_u32_e32 v21, v36, v17
	v_mad_u64_u32 v[3:4], null, s8, v18, 0
	v_lshlrev_b64 v[11:12], 2, v[11:12]
	v_add_co_u32 v13, vcc_lo, v14, v26
	v_add_co_ci_u32_e64 v14, null, 0, v15, vcc_lo
	v_mul_lo_u32 v17, v16, s2
	v_mad_u64_u32 v[15:16], null, s8, v21, 0
	v_add_co_u32 v19, vcc_lo, s7, v11
	v_add_co_ci_u32_e64 v20, null, s15, v12, vcc_lo
	v_mad_u64_u32 v[11:12], null, s9, v18, v[4:5]
	v_mov_b32_e32 v12, v16
	v_sub_nc_u32_e32 v22, v35, v17
	v_add_co_u32 v19, vcc_lo, v19, v26
	v_add_co_ci_u32_e64 v20, null, 0, v20, vcc_lo
	v_mov_b32_e32 v4, v11
	v_mad_u64_u32 v[11:12], null, s9, v21, v[12:13]
	s_clause 0x3
	global_load_dwordx2 v[5:6], v[5:6], off
	global_load_dwordx2 v[7:8], v[7:8], off
	;; [unrolled: 1-line block ×4, first 2 shown]
	v_mad_u64_u32 v[17:18], null, s8, v22, 0
	v_lshlrev_b64 v[3:4], 2, v[3:4]
	global_load_dwordx2 v[19:20], v[19:20], off
	s_load_dword s7, s[4:5], 0x40
	v_mov_b32_e32 v16, v11
	s_cmp_eq_u64 s[18:19], 0
	v_mov_b32_e32 v12, v18
	v_add_co_u32 v11, vcc_lo, s38, v3
	s_waitcnt vmcnt(4) lgkmcnt(0)
	v_fma_mixlo_f16 v6, s7, v6, 0
	s_waitcnt vmcnt(3)
	v_fma_mixlo_f16 v8, s7, v8, 0
	s_waitcnt vmcnt(2)
	;; [unrolled: 2-line block ×3, first 2 shown]
	v_mad_u64_u32 v[21:22], null, s9, v22, v[12:13]
	v_add_co_ci_u32_e64 v12, null, s41, v4, vcc_lo
	v_lshlrev_b64 v[3:4], 2, v[15:16]
	v_add_co_u32 v11, vcc_lo, v11, v26
	v_add_co_ci_u32_e64 v12, null, 0, v12, vcc_lo
	v_mov_b32_e32 v18, v21
	v_add_co_u32 v3, vcc_lo, s26, v3
	v_add_co_ci_u32_e64 v4, null, s27, v4, vcc_lo
	v_lshlrev_b64 v[15:16], 2, v[17:18]
	v_fma_mixlo_f16 v14, s7, v14, 0
	v_fma_mixlo_f16 v5, s7, v5, 0
	;; [unrolled: 1-line block ×4, first 2 shown]
	v_lshlrev_b32_e32 v6, 16, v6
	v_add_co_u32 v15, vcc_lo, s24, v15
	v_add_co_ci_u32_e64 v16, null, s25, v16, vcc_lo
	v_add_co_u32 v3, vcc_lo, v3, v26
	v_add_co_ci_u32_e64 v4, null, 0, v4, vcc_lo
	;; [unrolled: 2-line block ×3, first 2 shown]
	s_clause 0x2
	global_load_dwordx2 v[11:12], v[11:12], off
	global_load_dwordx2 v[17:18], v[3:4], off
	global_load_dwordx2 v[15:16], v[15:16], off
	v_lshlrev_b32_e32 v8, 16, v8
	v_lshlrev_b32_e32 v10, 16, v10
	v_fma_mixlo_f16 v13, s7, v13, 0
	v_lshlrev_b32_e32 v14, 16, v14
	v_lshl_or_b32 v4, v0, 2, 0x3400
	v_lshlrev_b32_e32 v3, 10, v1
	v_or_b32_sdwa v5, v6, v5 dst_sel:DWORD dst_unused:UNUSED_PAD src0_sel:DWORD src1_sel:WORD_0
	v_or_b32_sdwa v6, v8, v7 dst_sel:DWORD dst_unused:UNUSED_PAD src0_sel:DWORD src1_sel:WORD_0
	;; [unrolled: 1-line block ×3, first 2 shown]
	s_waitcnt vmcnt(3)
	v_fma_mixlo_f16 v10, s7, v20, 0
	v_or_b32_sdwa v8, v14, v13 dst_sel:DWORD dst_unused:UNUSED_PAD src0_sel:DWORD src1_sel:WORD_0
	v_add_nc_u32_e32 v21, v4, v3
	v_fma_mixlo_f16 v9, s7, v19, 0
	v_lshl_add_u32 v22, v23, 7, v4
	v_lshlrev_b32_e32 v10, 16, v10
	v_lshl_add_u32 v23, v24, 7, v4
	ds_write2_b32 v21, v5, v6 offset1:32
	v_lshl_add_u32 v24, v25, 7, v4
	v_lshl_add_u32 v4, v27, 7, v4
	v_or_b32_sdwa v5, v10, v9 dst_sel:DWORD dst_unused:UNUSED_PAD src0_sel:DWORD src1_sel:WORD_0
	s_waitcnt vmcnt(2)
	v_fma_mixlo_f16 v12, s7, v12, 0
	s_waitcnt vmcnt(1)
	v_fma_mixlo_f16 v14, s7, v18, 0
	;; [unrolled: 2-line block ×3, first 2 shown]
	v_fma_mixlo_f16 v11, s7, v11, 0
	v_fma_mixlo_f16 v13, s7, v17, 0
	v_lshlrev_b32_e32 v12, 16, v12
	v_lshlrev_b32_e32 v14, 16, v14
	v_fma_mixlo_f16 v15, s7, v15, 0
	v_lshlrev_b32_e32 v16, 16, v16
	v_or_b32_sdwa v6, v12, v11 dst_sel:DWORD dst_unused:UNUSED_PAD src0_sel:DWORD src1_sel:WORD_0
	v_or_b32_sdwa v9, v14, v13 dst_sel:DWORD dst_unused:UNUSED_PAD src0_sel:DWORD src1_sel:WORD_0
	;; [unrolled: 1-line block ×3, first 2 shown]
	ds_write2_b32 v21, v7, v8 offset0:64 offset1:96
	ds_write_b32 v22, v5
	ds_write_b32 v23, v6
	;; [unrolled: 1-line block ×4, first 2 shown]
	s_waitcnt lgkmcnt(0)
	s_barrier
	buffer_gl0_inv
	s_cbranch_scc1 .LBB21_4
; %bb.3:
	s_load_dword s7, s[4:5], 0xd0
	s_waitcnt lgkmcnt(0)
	s_mul_i32 s7, s7, s29
	s_add_i32 s6, s7, s6
	s_mov_b32 s7, 0
	s_lshl_b64 s[6:7], s[6:7], 2
	s_add_u32 s6, s18, s6
	s_addc_u32 s7, s19, s7
	s_load_dword s34, s[6:7], 0x0
.LBB21_4:
	v_mbcnt_lo_u32_b32 v44, -1, 0
	s_lshl_b32 s15, s28, 6
	s_waitcnt lgkmcnt(0)
	s_cmp_lt_i32 s15, s34
	s_cbranch_scc1 .LBB21_7
; %bb.5:
	v_mbcnt_lo_u32_b32 v9, -1, 0
	v_mov_b32_e32 v43, 32
	v_xor_b32_e32 v50, 16, v9
	v_xor_b32_e32 v48, 8, v9
	;; [unrolled: 1-line block ×5, first 2 shown]
	s_cbranch_execz .LBB21_8
; %bb.6:
	v_mov_b32_e32 v83, 0
	v_mov_b32_e32 v49, 0
	;; [unrolled: 1-line block ×24, first 2 shown]
	s_branch .LBB21_11
.LBB21_7:
                                        ; implicit-def: $vgpr9
                                        ; implicit-def: $vgpr43
                                        ; implicit-def: $vgpr50
                                        ; implicit-def: $vgpr48
                                        ; implicit-def: $vgpr47
                                        ; implicit-def: $vgpr46
                                        ; implicit-def: $vgpr45
.LBB21_8:
	s_clause 0x1
	s_load_dwordx4 s[24:27], s[4:5], 0x98
	s_load_dwordx2 s[6:7], s[4:5], 0x8c
	s_sub_i32 s8, 0, s31
	s_ashr_i32 s40, s29, 31
	s_mul_i32 s8, s8, s35
	s_abs_i32 s19, s30
	s_mul_hi_u32 s18, s35, s8
	s_ashr_i32 s38, s30, 31
	s_add_i32 s35, s35, s18
	s_ashr_i32 s33, s33, 31
	s_mul_hi_u32 s35, s19, s35
	s_load_dwordx2 s[8:9], s[4:5], 0xa8
	s_ashr_i32 s39, s39, 1
	s_mul_i32 s41, s35, s31
	v_lshrrev_b32_e32 v4, 3, v0
	v_add3_u32 v8, s14, v41, 1
	v_lshlrev_b32_e32 v51, 2, v0
	v_mul_lo_u32 v58, v2, s39
	v_add_nc_u32_e32 v56, 0x3400, v3
	v_lshl_add_u32 v1, v1, 2, v4
	s_waitcnt lgkmcnt(0)
	s_ashr_i32 s18, s26, 2
	s_mul_hi_u32 s26, s24, s29
	s_mul_i32 s42, s24, s40
	s_mul_i32 s25, s25, s29
	s_add_i32 s26, s26, s42
	s_mul_i32 s24, s24, s29
	s_ashr_i32 s6, s6, 2
	s_add_i32 s26, s26, s25
	s_add_u32 s10, s10, s24
	s_addc_u32 s11, s11, s26
	s_sub_i32 s19, s19, s41
	s_xor_b32 s24, s38, s33
	s_add_i32 s25, s35, 1
	s_sub_i32 s26, s19, s31
	s_cmp_ge_u32 s19, s31
	v_mul_lo_u32 v4, s6, v1
	s_cselect_b32 s25, s25, s35
	s_cselect_b32 s19, s26, s19
	s_add_i32 s26, s25, 1
	s_cmp_ge_u32 s19, s31
	v_mul_hi_u32 v5, s0, v8
	s_cselect_b32 s19, s26, s25
	s_mul_hi_u32 s25, s8, s29
	s_xor_b32 s19, s19, s24
	s_mul_i32 s26, s9, s29
	s_sub_i32 s19, s19, s24
	s_mul_i32 s24, s8, s40
	s_mul_i32 s7, s19, s7
	;; [unrolled: 1-line block ×3, first 2 shown]
	s_ashr_i32 s9, s7, 31
	s_add_u32 s7, s10, s7
	s_addc_u32 s9, s11, s9
	s_add_i32 s10, s25, s24
	s_mul_i32 s19, s19, s27
	s_add_i32 s10, s10, s26
	s_add_u32 s8, s12, s8
	s_addc_u32 s10, s13, s10
	s_ashr_i32 s0, s19, 31
	s_add_u32 s8, s8, s19
	s_addc_u32 s10, s10, s0
	s_lshl_b32 s0, s6, 4
	v_mul_lo_u32 v17, s18, v1
	v_add_nc_u32_e32 v6, s0, v4
	v_add_nc_u32_e32 v5, v8, v5
	v_and_b32_e32 v11, 28, v51
	v_add_nc_u32_e32 v61, 0x2400, v3
	v_mov_b32_e32 v27, 0
	v_add_nc_u32_e32 v13, s0, v6
	v_lshrrev_b32_e32 v7, s1, v5
	v_lshlrev_b32_e32 v9, 2, v11
	v_ashrrev_i32_e32 v5, 31, v4
	v_ashrrev_i32_e32 v18, 31, v17
	v_add_nc_u32_e32 v15, s0, v13
	s_lshl_b32 s0, s18, 4
	v_mul_lo_u32 v10, v7, s2
	v_add_nc_u32_e32 v19, s0, v17
	v_ashrrev_i32_e32 v7, 31, v6
	v_ashrrev_i32_e32 v14, 31, v13
	;; [unrolled: 1-line block ×3, first 2 shown]
	v_mad_u32_u24 v52, 0x90, v1, v9
	v_add_nc_u32_e32 v2, s0, v19
	v_ashrrev_i32_e32 v20, 31, v19
	v_sub_nc_u32_e32 v8, v8, v10
	v_lshl_or_b32 v60, v1, 7, v9
	v_lshlrev_b64 v[9:10], 2, v[4:5]
	v_add_nc_u32_e32 v23, s0, v2
	v_ashrrev_i32_e32 v3, 31, v2
	v_mul_lo_u32 v59, v8, s39
	v_lshlrev_b32_e32 v8, 4, v0
	v_lshlrev_b32_e32 v65, 2, v11
	v_ashrrev_i32_e32 v24, 31, v23
	v_lshlrev_b64 v[11:12], 2, v[6:7]
	v_lshlrev_b64 v[13:14], 2, v[13:14]
	;; [unrolled: 1-line block ×7, first 2 shown]
	v_add_nc_u32_e32 v53, 0x900, v52
	v_add_nc_u32_e32 v54, 0x1200, v52
	;; [unrolled: 1-line block ×3, first 2 shown]
	v_mul_u32_u24_e32 v57, 0x90, v0
	v_add_nc_u32_e32 v62, 0x800, v60
	v_add_nc_u32_e32 v63, 0x1000, v60
	;; [unrolled: 1-line block ×3, first 2 shown]
	v_mov_b32_e32 v1, 0xfeffffff
	v_mov_b32_e32 v43, 32
	v_xor_b32_e32 v50, 16, v44
	v_xor_b32_e32 v48, 8, v44
	;; [unrolled: 1-line block ×5, first 2 shown]
	v_add_nc_u32_e32 v66, v61, v8
	v_mov_b32_e32 v67, 0x10001
	v_add_nc_u32_e32 v68, 0x400, v51
	v_add_nc_u32_e32 v69, 0x800, v51
	v_add_nc_u32_e32 v70, 0xc00, v51
	v_add_nc_u32_e32 v71, 0x1000, v51
	v_add_nc_u32_e32 v72, 0x1400, v51
	v_add_nc_u32_e32 v73, 0x1800, v51
	v_add_nc_u32_e32 v74, 0x1c00, v51
	v_mov_b32_e32 v28, 0
	v_mov_b32_e32 v29, 0
	;; [unrolled: 1-line block ×22, first 2 shown]
	s_add_u32 s0, s4, 0xd0
	s_addc_u32 s1, s5, 0
.LBB21_9:                               ; =>This Inner Loop Header: Depth=1
	s_mul_hi_i32 s13, s15, s6
	s_mul_i32 s12, s15, s6
	v_mov_b32_e32 v25, v81
	s_lshl_b64 s[12:13], s[12:13], 2
	v_mov_b32_e32 v81, v80
	s_add_u32 s11, s7, s12
	v_mov_b32_e32 v80, v79
	v_mov_b32_e32 v79, v78
	v_mov_b32_e32 v78, v77
	v_mov_b32_e32 v77, v76
	v_mov_b32_e32 v76, v75
	v_mov_b32_e32 v75, v1
	s_addc_u32 s12, s9, s13
	v_add_co_u32 v1, vcc_lo, s11, v9
	v_mov_b32_e32 v89, v2
	v_add_co_ci_u32_e64 v2, null, s12, v10, vcc_lo
	v_add_co_u32 v1, vcc_lo, v1, v65
	v_mov_b32_e32 v87, v4
	v_add_co_ci_u32_e64 v2, null, 0, v2, vcc_lo
	v_mov_b32_e32 v88, v3
	v_mov_b32_e32 v86, v5
	;; [unrolled: 1-line block ×3, first 2 shown]
	global_load_dwordx4 v[1:4], v[1:2], off
	v_mov_b32_e32 v85, v6
	v_mov_b32_e32 v6, 0
	v_mov_b32_e32 v84, v7
	v_mov_b32_e32 v7, 0
	v_mov_b32_e32 v26, v8
	v_mov_b32_e32 v8, 0
	v_mov_b32_e32 v97, 0
	v_mov_b32_e32 v96, 0
	v_mov_b32_e32 v95, 0
	v_mov_b32_e32 v94, 0
	s_mul_hi_i32 s13, s15, s18
	s_waitcnt vmcnt(0)
	ds_write_b128 v52, v[1:4]
	v_add_co_u32 v1, vcc_lo, s11, v11
	v_add_co_ci_u32_e64 v2, null, s12, v12, vcc_lo
	v_add_co_u32 v1, vcc_lo, v1, v65
	v_add_co_ci_u32_e64 v2, null, 0, v2, vcc_lo
	global_load_dwordx4 v[1:4], v[1:2], off
	s_waitcnt vmcnt(0)
	ds_write_b128 v53, v[1:4]
	v_add_co_u32 v1, vcc_lo, s11, v13
	v_add_co_ci_u32_e64 v2, null, s12, v14, vcc_lo
	v_add_co_u32 v1, vcc_lo, v1, v65
	v_add_co_ci_u32_e64 v2, null, 0, v2, vcc_lo
	global_load_dwordx4 v[1:4], v[1:2], off
	s_waitcnt vmcnt(0)
	ds_write_b128 v54, v[1:4]
	v_add_co_u32 v1, vcc_lo, s11, v15
	v_add_co_ci_u32_e64 v2, null, s12, v16, vcc_lo
	s_mul_i32 s12, s15, s18
	v_add_co_u32 v1, vcc_lo, v1, v65
	v_add_co_ci_u32_e64 v2, null, 0, v2, vcc_lo
	v_cmp_gt_i32_e32 vcc_lo, 32, v50
	s_lshl_b64 s[12:13], s[12:13], 2
	global_load_dwordx4 v[1:4], v[1:2], off
	s_add_u32 s11, s8, s12
	s_addc_u32 s12, s10, s13
	s_waitcnt vmcnt(0)
	ds_write_b128 v55, v[1:4]
	s_waitcnt lgkmcnt(0)
	s_barrier
	buffer_gl0_inv
	ds_read_b128 v[90:93], v57
	ds_read_b128 v[98:101], v57 offset:4608
	ds_read_b128 v[102:105], v56
	ds_read_b128 v[106:109], v56 offset:128
	ds_read_b128 v[110:113], v56 offset:256
	;; [unrolled: 1-line block ×7, first 2 shown]
	v_mov_b32_e32 v1, 0
	s_waitcnt lgkmcnt(7)
	;;#ASMSTART
	v_dot2_f32_f16 v1, v90, v102, v1
	;;#ASMEND
	;;#ASMSTART
	v_dot2_f32_f16 v1, v91, v103, v1
	;;#ASMEND
	;;#ASMSTART
	v_dot2_f32_f16 v1, v92, v104, v1
	;;#ASMEND
	v_mov_b32_e32 v2, 0
	;;#ASMSTART
	v_dot2_f32_f16 v1, v93, v105, v1
	;;#ASMEND
	s_waitcnt lgkmcnt(6)
	;;#ASMSTART
	v_dot2_f32_f16 v2, v90, v106, v2
	;;#ASMEND
	;;#ASMSTART
	v_dot2_f32_f16 v2, v91, v107, v2
	;;#ASMEND
	;;#ASMSTART
	v_dot2_f32_f16 v2, v92, v108, v2
	;;#ASMEND
	v_mov_b32_e32 v3, 0
	;;#ASMSTART
	v_dot2_f32_f16 v2, v93, v109, v2
	;;#ASMEND
	s_waitcnt lgkmcnt(5)
	;;#ASMSTART
	v_dot2_f32_f16 v3, v90, v110, v3
	;;#ASMEND
	;;#ASMSTART
	v_dot2_f32_f16 v3, v91, v111, v3
	;;#ASMEND
	;;#ASMSTART
	v_dot2_f32_f16 v3, v92, v112, v3
	;;#ASMEND
	v_mov_b32_e32 v4, 0
	;;#ASMSTART
	v_dot2_f32_f16 v3, v93, v113, v3
	;;#ASMEND
	s_waitcnt lgkmcnt(4)
	;;#ASMSTART
	v_dot2_f32_f16 v4, v90, v114, v4
	;;#ASMEND
	;;#ASMSTART
	v_dot2_f32_f16 v4, v91, v115, v4
	;;#ASMEND
	;;#ASMSTART
	v_dot2_f32_f16 v4, v92, v116, v4
	;;#ASMEND
	;;#ASMSTART
	v_dot2_f32_f16 v4, v93, v117, v4
	;;#ASMEND
	s_waitcnt lgkmcnt(3)
	;;#ASMSTART
	v_dot2_f32_f16 v5, v90, v118, v5
	;;#ASMEND
	;;#ASMSTART
	v_dot2_f32_f16 v5, v91, v119, v5
	;;#ASMEND
	;;#ASMSTART
	v_dot2_f32_f16 v5, v92, v120, v5
	;;#ASMEND
	;;#ASMSTART
	v_dot2_f32_f16 v5, v93, v121, v5
	;;#ASMEND
	;; [unrolled: 13-line block ×5, first 2 shown]
	;;#ASMSTART
	v_dot2_f32_f16 v97, v98, v102, v97
	;;#ASMEND
	;;#ASMSTART
	v_dot2_f32_f16 v97, v99, v103, v97
	;;#ASMEND
	;; [unrolled: 3-line block ×15, first 2 shown]
	v_mov_b32_e32 v93, 0
	;;#ASMSTART
	v_dot2_f32_f16 v94, v101, v117, v94
	;;#ASMEND
	;;#ASMSTART
	v_dot2_f32_f16 v93, v98, v118, v93
	;;#ASMEND
	;;#ASMSTART
	v_dot2_f32_f16 v93, v99, v119, v93
	;;#ASMEND
	;;#ASMSTART
	v_dot2_f32_f16 v93, v100, v120, v93
	;;#ASMEND
	v_mov_b32_e32 v92, 0
	;;#ASMSTART
	v_dot2_f32_f16 v93, v101, v121, v93
	;;#ASMEND
	;;#ASMSTART
	v_dot2_f32_f16 v92, v98, v122, v92
	;;#ASMEND
	;;#ASMSTART
	v_dot2_f32_f16 v92, v99, v123, v92
	;;#ASMEND
	;;#ASMSTART
	v_dot2_f32_f16 v92, v100, v124, v92
	;;#ASMEND
	;; [unrolled: 13-line block ×4, first 2 shown]
	;;#ASMSTART
	v_dot2_f32_f16 v90, v101, v133, v90
	;;#ASMEND
	ds_read_b128 v[98:101], v57 offset:16
	ds_read_b128 v[102:105], v57 offset:4624
	;; [unrolled: 1-line block ×10, first 2 shown]
	s_waitcnt lgkmcnt(7)
	;;#ASMSTART
	v_dot2_f32_f16 v1, v98, v106, v1
	;;#ASMEND
	;;#ASMSTART
	v_dot2_f32_f16 v1, v99, v107, v1
	;;#ASMEND
	;;#ASMSTART
	v_dot2_f32_f16 v1, v100, v108, v1
	;;#ASMEND
	;;#ASMSTART
	v_dot2_f32_f16 v1, v101, v109, v1
	;;#ASMEND
	s_waitcnt lgkmcnt(6)
	;;#ASMSTART
	v_dot2_f32_f16 v2, v98, v110, v2
	;;#ASMEND
	;;#ASMSTART
	v_dot2_f32_f16 v2, v99, v111, v2
	;;#ASMEND
	;;#ASMSTART
	v_dot2_f32_f16 v2, v100, v112, v2
	;;#ASMEND
	;;#ASMSTART
	v_dot2_f32_f16 v2, v101, v113, v2
	;;#ASMEND
	;; [unrolled: 13-line block ×8, first 2 shown]
	;;#ASMSTART
	v_dot2_f32_f16 v97, v102, v106, v97
	;;#ASMEND
	;;#ASMSTART
	v_dot2_f32_f16 v97, v103, v107, v97
	;;#ASMEND
	;; [unrolled: 3-line block ×32, first 2 shown]
	ds_read_b128 v[98:101], v57 offset:32
	ds_read_b128 v[102:105], v57 offset:4640
	;; [unrolled: 1-line block ×10, first 2 shown]
	s_waitcnt lgkmcnt(7)
	;;#ASMSTART
	v_dot2_f32_f16 v1, v98, v106, v1
	;;#ASMEND
	;;#ASMSTART
	v_dot2_f32_f16 v1, v99, v107, v1
	;;#ASMEND
	;;#ASMSTART
	v_dot2_f32_f16 v1, v100, v108, v1
	;;#ASMEND
	;;#ASMSTART
	v_dot2_f32_f16 v1, v101, v109, v1
	;;#ASMEND
	s_waitcnt lgkmcnt(6)
	;;#ASMSTART
	v_dot2_f32_f16 v2, v98, v110, v2
	;;#ASMEND
	;;#ASMSTART
	v_dot2_f32_f16 v2, v99, v111, v2
	;;#ASMEND
	;;#ASMSTART
	v_dot2_f32_f16 v2, v100, v112, v2
	;;#ASMEND
	;;#ASMSTART
	v_dot2_f32_f16 v2, v101, v113, v2
	;;#ASMEND
	;; [unrolled: 13-line block ×8, first 2 shown]
	;;#ASMSTART
	v_dot2_f32_f16 v97, v102, v106, v97
	;;#ASMEND
	;;#ASMSTART
	v_dot2_f32_f16 v97, v103, v107, v97
	;;#ASMEND
	;; [unrolled: 3-line block ×32, first 2 shown]
	ds_read_b128 v[98:101], v57 offset:48
	ds_read_b128 v[102:105], v57 offset:4656
	;; [unrolled: 1-line block ×10, first 2 shown]
	s_waitcnt lgkmcnt(7)
	;;#ASMSTART
	v_dot2_f32_f16 v1, v98, v106, v1
	;;#ASMEND
	;;#ASMSTART
	v_dot2_f32_f16 v1, v99, v107, v1
	;;#ASMEND
	;;#ASMSTART
	v_dot2_f32_f16 v1, v100, v108, v1
	;;#ASMEND
	;;#ASMSTART
	v_dot2_f32_f16 v1, v101, v109, v1
	;;#ASMEND
	s_waitcnt lgkmcnt(6)
	;;#ASMSTART
	v_dot2_f32_f16 v2, v98, v110, v2
	;;#ASMEND
	;;#ASMSTART
	v_dot2_f32_f16 v2, v99, v111, v2
	;;#ASMEND
	;;#ASMSTART
	v_dot2_f32_f16 v2, v100, v112, v2
	;;#ASMEND
	;;#ASMSTART
	v_dot2_f32_f16 v2, v101, v113, v2
	;;#ASMEND
	;; [unrolled: 13-line block ×8, first 2 shown]
	;;#ASMSTART
	v_dot2_f32_f16 v97, v102, v106, v97
	;;#ASMEND
	;;#ASMSTART
	v_dot2_f32_f16 v97, v103, v107, v97
	;;#ASMEND
	;; [unrolled: 3-line block ×32, first 2 shown]
	ds_read_b128 v[98:101], v57 offset:64
	ds_read_b128 v[102:105], v57 offset:4672
	;; [unrolled: 1-line block ×10, first 2 shown]
	s_waitcnt lgkmcnt(7)
	;;#ASMSTART
	v_dot2_f32_f16 v1, v98, v106, v1
	;;#ASMEND
	;;#ASMSTART
	v_dot2_f32_f16 v1, v99, v107, v1
	;;#ASMEND
	;;#ASMSTART
	v_dot2_f32_f16 v1, v100, v108, v1
	;;#ASMEND
	;;#ASMSTART
	v_dot2_f32_f16 v1, v101, v109, v1
	;;#ASMEND
	s_waitcnt lgkmcnt(6)
	;;#ASMSTART
	v_dot2_f32_f16 v2, v98, v110, v2
	;;#ASMEND
	;;#ASMSTART
	v_dot2_f32_f16 v2, v99, v111, v2
	;;#ASMEND
	;;#ASMSTART
	v_dot2_f32_f16 v2, v100, v112, v2
	;;#ASMEND
	;;#ASMSTART
	v_dot2_f32_f16 v2, v101, v113, v2
	;;#ASMEND
	;; [unrolled: 13-line block ×8, first 2 shown]
	;;#ASMSTART
	v_dot2_f32_f16 v97, v102, v106, v97
	;;#ASMEND
	;;#ASMSTART
	v_dot2_f32_f16 v97, v103, v107, v97
	;;#ASMEND
	;;#ASMSTART
	v_dot2_f32_f16 v97, v104, v108, v97
	;;#ASMEND
	;;#ASMSTART
	v_dot2_f32_f16 v97, v105, v109, v97
	;;#ASMEND
	;;#ASMSTART
	v_dot2_f32_f16 v96, v102, v110, v96
	;;#ASMEND
	;;#ASMSTART
	v_dot2_f32_f16 v96, v103, v111, v96
	;;#ASMEND
	;;#ASMSTART
	v_dot2_f32_f16 v96, v104, v112, v96
	;;#ASMEND
	;;#ASMSTART
	v_dot2_f32_f16 v96, v105, v113, v96
	;;#ASMEND
	;;#ASMSTART
	v_dot2_f32_f16 v95, v102, v114, v95
	;;#ASMEND
	;;#ASMSTART
	v_dot2_f32_f16 v95, v103, v115, v95
	;;#ASMEND
	;;#ASMSTART
	v_dot2_f32_f16 v95, v104, v116, v95
	;;#ASMEND
	;;#ASMSTART
	v_dot2_f32_f16 v95, v105, v117, v95
	;;#ASMEND
	;;#ASMSTART
	v_dot2_f32_f16 v94, v102, v118, v94
	;;#ASMEND
	;;#ASMSTART
	v_dot2_f32_f16 v94, v103, v119, v94
	;;#ASMEND
	;;#ASMSTART
	v_dot2_f32_f16 v94, v104, v120, v94
	;;#ASMEND
	;;#ASMSTART
	v_dot2_f32_f16 v94, v105, v121, v94
	;;#ASMEND
	;;#ASMSTART
	v_dot2_f32_f16 v93, v102, v122, v93
	;;#ASMEND
	;;#ASMSTART
	v_dot2_f32_f16 v93, v103, v123, v93
	;;#ASMEND
	;;#ASMSTART
	v_dot2_f32_f16 v93, v104, v124, v93
	;;#ASMEND
	;;#ASMSTART
	v_dot2_f32_f16 v93, v105, v125, v93
	;;#ASMEND
	;;#ASMSTART
	v_dot2_f32_f16 v92, v102, v126, v92
	;;#ASMEND
	;;#ASMSTART
	v_dot2_f32_f16 v92, v103, v127, v92
	;;#ASMEND
	;;#ASMSTART
	v_dot2_f32_f16 v92, v104, v128, v92
	;;#ASMEND
	;;#ASMSTART
	v_dot2_f32_f16 v92, v105, v129, v92
	;;#ASMEND
	;;#ASMSTART
	v_dot2_f32_f16 v91, v102, v130, v91
	;;#ASMEND
	;;#ASMSTART
	v_dot2_f32_f16 v91, v103, v131, v91
	;;#ASMEND
	;;#ASMSTART
	v_dot2_f32_f16 v91, v104, v132, v91
	;;#ASMEND
	;;#ASMSTART
	v_dot2_f32_f16 v91, v105, v133, v91
	;;#ASMEND
	;;#ASMSTART
	v_dot2_f32_f16 v90, v102, v134, v90
	;;#ASMEND
	;;#ASMSTART
	v_dot2_f32_f16 v90, v103, v135, v90
	;;#ASMEND
	;;#ASMSTART
	v_dot2_f32_f16 v90, v104, v136, v90
	;;#ASMEND
	;;#ASMSTART
	v_dot2_f32_f16 v90, v105, v137, v90
	;;#ASMEND
	ds_read_b128 v[98:101], v57 offset:80
	ds_read_b128 v[102:105], v57 offset:4688
	;; [unrolled: 1-line block ×10, first 2 shown]
	s_waitcnt lgkmcnt(7)
	;;#ASMSTART
	v_dot2_f32_f16 v1, v98, v106, v1
	;;#ASMEND
	;;#ASMSTART
	v_dot2_f32_f16 v1, v99, v107, v1
	;;#ASMEND
	;;#ASMSTART
	v_dot2_f32_f16 v1, v100, v108, v1
	;;#ASMEND
	;;#ASMSTART
	v_dot2_f32_f16 v1, v101, v109, v1
	;;#ASMEND
	s_waitcnt lgkmcnt(6)
	;;#ASMSTART
	v_dot2_f32_f16 v2, v98, v110, v2
	;;#ASMEND
	;;#ASMSTART
	v_dot2_f32_f16 v2, v99, v111, v2
	;;#ASMEND
	;;#ASMSTART
	v_dot2_f32_f16 v2, v100, v112, v2
	;;#ASMEND
	;;#ASMSTART
	v_dot2_f32_f16 v2, v101, v113, v2
	;;#ASMEND
	;; [unrolled: 13-line block ×8, first 2 shown]
	;;#ASMSTART
	v_dot2_f32_f16 v97, v102, v106, v97
	;;#ASMEND
	;;#ASMSTART
	v_dot2_f32_f16 v97, v103, v107, v97
	;;#ASMEND
	;; [unrolled: 3-line block ×32, first 2 shown]
	ds_read_b128 v[98:101], v57 offset:96
	ds_read_b128 v[102:105], v57 offset:4704
	;; [unrolled: 1-line block ×10, first 2 shown]
	s_waitcnt lgkmcnt(7)
	;;#ASMSTART
	v_dot2_f32_f16 v1, v98, v106, v1
	;;#ASMEND
	;;#ASMSTART
	v_dot2_f32_f16 v1, v99, v107, v1
	;;#ASMEND
	;;#ASMSTART
	v_dot2_f32_f16 v1, v100, v108, v1
	;;#ASMEND
	;;#ASMSTART
	v_dot2_f32_f16 v1, v101, v109, v1
	;;#ASMEND
	s_waitcnt lgkmcnt(6)
	;;#ASMSTART
	v_dot2_f32_f16 v2, v98, v110, v2
	;;#ASMEND
	;;#ASMSTART
	v_dot2_f32_f16 v2, v99, v111, v2
	;;#ASMEND
	;;#ASMSTART
	v_dot2_f32_f16 v2, v100, v112, v2
	;;#ASMEND
	;;#ASMSTART
	v_dot2_f32_f16 v2, v101, v113, v2
	;;#ASMEND
	s_waitcnt lgkmcnt(5)
	;;#ASMSTART
	v_dot2_f32_f16 v3, v98, v114, v3
	;;#ASMEND
	;;#ASMSTART
	v_dot2_f32_f16 v3, v99, v115, v3
	;;#ASMEND
	;;#ASMSTART
	v_dot2_f32_f16 v3, v100, v116, v3
	;;#ASMEND
	;;#ASMSTART
	v_dot2_f32_f16 v3, v101, v117, v3
	;;#ASMEND
	s_waitcnt lgkmcnt(4)
	;;#ASMSTART
	v_dot2_f32_f16 v4, v98, v118, v4
	;;#ASMEND
	;;#ASMSTART
	v_dot2_f32_f16 v4, v99, v119, v4
	;;#ASMEND
	;;#ASMSTART
	v_dot2_f32_f16 v4, v100, v120, v4
	;;#ASMEND
	;;#ASMSTART
	v_dot2_f32_f16 v4, v101, v121, v4
	;;#ASMEND
	s_waitcnt lgkmcnt(3)
	;;#ASMSTART
	v_dot2_f32_f16 v5, v98, v122, v5
	;;#ASMEND
	;;#ASMSTART
	v_dot2_f32_f16 v5, v99, v123, v5
	;;#ASMEND
	;;#ASMSTART
	v_dot2_f32_f16 v5, v100, v124, v5
	;;#ASMEND
	;;#ASMSTART
	v_dot2_f32_f16 v5, v101, v125, v5
	;;#ASMEND
	s_waitcnt lgkmcnt(2)
	;;#ASMSTART
	v_dot2_f32_f16 v6, v98, v126, v6
	;;#ASMEND
	;;#ASMSTART
	v_dot2_f32_f16 v6, v99, v127, v6
	;;#ASMEND
	;;#ASMSTART
	v_dot2_f32_f16 v6, v100, v128, v6
	;;#ASMEND
	;;#ASMSTART
	v_dot2_f32_f16 v6, v101, v129, v6
	;;#ASMEND
	s_waitcnt lgkmcnt(1)
	;;#ASMSTART
	v_dot2_f32_f16 v7, v98, v130, v7
	;;#ASMEND
	;;#ASMSTART
	v_dot2_f32_f16 v7, v99, v131, v7
	;;#ASMEND
	;;#ASMSTART
	v_dot2_f32_f16 v7, v100, v132, v7
	;;#ASMEND
	;;#ASMSTART
	v_dot2_f32_f16 v7, v101, v133, v7
	;;#ASMEND
	s_waitcnt lgkmcnt(0)
	;;#ASMSTART
	v_dot2_f32_f16 v8, v98, v134, v8
	;;#ASMEND
	;;#ASMSTART
	v_dot2_f32_f16 v8, v99, v135, v8
	;;#ASMEND
	;;#ASMSTART
	v_dot2_f32_f16 v8, v100, v136, v8
	;;#ASMEND
	;;#ASMSTART
	v_dot2_f32_f16 v8, v101, v137, v8
	;;#ASMEND
	;;#ASMSTART
	v_dot2_f32_f16 v97, v102, v106, v97
	;;#ASMEND
	;;#ASMSTART
	v_dot2_f32_f16 v97, v103, v107, v97
	;;#ASMEND
	;; [unrolled: 3-line block ×32, first 2 shown]
	ds_read_b128 v[98:101], v57 offset:112
	ds_read_b128 v[102:105], v57 offset:4720
	;; [unrolled: 1-line block ×10, first 2 shown]
	s_waitcnt lgkmcnt(7)
	;;#ASMSTART
	v_dot2_f32_f16 v1, v98, v106, v1
	;;#ASMEND
	;;#ASMSTART
	v_dot2_f32_f16 v1, v99, v107, v1
	;;#ASMEND
	;;#ASMSTART
	v_dot2_f32_f16 v1, v100, v108, v1
	;;#ASMEND
	;;#ASMSTART
	v_dot2_f32_f16 v1, v101, v109, v1
	;;#ASMEND
	s_waitcnt lgkmcnt(6)
	;;#ASMSTART
	v_dot2_f32_f16 v2, v98, v110, v2
	;;#ASMEND
	;;#ASMSTART
	v_dot2_f32_f16 v2, v99, v111, v2
	;;#ASMEND
	;;#ASMSTART
	v_dot2_f32_f16 v2, v100, v112, v2
	;;#ASMEND
	;;#ASMSTART
	v_dot2_f32_f16 v2, v101, v113, v2
	;;#ASMEND
	;; [unrolled: 13-line block ×8, first 2 shown]
	;;#ASMSTART
	v_dot2_f32_f16 v97, v102, v106, v97
	;;#ASMEND
	;;#ASMSTART
	v_dot2_f32_f16 v97, v103, v107, v97
	;;#ASMEND
	;; [unrolled: 3-line block ×25, first 2 shown]
	v_cndmask_b32_e32 v98, v44, v50, vcc_lo
	v_cmp_gt_i32_e32 vcc_lo, 32, v48
	;;#ASMSTART
	v_dot2_f32_f16 v91, v103, v131, v91
	;;#ASMEND
	;;#ASMSTART
	v_dot2_f32_f16 v91, v104, v132, v91
	;;#ASMEND
	;; [unrolled: 3-line block ×6, first 2 shown]
	v_lshlrev_b32_e32 v104, 2, v98
	v_cndmask_b32_e32 v98, v44, v48, vcc_lo
	v_cmp_gt_i32_e32 vcc_lo, 32, v47
	;;#ASMSTART
	v_dot2_f32_f16 v90, v105, v137, v90
	;;#ASMEND
	v_add_nc_u32_e32 v100, s15, v0
	v_lshlrev_b32_e32 v105, 2, v98
	v_cndmask_b32_e32 v98, v44, v47, vcc_lo
	v_cmp_gt_i32_e32 vcc_lo, 32, v46
	v_lshlrev_b32_e32 v106, 2, v98
	v_cndmask_b32_e32 v98, v44, v46, vcc_lo
	v_cmp_gt_i32_e32 vcc_lo, 32, v45
	v_lshlrev_b32_e32 v107, 2, v98
	v_cndmask_b32_e32 v98, v44, v45, vcc_lo
	v_lshlrev_b32_e32 v108, 2, v98
	v_add_nc_u32_e32 v98, v100, v58
	v_ashrrev_i32_e32 v99, 31, v98
	v_lshlrev_b64 v[98:99], 1, v[98:99]
	v_add_co_u32 v98, vcc_lo, s36, v98
	v_add_co_ci_u32_e64 v99, null, s37, v99, vcc_lo
	s_clause 0x1
	global_load_ushort v101, v[98:99], off
	global_load_ushort v98, v[98:99], off offset:64
	s_waitcnt vmcnt(1)
	v_cvt_f32_f16_e32 v101, v101
	s_waitcnt vmcnt(0)
	v_cvt_f32_f16_e32 v98, v98
	v_add_f32_e32 v109, v1, v101
	v_add_f32_e32 v110, v97, v98
	;; [unrolled: 1-line block ×11, first 2 shown]
	v_max3_f32 v1, v75, v1, v97
	v_add_f32_e32 v95, 0x40051340, v113
	v_add_f32_e32 v111, v2, v101
	v_max3_f32 v4, v87, v4, v94
	v_add_f32_e32 v96, v96, v98
	ds_bpermute_b32 v97, v104, v1
	v_max3_f32 v3, v88, v3, v95
	v_add_f32_e32 v2, 0x40051340, v111
	ds_bpermute_b32 v94, v104, v4
	ds_bpermute_b32 v95, v104, v3
	s_waitcnt lgkmcnt(2)
	v_max_f32_e32 v97, v97, v97
	s_waitcnt lgkmcnt(1)
	v_max_f32_e32 v94, v94, v94
	v_max_f32_e32 v1, v1, v97
	s_waitcnt lgkmcnt(0)
	v_max_f32_e32 v95, v95, v95
	v_max_f32_e32 v4, v4, v94
	ds_bpermute_b32 v97, v105, v1
	v_max_f32_e32 v3, v3, v95
	ds_bpermute_b32 v94, v105, v4
	ds_bpermute_b32 v95, v105, v3
	s_waitcnt lgkmcnt(2)
	v_max_f32_e32 v97, v97, v97
	s_waitcnt lgkmcnt(1)
	v_max_f32_e32 v94, v94, v94
	v_max_f32_e32 v1, v1, v97
	s_waitcnt lgkmcnt(0)
	v_max_f32_e32 v95, v95, v95
	v_max_f32_e32 v4, v4, v94
	ds_bpermute_b32 v97, v106, v1
	v_max_f32_e32 v3, v3, v95
	;; [unrolled: 12-line block ×4, first 2 shown]
	ds_bpermute_b32 v94, v108, v4
	ds_bpermute_b32 v95, v108, v3
	s_waitcnt lgkmcnt(2)
	v_max_f32_e32 v97, v97, v97
	s_waitcnt lgkmcnt(1)
	v_max_f32_e32 v94, v94, v94
	v_max_f32_e32 v1, v1, v97
	v_add_f32_e32 v97, 0x40051340, v96
	s_waitcnt lgkmcnt(0)
	v_max_f32_e32 v95, v95, v95
	v_max_f32_e32 v4, v4, v94
	v_add_nc_u32_e32 v94, v100, v59
	v_max3_f32 v2, v89, v2, v97
	v_max_f32_e32 v3, v3, v95
	v_sub_f32_e32 v87, v87, v4
	v_ashrrev_i32_e32 v95, 31, v94
	ds_bpermute_b32 v97, v104, v2
	v_sub_f32_e32 v88, v88, v3
	v_lshlrev_b64 v[94:95], 1, v[94:95]
	v_add_co_u32 v94, vcc_lo, s36, v94
	v_add_co_ci_u32_e64 v95, null, s37, v95, vcc_lo
	s_waitcnt lgkmcnt(0)
	v_max_f32_e32 v97, v97, v97
	v_max_f32_e32 v2, v2, v97
	ds_bpermute_b32 v97, v105, v2
	s_waitcnt lgkmcnt(0)
	v_max_f32_e32 v97, v97, v97
	v_max_f32_e32 v2, v2, v97
	ds_bpermute_b32 v97, v106, v2
	;; [unrolled: 4-line block ×4, first 2 shown]
	s_waitcnt lgkmcnt(0)
	v_max_f32_e32 v97, v97, v97
	v_max_f32_e32 v2, v2, v97
	s_clause 0x1
	global_load_ushort v97, v[94:95], off
	global_load_ushort v94, v[94:95], off offset:64
	s_waitcnt vmcnt(0)
	s_barrier
	v_sub_f32_e32 v89, v89, v2
	buffer_gl0_inv
	v_cvt_f32_f16_e32 v97, v97
	v_cvt_f32_f16_e32 v94, v94
	v_add_f32_e32 v100, v7, v97
	v_add_f32_e32 v99, v91, v94
	;; [unrolled: 1-line block ×11, first 2 shown]
	v_max3_f32 v7, v84, v7, v91
	v_add_f32_e32 v90, 0x40051340, v95
	v_add_f32_e32 v5, 0x40051340, v116
	;; [unrolled: 1-line block ×5, first 2 shown]
	ds_bpermute_b32 v91, v104, v7
	v_max3_f32 v8, v26, v8, v90
	v_max3_f32 v5, v86, v5, v93
	;; [unrolled: 1-line block ×3, first 2 shown]
	ds_bpermute_b32 v90, v104, v8
	ds_bpermute_b32 v93, v104, v5
	ds_bpermute_b32 v92, v104, v6
	s_waitcnt lgkmcnt(3)
	v_max_f32_e32 v91, v91, v91
	v_max_f32_e32 v7, v7, v91
	s_waitcnt lgkmcnt(2)
	v_max_f32_e32 v90, v90, v90
	s_waitcnt lgkmcnt(1)
	v_max_f32_e32 v93, v93, v93
	s_waitcnt lgkmcnt(0)
	v_max_f32_e32 v92, v92, v92
	ds_bpermute_b32 v91, v105, v7
	v_max_f32_e32 v8, v8, v90
	v_max_f32_e32 v5, v5, v93
	v_max_f32_e32 v6, v6, v92
	ds_bpermute_b32 v90, v105, v8
	ds_bpermute_b32 v93, v105, v5
	ds_bpermute_b32 v92, v105, v6
	s_waitcnt lgkmcnt(3)
	v_max_f32_e32 v91, v91, v91
	v_max_f32_e32 v7, v7, v91
	s_waitcnt lgkmcnt(2)
	v_max_f32_e32 v90, v90, v90
	s_waitcnt lgkmcnt(1)
	v_max_f32_e32 v93, v93, v93
	s_waitcnt lgkmcnt(0)
	v_max_f32_e32 v92, v92, v92
	ds_bpermute_b32 v91, v106, v7
	v_max_f32_e32 v8, v8, v90
	v_max_f32_e32 v5, v5, v93
	v_max_f32_e32 v6, v6, v92
	;; [unrolled: 16-line block ×4, first 2 shown]
	ds_bpermute_b32 v90, v108, v8
	ds_bpermute_b32 v93, v108, v5
	;; [unrolled: 1-line block ×3, first 2 shown]
	s_waitcnt lgkmcnt(3)
	v_max_f32_e32 v91, v91, v91
	v_max_f32_e32 v7, v7, v91
	s_waitcnt lgkmcnt(2)
	v_max_f32_e32 v90, v90, v90
	v_sub_f32_e32 v91, v75, v1
	v_sub_f32_e32 v75, v109, v1
	s_waitcnt lgkmcnt(1)
	v_max_f32_e32 v93, v93, v93
	s_waitcnt lgkmcnt(0)
	v_max_f32_e32 v92, v92, v92
	v_max_f32_e32 v8, v8, v90
	v_mul_f32_e32 v90, 0x3fb8aa3b, v75
	v_max_f32_e32 v5, v5, v93
	v_max_f32_e32 v6, v6, v92
	v_cmp_ngt_f32_e32 vcc_lo, 0xc2ce8ed0, v75
	v_fma_f32 v92, 0x3fb8aa3b, v75, -v90
	v_rndne_f32_e32 v93, v90
	v_sub_f32_e32 v86, v86, v5
	v_fmac_f32_e32 v92, 0x32a5705f, v75
	v_sub_f32_e32 v90, v90, v93
	v_add_f32_e32 v90, v90, v92
	v_cvt_i32_f32_e32 v92, v93
	v_exp_f32_e32 v90, v90
	v_ldexp_f32 v90, v90, v92
	v_cndmask_b32_e32 v90, 0, v90, vcc_lo
	v_cmp_nlt_f32_e32 vcc_lo, 0x42b17218, v75
	v_cndmask_b32_e32 v75, 0x7f800000, v90, vcc_lo
	v_sub_f32_e32 v90, v110, v1
	v_cvt_f16_f32_e32 v92, v75
	v_mul_f32_e32 v93, 0x3fb8aa3b, v90
	v_cmp_ngt_f32_e32 vcc_lo, 0xc2ce8ed0, v90
	v_fma_f32 v94, 0x3fb8aa3b, v90, -v93
	v_rndne_f32_e32 v98, v93
	v_fmac_f32_e32 v94, 0x32a5705f, v90
	v_sub_f32_e32 v93, v93, v98
	v_add_f32_e32 v93, v93, v94
	v_cvt_i32_f32_e32 v94, v98
	v_exp_f32_e32 v93, v93
	v_ldexp_f32 v93, v93, v94
	v_cndmask_b32_e32 v93, 0, v93, vcc_lo
	v_cmp_nlt_f32_e32 vcc_lo, 0x42b17218, v90
	v_cndmask_b32_e32 v90, 0x7f800000, v93, vcc_lo
	v_mul_f32_e32 v93, 0x3fb8aa3b, v91
	v_cmp_ngt_f32_e32 vcc_lo, 0xc2ce8ed0, v91
	v_add_f32_e32 v75, v75, v90
	v_fma_f32 v94, 0x3fb8aa3b, v91, -v93
	v_rndne_f32_e32 v98, v93
	v_cvt_f16_f32_e32 v90, v90
	v_fmac_f32_e32 v94, 0x32a5705f, v91
	v_sub_f32_e32 v93, v93, v98
	v_add_f32_e32 v93, v93, v94
	v_cvt_i32_f32_e32 v94, v98
	v_exp_f32_e32 v93, v93
	v_ldexp_f32 v93, v93, v94
	v_cndmask_b32_e32 v93, 0, v93, vcc_lo
	v_cmp_nlt_f32_e32 vcc_lo, 0x42b17218, v91
	v_cndmask_b32_e32 v91, 0x7f800000, v93, vcc_lo
	v_fmac_f32_e32 v75, v76, v91
	v_cvt_f16_f32_e32 v76, v91
	v_mul_u32_u24_sdwa v76, v76, v67 dst_sel:DWORD dst_unused:UNUSED_PAD src0_sel:WORD_0 src1_sel:DWORD
	v_pk_mul_f16 v83, v83, v76
	v_sub_f32_e32 v76, v111, v2
	v_mul_f32_e32 v91, 0x3fb8aa3b, v76
	v_cmp_ngt_f32_e32 vcc_lo, 0xc2ce8ed0, v76
	v_fma_f32 v93, 0x3fb8aa3b, v76, -v91
	v_rndne_f32_e32 v94, v91
	v_fmac_f32_e32 v93, 0x32a5705f, v76
	v_sub_f32_e32 v91, v91, v94
	v_add_f32_e32 v91, v91, v93
	v_cvt_i32_f32_e32 v93, v94
	v_exp_f32_e32 v91, v91
	v_ldexp_f32 v91, v91, v93
	v_cndmask_b32_e32 v91, 0, v91, vcc_lo
	v_cmp_nlt_f32_e32 vcc_lo, 0x42b17218, v76
	v_cndmask_b32_e32 v76, 0x7f800000, v91, vcc_lo
	v_sub_f32_e32 v91, v96, v2
	v_cvt_f16_f32_e32 v94, v76
	v_mul_f32_e32 v93, 0x3fb8aa3b, v91
	v_cmp_ngt_f32_e32 vcc_lo, 0xc2ce8ed0, v91
	v_fma_f32 v96, 0x3fb8aa3b, v91, -v93
	v_rndne_f32_e32 v98, v93
	v_fmac_f32_e32 v96, 0x32a5705f, v91
	v_sub_f32_e32 v93, v93, v98
	v_add_f32_e32 v93, v93, v96
	v_cvt_i32_f32_e32 v96, v98
	v_exp_f32_e32 v93, v93
	v_ldexp_f32 v93, v93, v96
	v_cndmask_b32_e32 v93, 0, v93, vcc_lo
	v_cmp_nlt_f32_e32 vcc_lo, 0x42b17218, v91
	v_cndmask_b32_e32 v91, 0x7f800000, v93, vcc_lo
	v_mul_f32_e32 v93, 0x3fb8aa3b, v89
	v_cmp_ngt_f32_e32 vcc_lo, 0xc2ce8ed0, v89
	v_add_f32_e32 v76, v76, v91
	v_fma_f32 v96, 0x3fb8aa3b, v89, -v93
	v_rndne_f32_e32 v98, v93
	v_cvt_f16_f32_e32 v91, v91
	v_fmac_f32_e32 v96, 0x32a5705f, v89
	v_sub_f32_e32 v93, v93, v98
	v_add_f32_e32 v93, v93, v96
	v_cvt_i32_f32_e32 v96, v98
	v_exp_f32_e32 v93, v93
	v_ldexp_f32 v93, v93, v96
	v_cndmask_b32_e32 v93, 0, v93, vcc_lo
	v_cmp_nlt_f32_e32 vcc_lo, 0x42b17218, v89
	v_cndmask_b32_e32 v89, 0x7f800000, v93, vcc_lo
	v_fmac_f32_e32 v76, v77, v89
	v_cvt_f16_f32_e32 v77, v89
	v_mul_u32_u24_sdwa v77, v77, v67 dst_sel:DWORD dst_unused:UNUSED_PAD src0_sel:WORD_0 src1_sel:DWORD
	v_pk_mul_f16 v82, v82, v77
	v_sub_f32_e32 v77, v112, v3
	v_mul_f32_e32 v89, 0x3fb8aa3b, v77
	v_cmp_ngt_f32_e32 vcc_lo, 0xc2ce8ed0, v77
	v_fma_f32 v93, 0x3fb8aa3b, v77, -v89
	v_rndne_f32_e32 v96, v89
	v_fmac_f32_e32 v93, 0x32a5705f, v77
	v_sub_f32_e32 v89, v89, v96
	v_add_f32_e32 v89, v89, v93
	v_cvt_i32_f32_e32 v93, v96
	v_exp_f32_e32 v89, v89
	v_ldexp_f32 v89, v89, v93
	v_cndmask_b32_e32 v89, 0, v89, vcc_lo
	v_cmp_nlt_f32_e32 vcc_lo, 0x42b17218, v77
	v_cndmask_b32_e32 v77, 0x7f800000, v89, vcc_lo
	v_sub_f32_e32 v89, v113, v3
	v_cvt_f16_f32_e32 v96, v77
	v_mul_f32_e32 v93, 0x3fb8aa3b, v89
	v_cmp_ngt_f32_e32 vcc_lo, 0xc2ce8ed0, v89
	v_fma_f32 v98, 0x3fb8aa3b, v89, -v93
	v_rndne_f32_e32 v104, v93
	v_fmac_f32_e32 v98, 0x32a5705f, v89
	v_sub_f32_e32 v93, v93, v104
	v_add_f32_e32 v93, v93, v98
	v_cvt_i32_f32_e32 v98, v104
	v_exp_f32_e32 v93, v93
	v_ldexp_f32 v93, v93, v98
	v_cndmask_b32_e32 v93, 0, v93, vcc_lo
	v_cmp_nlt_f32_e32 vcc_lo, 0x42b17218, v89
	v_cndmask_b32_e32 v89, 0x7f800000, v93, vcc_lo
	v_cmp_ngt_f32_e32 vcc_lo, 0xc2ce8ed0, v88
	v_add_f32_e32 v77, v77, v89
	v_cvt_f16_f32_e32 v93, v89
	v_mul_f32_e32 v89, 0x3fb8aa3b, v88
	v_fma_f32 v98, 0x3fb8aa3b, v88, -v89
	v_rndne_f32_e32 v104, v89
	v_fmac_f32_e32 v98, 0x32a5705f, v88
	v_sub_f32_e32 v89, v89, v104
	v_add_f32_e32 v89, v89, v98
	v_cvt_i32_f32_e32 v98, v104
	v_exp_f32_e32 v89, v89
	v_ldexp_f32 v89, v89, v98
	v_cndmask_b32_e32 v89, 0, v89, vcc_lo
	v_cmp_nlt_f32_e32 vcc_lo, 0x42b17218, v88
	v_cndmask_b32_e32 v88, 0x7f800000, v89, vcc_lo
	v_fmac_f32_e32 v77, v78, v88
	v_cvt_f16_f32_e32 v78, v88
	v_mul_u32_u24_sdwa v78, v78, v67 dst_sel:DWORD dst_unused:UNUSED_PAD src0_sel:WORD_0 src1_sel:DWORD
	v_pk_mul_f16 v88, v32, v78
	v_sub_f32_e32 v32, v114, v4
	v_mul_f32_e32 v78, 0x3fb8aa3b, v32
	v_cmp_ngt_f32_e32 vcc_lo, 0xc2ce8ed0, v32
	v_fma_f32 v89, 0x3fb8aa3b, v32, -v78
	v_rndne_f32_e32 v98, v78
	v_fmac_f32_e32 v89, 0x32a5705f, v32
	v_sub_f32_e32 v78, v78, v98
	v_add_f32_e32 v78, v78, v89
	v_cvt_i32_f32_e32 v89, v98
	v_exp_f32_e32 v78, v78
	v_ldexp_f32 v78, v78, v89
	v_cndmask_b32_e32 v78, 0, v78, vcc_lo
	v_cmp_nlt_f32_e32 vcc_lo, 0x42b17218, v32
	v_cndmask_b32_e32 v32, 0x7f800000, v78, vcc_lo
	v_sub_f32_e32 v78, v115, v4
	v_cvt_f16_f32_e32 v98, v32
	v_mul_f32_e32 v89, 0x3fb8aa3b, v78
	v_cmp_ngt_f32_e32 vcc_lo, 0xc2ce8ed0, v78
	v_fma_f32 v104, 0x3fb8aa3b, v78, -v89
	v_rndne_f32_e32 v105, v89
	v_fmac_f32_e32 v104, 0x32a5705f, v78
	v_sub_f32_e32 v89, v89, v105
	v_add_f32_e32 v89, v89, v104
	v_cvt_i32_f32_e32 v104, v105
	v_exp_f32_e32 v89, v89
	v_ldexp_f32 v89, v89, v104
	v_cndmask_b32_e32 v89, 0, v89, vcc_lo
	v_cmp_nlt_f32_e32 vcc_lo, 0x42b17218, v78
	v_cndmask_b32_e32 v89, 0x7f800000, v89, vcc_lo
	v_cmp_ngt_f32_e32 vcc_lo, 0xc2ce8ed0, v87
	v_add_f32_e32 v78, v32, v89
	v_cvt_f16_f32_e32 v32, v89
	v_mul_f32_e32 v89, 0x3fb8aa3b, v87
	v_fma_f32 v104, 0x3fb8aa3b, v87, -v89
	v_rndne_f32_e32 v105, v89
	;; [unrolled: 48-line block ×3, first 2 shown]
	v_fmac_f32_e32 v103, 0x32a5705f, v86
	v_sub_f32_e32 v89, v89, v105
	v_add_f32_e32 v89, v89, v103
	v_cvt_i32_f32_e32 v103, v105
	v_exp_f32_e32 v89, v89
	v_ldexp_f32 v89, v89, v103
	v_cndmask_b32_e32 v89, 0, v89, vcc_lo
	v_cmp_nlt_f32_e32 vcc_lo, 0x42b17218, v86
	v_cndmask_b32_e32 v86, 0x7f800000, v89, vcc_lo
	v_fmac_f32_e32 v79, v80, v86
	v_cvt_f16_f32_e32 v80, v86
	v_mul_u32_u24_sdwa v80, v80, v67 dst_sel:DWORD dst_unused:UNUSED_PAD src0_sel:WORD_0 src1_sel:DWORD
	v_pk_mul_f16 v86, v30, v80
	v_sub_f32_e32 v80, v102, v6
	v_sub_f32_e32 v30, v85, v6
	v_mul_f32_e32 v85, 0x3fb8aa3b, v80
	v_cmp_ngt_f32_e32 vcc_lo, 0xc2ce8ed0, v80
	v_fma_f32 v89, 0x3fb8aa3b, v80, -v85
	v_rndne_f32_e32 v102, v85
	v_fmac_f32_e32 v89, 0x32a5705f, v80
	v_sub_f32_e32 v85, v85, v102
	v_add_f32_e32 v85, v85, v89
	v_cvt_i32_f32_e32 v89, v102
	v_exp_f32_e32 v85, v85
	v_ldexp_f32 v85, v85, v89
	v_cndmask_b32_e32 v85, 0, v85, vcc_lo
	v_cmp_nlt_f32_e32 vcc_lo, 0x42b17218, v80
	v_cndmask_b32_e32 v80, 0x7f800000, v85, vcc_lo
	v_sub_f32_e32 v85, v101, v6
	v_cvt_f16_f32_e32 v102, v80
	v_mul_f32_e32 v89, 0x3fb8aa3b, v85
	v_cmp_ngt_f32_e32 vcc_lo, 0xc2ce8ed0, v85
	v_fma_f32 v101, 0x3fb8aa3b, v85, -v89
	v_rndne_f32_e32 v103, v89
	v_fmac_f32_e32 v101, 0x32a5705f, v85
	v_sub_f32_e32 v89, v89, v103
	v_add_f32_e32 v89, v89, v101
	v_cvt_i32_f32_e32 v101, v103
	v_exp_f32_e32 v89, v89
	v_ldexp_f32 v89, v89, v101
	v_cndmask_b32_e32 v89, 0, v89, vcc_lo
	v_cmp_nlt_f32_e32 vcc_lo, 0x42b17218, v85
	v_cndmask_b32_e32 v85, 0x7f800000, v89, vcc_lo
	v_cmp_ngt_f32_e32 vcc_lo, 0xc2ce8ed0, v30
	v_add_f32_e32 v80, v80, v85
	v_cvt_f16_f32_e32 v101, v85
	v_mul_f32_e32 v85, 0x3fb8aa3b, v30
	v_fma_f32 v89, 0x3fb8aa3b, v30, -v85
	v_rndne_f32_e32 v103, v85
	v_fmac_f32_e32 v89, 0x32a5705f, v30
	v_sub_f32_e32 v85, v85, v103
	v_add_f32_e32 v85, v85, v89
	v_cvt_i32_f32_e32 v89, v103
	v_exp_f32_e32 v85, v85
	v_ldexp_f32 v85, v85, v89
	v_cndmask_b32_e32 v85, 0, v85, vcc_lo
	v_cmp_nlt_f32_e32 vcc_lo, 0x42b17218, v30
	v_cndmask_b32_e32 v30, 0x7f800000, v85, vcc_lo
	v_fmac_f32_e32 v80, v81, v30
	v_cvt_f16_f32_e32 v30, v30
	v_mul_u32_u24_sdwa v30, v30, v67 dst_sel:DWORD dst_unused:UNUSED_PAD src0_sel:WORD_0 src1_sel:DWORD
	v_pk_mul_f16 v85, v29, v30
	v_sub_f32_e32 v30, v100, v7
	v_sub_f32_e32 v29, v84, v7
	v_mul_f32_e32 v81, 0x3fb8aa3b, v30
	v_cmp_ngt_f32_e32 vcc_lo, 0xc2ce8ed0, v30
	v_fma_f32 v84, 0x3fb8aa3b, v30, -v81
	v_rndne_f32_e32 v89, v81
	v_fmac_f32_e32 v84, 0x32a5705f, v30
	v_sub_f32_e32 v81, v81, v89
	v_add_f32_e32 v81, v81, v84
	v_cvt_i32_f32_e32 v84, v89
	v_exp_f32_e32 v81, v81
	v_ldexp_f32 v81, v81, v84
	v_cndmask_b32_e32 v81, 0, v81, vcc_lo
	v_cmp_nlt_f32_e32 vcc_lo, 0x42b17218, v30
	v_cndmask_b32_e32 v30, 0x7f800000, v81, vcc_lo
	v_sub_f32_e32 v81, v99, v7
	v_cvt_f16_f32_e32 v100, v30
	v_mul_f32_e32 v84, 0x3fb8aa3b, v81
	v_cmp_ngt_f32_e32 vcc_lo, 0xc2ce8ed0, v81
	v_fma_f32 v89, 0x3fb8aa3b, v81, -v84
	v_rndne_f32_e32 v99, v84
	v_fmac_f32_e32 v89, 0x32a5705f, v81
	v_sub_f32_e32 v84, v84, v99
	v_add_f32_e32 v84, v84, v89
	v_cvt_i32_f32_e32 v89, v99
	v_exp_f32_e32 v84, v84
	v_ldexp_f32 v84, v84, v89
	v_cndmask_b32_e32 v84, 0, v84, vcc_lo
	v_cmp_nlt_f32_e32 vcc_lo, 0x42b17218, v81
	v_cndmask_b32_e32 v84, 0x7f800000, v84, vcc_lo
	v_cmp_ngt_f32_e32 vcc_lo, 0xc2ce8ed0, v29
	v_add_f32_e32 v81, v30, v84
	v_cvt_f16_f32_e32 v30, v84
	v_mul_f32_e32 v84, 0x3fb8aa3b, v29
	v_fma_f32 v89, 0x3fb8aa3b, v29, -v84
	v_rndne_f32_e32 v99, v84
	v_fmac_f32_e32 v89, 0x32a5705f, v29
	v_sub_f32_e32 v84, v84, v99
	v_add_f32_e32 v84, v84, v89
	v_cvt_i32_f32_e32 v89, v99
	v_exp_f32_e32 v84, v84
	v_ldexp_f32 v84, v84, v89
	v_cndmask_b32_e32 v84, 0, v84, vcc_lo
	v_cmp_nlt_f32_e32 vcc_lo, 0x42b17218, v29
	v_cndmask_b32_e32 v29, 0x7f800000, v84, vcc_lo
	v_fmac_f32_e32 v81, v25, v29
	v_cvt_f16_f32_e32 v25, v29
	v_mul_u32_u24_sdwa v25, v25, v67 dst_sel:DWORD dst_unused:UNUSED_PAD src0_sel:WORD_0 src1_sel:DWORD
	v_pk_mul_f16 v84, v28, v25
	v_sub_f32_e32 v25, v26, v8
	v_sub_f32_e32 v26, v97, v8
	v_mul_f32_e32 v28, 0x3fb8aa3b, v26
	v_cmp_ngt_f32_e32 vcc_lo, 0xc2ce8ed0, v26
	v_fma_f32 v29, 0x3fb8aa3b, v26, -v28
	v_rndne_f32_e32 v89, v28
	v_fmac_f32_e32 v29, 0x32a5705f, v26
	v_sub_f32_e32 v28, v28, v89
	v_add_f32_e32 v28, v28, v29
	v_cvt_i32_f32_e32 v29, v89
	v_exp_f32_e32 v28, v28
	v_ldexp_f32 v28, v28, v29
	v_sub_f32_e32 v29, v95, v8
	v_cndmask_b32_e32 v28, 0, v28, vcc_lo
	v_mul_f32_e32 v89, 0x3fb8aa3b, v29
	v_cmp_nlt_f32_e32 vcc_lo, 0x42b17218, v26
	v_fma_f32 v95, 0x3fb8aa3b, v29, -v89
	v_rndne_f32_e32 v97, v89
	v_cndmask_b32_e32 v26, 0x7f800000, v28, vcc_lo
	v_cmp_ngt_f32_e32 vcc_lo, 0xc2ce8ed0, v29
	v_fmac_f32_e32 v95, 0x32a5705f, v29
	v_sub_f32_e32 v89, v89, v97
	v_cvt_f16_f32_e32 v28, v26
	v_add_f32_e32 v89, v89, v95
	v_cvt_i32_f32_e32 v95, v97
	v_pack_b32_f16 v28, v100, v28
	v_exp_f32_e32 v89, v89
	v_ldexp_f32 v89, v89, v95
	v_cndmask_b32_e32 v89, 0, v89, vcc_lo
	v_cmp_nlt_f32_e32 vcc_lo, 0x42b17218, v29
	v_cndmask_b32_e32 v29, 0x7f800000, v89, vcc_lo
	v_mul_f32_e32 v89, 0x3fb8aa3b, v25
	v_cmp_ngt_f32_e32 vcc_lo, 0xc2ce8ed0, v25
	v_add_f32_e32 v26, v26, v29
	v_fma_f32 v95, 0x3fb8aa3b, v25, -v89
	v_rndne_f32_e32 v97, v89
	v_cvt_f16_f32_e32 v29, v29
	v_fmac_f32_e32 v95, 0x32a5705f, v25
	v_sub_f32_e32 v89, v89, v97
	v_add_f32_e32 v89, v89, v95
	v_cvt_i32_f32_e32 v95, v97
	v_exp_f32_e32 v89, v89
	v_ldexp_f32 v89, v89, v95
	v_cndmask_b32_e32 v89, 0, v89, vcc_lo
	v_cmp_nlt_f32_e32 vcc_lo, 0x42b17218, v25
	v_cndmask_b32_e32 v25, 0x7f800000, v89, vcc_lo
	v_mov_b32_e32 v89, v49
	v_mov_b32_e32 v49, v26
	v_pack_b32_f16 v26, v96, v98
	v_fmac_f32_e32 v49, v89, v25
	v_cvt_f16_f32_e32 v25, v25
	v_mul_u32_u24_sdwa v25, v25, v67 dst_sel:DWORD dst_unused:UNUSED_PAD src0_sel:WORD_0 src1_sel:DWORD
	v_pk_mul_f16 v89, v27, v25
	v_pack_b32_f16 v27, v104, v102
	v_pack_b32_f16 v25, v92, v94
	ds_write_b128 v66, v[25:28]
	v_pack_b32_f16 v28, v30, v29
	v_pack_b32_f16 v27, v31, v101
	;; [unrolled: 1-line block ×4, first 2 shown]
	ds_write_b128 v66, v[25:28] offset:512
	v_add_co_u32 v25, vcc_lo, s11, v17
	v_add_co_ci_u32_e64 v26, null, s12, v18, vcc_lo
	v_add_co_u32 v31, vcc_lo, v25, v65
	v_add_co_ci_u32_e64 v32, null, 0, v26, vcc_lo
	v_add_co_u32 v25, vcc_lo, s11, v19
	v_add_co_ci_u32_e64 v26, null, s12, v20, vcc_lo
	global_load_dwordx4 v[90:93], v[31:32], off
	v_add_co_u32 v29, vcc_lo, v25, v65
	v_add_co_ci_u32_e64 v30, null, 0, v26, vcc_lo
	v_add_co_u32 v25, vcc_lo, s11, v21
	v_add_co_ci_u32_e64 v26, null, s12, v22, vcc_lo
	global_load_dwordx4 v[29:32], v[29:30], off
	v_add_co_u32 v27, vcc_lo, v25, v65
	v_add_co_ci_u32_e64 v28, null, 0, v26, vcc_lo
	v_add_co_u32 v25, vcc_lo, s11, v23
	v_add_co_ci_u32_e64 v26, null, s12, v24, vcc_lo
	;; [unrolled: 2-line block ×3, first 2 shown]
	s_waitcnt vmcnt(1)
	ds_write_b128 v60, v[90:93]
	s_waitcnt vmcnt(0)
	ds_write_b128 v62, v[29:32]
	global_load_dwordx4 v[27:30], v[27:28], off
	s_waitcnt vmcnt(0)
	ds_write_b128 v63, v[27:30]
	global_load_dwordx4 v[25:28], v[25:26], off
	s_waitcnt vmcnt(0)
	ds_write_b128 v64, v[25:28]
	s_waitcnt lgkmcnt(0)
	s_barrier
	buffer_gl0_inv
	ds_read2_b32 v[98:99], v51 offset1:32
	ds_read_b128 v[25:28], v61
	ds_read_b128 v[29:32], v61 offset:16
	ds_read_b128 v[90:93], v61 offset:32
	;; [unrolled: 1-line block ×3, first 2 shown]
	s_waitcnt lgkmcnt(3)
	v_mul_u32_u24_sdwa v100, v25, v67 dst_sel:DWORD dst_unused:UNUSED_PAD src0_sel:WORD_0 src1_sel:DWORD
	v_mul_u32_u24_sdwa v25, v25, v67 dst_sel:DWORD dst_unused:UNUSED_PAD src0_sel:WORD_1 src1_sel:DWORD
	v_mul_u32_u24_sdwa v101, v26, v67 dst_sel:DWORD dst_unused:UNUSED_PAD src0_sel:WORD_0 src1_sel:DWORD
	v_mul_u32_u24_sdwa v26, v26, v67 dst_sel:DWORD dst_unused:UNUSED_PAD src0_sel:WORD_1 src1_sel:DWORD
	;; [unrolled: 2-line block ×3, first 2 shown]
	v_pk_fma_f16 v25, v98, v25, v82
	v_mul_u32_u24_sdwa v103, v28, v67 dst_sel:DWORD dst_unused:UNUSED_PAD src0_sel:WORD_0 src1_sel:DWORD
	v_pk_fma_f16 v26, v98, v26, v87
	s_waitcnt lgkmcnt(2)
	v_mul_u32_u24_sdwa v87, v30, v67 dst_sel:DWORD dst_unused:UNUSED_PAD src0_sel:WORD_0 src1_sel:DWORD
	v_pk_fma_f16 v27, v98, v27, v85
	v_mul_u32_u24_sdwa v85, v29, v67 dst_sel:DWORD dst_unused:UNUSED_PAD src0_sel:WORD_0 src1_sel:DWORD
	v_mul_u32_u24_sdwa v29, v29, v67 dst_sel:DWORD dst_unused:UNUSED_PAD src0_sel:WORD_1 src1_sel:DWORD
	v_mul_u32_u24_sdwa v30, v30, v67 dst_sel:DWORD dst_unused:UNUSED_PAD src0_sel:WORD_1 src1_sel:DWORD
	;; [unrolled: 1-line block ×3, first 2 shown]
	v_pk_fma_f16 v83, v98, v100, v83
	v_pk_fma_f16 v82, v98, v101, v88
	;; [unrolled: 1-line block ×4, first 2 shown]
	ds_read2_b32 v[25:26], v51 offset0:64 offset1:96
	v_pk_fma_f16 v86, v98, v102, v86
	v_pk_fma_f16 v84, v98, v103, v84
	v_pk_fma_f16 v28, v98, v28, v89
	v_mul_u32_u24_sdwa v88, v31, v67 dst_sel:DWORD dst_unused:UNUSED_PAD src0_sel:WORD_0 src1_sel:DWORD
	v_mul_u32_u24_sdwa v31, v31, v67 dst_sel:DWORD dst_unused:UNUSED_PAD src0_sel:WORD_1 src1_sel:DWORD
	v_mul_u32_u24_sdwa v89, v32, v67 dst_sel:DWORD dst_unused:UNUSED_PAD src0_sel:WORD_0 src1_sel:DWORD
	v_mul_u32_u24_sdwa v32, v32, v67 dst_sel:DWORD dst_unused:UNUSED_PAD src0_sel:WORD_1 src1_sel:DWORD
	v_pk_fma_f16 v83, v99, v85, v83
	v_pk_fma_f16 v82, v99, v87, v82
	;; [unrolled: 1-line block ×6, first 2 shown]
	s_waitcnt lgkmcnt(2)
	v_mul_u32_u24_sdwa v32, v90, v67 dst_sel:DWORD dst_unused:UNUSED_PAD src0_sel:WORD_0 src1_sel:DWORD
	v_mul_u32_u24_sdwa v84, v90, v67 dst_sel:DWORD dst_unused:UNUSED_PAD src0_sel:WORD_1 src1_sel:DWORD
	v_mul_u32_u24_sdwa v86, v91, v67 dst_sel:DWORD dst_unused:UNUSED_PAD src0_sel:WORD_0 src1_sel:DWORD
	v_mul_u32_u24_sdwa v87, v91, v67 dst_sel:DWORD dst_unused:UNUSED_PAD src0_sel:WORD_1 src1_sel:DWORD
	;; [unrolled: 2-line block ×4, first 2 shown]
	s_waitcnt lgkmcnt(0)
	v_pk_fma_f16 v32, v25, v32, v83
	v_pk_fma_f16 v29, v25, v84, v29
	v_pk_fma_f16 v82, v25, v86, v82
	v_pk_fma_f16 v30, v25, v87, v30
	v_pk_fma_f16 v83, v25, v88, v85
	v_pk_fma_f16 v27, v25, v89, v27
	v_pk_fma_f16 v31, v25, v90, v31
	v_pk_fma_f16 v25, v25, v91, v28
	v_mul_u32_u24_sdwa v28, v94, v67 dst_sel:DWORD dst_unused:UNUSED_PAD src0_sel:WORD_0 src1_sel:DWORD
	v_mul_u32_u24_sdwa v84, v94, v67 dst_sel:DWORD dst_unused:UNUSED_PAD src0_sel:WORD_1 src1_sel:DWORD
	v_mul_u32_u24_sdwa v85, v95, v67 dst_sel:DWORD dst_unused:UNUSED_PAD src0_sel:WORD_0 src1_sel:DWORD
	v_mul_u32_u24_sdwa v86, v95, v67 dst_sel:DWORD dst_unused:UNUSED_PAD src0_sel:WORD_1 src1_sel:DWORD
	;; [unrolled: 2-line block ×4, first 2 shown]
	v_pk_fma_f16 v32, v26, v28, v32
	v_pk_fma_f16 v84, v26, v84, v29
	;; [unrolled: 1-line block ×8, first 2 shown]
	ds_read2_b32 v[29:30], v51 offset0:128 offset1:160
	ds_read_b128 v[25:28], v61 offset:64
	s_waitcnt lgkmcnt(0)
	v_mul_u32_u24_sdwa v88, v25, v67 dst_sel:DWORD dst_unused:UNUSED_PAD src0_sel:WORD_0 src1_sel:DWORD
	v_mul_u32_u24_sdwa v25, v25, v67 dst_sel:DWORD dst_unused:UNUSED_PAD src0_sel:WORD_1 src1_sel:DWORD
	v_mul_u32_u24_sdwa v89, v26, v67 dst_sel:DWORD dst_unused:UNUSED_PAD src0_sel:WORD_0 src1_sel:DWORD
	v_mul_u32_u24_sdwa v26, v26, v67 dst_sel:DWORD dst_unused:UNUSED_PAD src0_sel:WORD_1 src1_sel:DWORD
	;; [unrolled: 2-line block ×4, first 2 shown]
	v_pk_fma_f16 v32, v29, v88, v32
	v_pk_fma_f16 v84, v29, v25, v84
	;; [unrolled: 1-line block ×8, first 2 shown]
	ds_read_b128 v[25:28], v61 offset:80
	s_waitcnt lgkmcnt(0)
	v_mul_u32_u24_sdwa v87, v25, v67 dst_sel:DWORD dst_unused:UNUSED_PAD src0_sel:WORD_0 src1_sel:DWORD
	v_mul_u32_u24_sdwa v25, v25, v67 dst_sel:DWORD dst_unused:UNUSED_PAD src0_sel:WORD_1 src1_sel:DWORD
	v_mul_u32_u24_sdwa v88, v26, v67 dst_sel:DWORD dst_unused:UNUSED_PAD src0_sel:WORD_0 src1_sel:DWORD
	v_mul_u32_u24_sdwa v26, v26, v67 dst_sel:DWORD dst_unused:UNUSED_PAD src0_sel:WORD_1 src1_sel:DWORD
	;; [unrolled: 2-line block ×4, first 2 shown]
	v_pk_fma_f16 v32, v30, v87, v32
	v_pk_fma_f16 v84, v30, v25, v84
	;; [unrolled: 1-line block ×8, first 2 shown]
	ds_read2_b32 v[29:30], v51 offset0:192 offset1:224
	ds_read_b128 v[25:28], v61 offset:96
	s_waitcnt lgkmcnt(0)
	v_mul_u32_u24_sdwa v88, v25, v67 dst_sel:DWORD dst_unused:UNUSED_PAD src0_sel:WORD_0 src1_sel:DWORD
	v_mul_u32_u24_sdwa v25, v25, v67 dst_sel:DWORD dst_unused:UNUSED_PAD src0_sel:WORD_1 src1_sel:DWORD
	v_mul_u32_u24_sdwa v89, v26, v67 dst_sel:DWORD dst_unused:UNUSED_PAD src0_sel:WORD_0 src1_sel:DWORD
	v_mul_u32_u24_sdwa v26, v26, v67 dst_sel:DWORD dst_unused:UNUSED_PAD src0_sel:WORD_1 src1_sel:DWORD
	;; [unrolled: 2-line block ×4, first 2 shown]
	v_pk_fma_f16 v32, v29, v88, v32
	v_pk_fma_f16 v84, v29, v25, v84
	;; [unrolled: 1-line block ×8, first 2 shown]
	ds_read_b128 v[25:28], v61 offset:112
	s_waitcnt lgkmcnt(0)
	v_mul_u32_u24_sdwa v87, v25, v67 dst_sel:DWORD dst_unused:UNUSED_PAD src0_sel:WORD_0 src1_sel:DWORD
	v_mul_u32_u24_sdwa v25, v25, v67 dst_sel:DWORD dst_unused:UNUSED_PAD src0_sel:WORD_1 src1_sel:DWORD
	v_mul_u32_u24_sdwa v88, v26, v67 dst_sel:DWORD dst_unused:UNUSED_PAD src0_sel:WORD_0 src1_sel:DWORD
	v_mul_u32_u24_sdwa v26, v26, v67 dst_sel:DWORD dst_unused:UNUSED_PAD src0_sel:WORD_1 src1_sel:DWORD
	;; [unrolled: 2-line block ×4, first 2 shown]
	v_pk_fma_f16 v32, v30, v87, v32
	v_pk_fma_f16 v84, v30, v25, v84
	;; [unrolled: 1-line block ×8, first 2 shown]
	ds_read2_b32 v[29:30], v68 offset1:32
	ds_read_b128 v[25:28], v61 offset:128
	s_waitcnt lgkmcnt(0)
	v_mul_u32_u24_sdwa v88, v25, v67 dst_sel:DWORD dst_unused:UNUSED_PAD src0_sel:WORD_0 src1_sel:DWORD
	v_mul_u32_u24_sdwa v25, v25, v67 dst_sel:DWORD dst_unused:UNUSED_PAD src0_sel:WORD_1 src1_sel:DWORD
	v_mul_u32_u24_sdwa v89, v26, v67 dst_sel:DWORD dst_unused:UNUSED_PAD src0_sel:WORD_0 src1_sel:DWORD
	v_mul_u32_u24_sdwa v26, v26, v67 dst_sel:DWORD dst_unused:UNUSED_PAD src0_sel:WORD_1 src1_sel:DWORD
	v_mul_u32_u24_sdwa v90, v27, v67 dst_sel:DWORD dst_unused:UNUSED_PAD src0_sel:WORD_0 src1_sel:DWORD
	v_mul_u32_u24_sdwa v27, v27, v67 dst_sel:DWORD dst_unused:UNUSED_PAD src0_sel:WORD_1 src1_sel:DWORD
	v_mul_u32_u24_sdwa v91, v28, v67 dst_sel:DWORD dst_unused:UNUSED_PAD src0_sel:WORD_0 src1_sel:DWORD
	v_mul_u32_u24_sdwa v28, v28, v67 dst_sel:DWORD dst_unused:UNUSED_PAD src0_sel:WORD_1 src1_sel:DWORD
	v_pk_fma_f16 v32, v29, v88, v32
	v_pk_fma_f16 v84, v29, v25, v84
	v_pk_fma_f16 v82, v29, v89, v82
	v_pk_fma_f16 v85, v29, v26, v85
	v_pk_fma_f16 v83, v29, v90, v83
	v_pk_fma_f16 v86, v29, v27, v86
	v_pk_fma_f16 v31, v29, v91, v31
	v_pk_fma_f16 v29, v29, v28, v87
	ds_read_b128 v[25:28], v61 offset:144
	s_waitcnt lgkmcnt(0)
	v_mul_u32_u24_sdwa v87, v25, v67 dst_sel:DWORD dst_unused:UNUSED_PAD src0_sel:WORD_0 src1_sel:DWORD
	v_mul_u32_u24_sdwa v25, v25, v67 dst_sel:DWORD dst_unused:UNUSED_PAD src0_sel:WORD_1 src1_sel:DWORD
	v_mul_u32_u24_sdwa v88, v26, v67 dst_sel:DWORD dst_unused:UNUSED_PAD src0_sel:WORD_0 src1_sel:DWORD
	v_mul_u32_u24_sdwa v26, v26, v67 dst_sel:DWORD dst_unused:UNUSED_PAD src0_sel:WORD_1 src1_sel:DWORD
	v_mul_u32_u24_sdwa v89, v27, v67 dst_sel:DWORD dst_unused:UNUSED_PAD src0_sel:WORD_0 src1_sel:DWORD
	v_mul_u32_u24_sdwa v27, v27, v67 dst_sel:DWORD dst_unused:UNUSED_PAD src0_sel:WORD_1 src1_sel:DWORD
	v_mul_u32_u24_sdwa v90, v28, v67 dst_sel:DWORD dst_unused:UNUSED_PAD src0_sel:WORD_0 src1_sel:DWORD
	v_mul_u32_u24_sdwa v28, v28, v67 dst_sel:DWORD dst_unused:UNUSED_PAD src0_sel:WORD_1 src1_sel:DWORD
	v_pk_fma_f16 v32, v30, v87, v32
	v_pk_fma_f16 v84, v30, v25, v84
	v_pk_fma_f16 v82, v30, v88, v82
	v_pk_fma_f16 v85, v30, v26, v85
	v_pk_fma_f16 v83, v30, v89, v83
	v_pk_fma_f16 v86, v30, v27, v86
	v_pk_fma_f16 v31, v30, v90, v31
	v_pk_fma_f16 v87, v30, v28, v29
	ds_read2_b32 v[29:30], v68 offset0:64 offset1:96
	ds_read_b128 v[25:28], v61 offset:160
	s_waitcnt lgkmcnt(0)
	v_mul_u32_u24_sdwa v88, v25, v67 dst_sel:DWORD dst_unused:UNUSED_PAD src0_sel:WORD_0 src1_sel:DWORD
	v_mul_u32_u24_sdwa v25, v25, v67 dst_sel:DWORD dst_unused:UNUSED_PAD src0_sel:WORD_1 src1_sel:DWORD
	v_mul_u32_u24_sdwa v89, v26, v67 dst_sel:DWORD dst_unused:UNUSED_PAD src0_sel:WORD_0 src1_sel:DWORD
	v_mul_u32_u24_sdwa v26, v26, v67 dst_sel:DWORD dst_unused:UNUSED_PAD src0_sel:WORD_1 src1_sel:DWORD
	v_mul_u32_u24_sdwa v90, v27, v67 dst_sel:DWORD dst_unused:UNUSED_PAD src0_sel:WORD_0 src1_sel:DWORD
	v_mul_u32_u24_sdwa v27, v27, v67 dst_sel:DWORD dst_unused:UNUSED_PAD src0_sel:WORD_1 src1_sel:DWORD
	v_mul_u32_u24_sdwa v91, v28, v67 dst_sel:DWORD dst_unused:UNUSED_PAD src0_sel:WORD_0 src1_sel:DWORD
	v_mul_u32_u24_sdwa v28, v28, v67 dst_sel:DWORD dst_unused:UNUSED_PAD src0_sel:WORD_1 src1_sel:DWORD
	v_pk_fma_f16 v32, v29, v88, v32
	v_pk_fma_f16 v84, v29, v25, v84
	v_pk_fma_f16 v82, v29, v89, v82
	v_pk_fma_f16 v85, v29, v26, v85
	v_pk_fma_f16 v83, v29, v90, v83
	v_pk_fma_f16 v86, v29, v27, v86
	v_pk_fma_f16 v31, v29, v91, v31
	v_pk_fma_f16 v29, v29, v28, v87
	ds_read_b128 v[25:28], v61 offset:176
	s_waitcnt lgkmcnt(0)
	v_mul_u32_u24_sdwa v87, v25, v67 dst_sel:DWORD dst_unused:UNUSED_PAD src0_sel:WORD_0 src1_sel:DWORD
	v_mul_u32_u24_sdwa v25, v25, v67 dst_sel:DWORD dst_unused:UNUSED_PAD src0_sel:WORD_1 src1_sel:DWORD
	v_mul_u32_u24_sdwa v88, v26, v67 dst_sel:DWORD dst_unused:UNUSED_PAD src0_sel:WORD_0 src1_sel:DWORD
	v_mul_u32_u24_sdwa v26, v26, v67 dst_sel:DWORD dst_unused:UNUSED_PAD src0_sel:WORD_1 src1_sel:DWORD
	v_mul_u32_u24_sdwa v89, v27, v67 dst_sel:DWORD dst_unused:UNUSED_PAD src0_sel:WORD_0 src1_sel:DWORD
	v_mul_u32_u24_sdwa v27, v27, v67 dst_sel:DWORD dst_unused:UNUSED_PAD src0_sel:WORD_1 src1_sel:DWORD
	v_mul_u32_u24_sdwa v90, v28, v67 dst_sel:DWORD dst_unused:UNUSED_PAD src0_sel:WORD_0 src1_sel:DWORD
	v_mul_u32_u24_sdwa v28, v28, v67 dst_sel:DWORD dst_unused:UNUSED_PAD src0_sel:WORD_1 src1_sel:DWORD
	v_pk_fma_f16 v32, v30, v87, v32
	v_pk_fma_f16 v84, v30, v25, v84
	v_pk_fma_f16 v82, v30, v88, v82
	v_pk_fma_f16 v85, v30, v26, v85
	v_pk_fma_f16 v83, v30, v89, v83
	v_pk_fma_f16 v86, v30, v27, v86
	v_pk_fma_f16 v31, v30, v90, v31
	v_pk_fma_f16 v87, v30, v28, v29
	ds_read2_b32 v[29:30], v68 offset0:128 offset1:160
	;; [unrolled: 37-line block ×3, first 2 shown]
	ds_read_b128 v[25:28], v61 offset:224
	s_waitcnt lgkmcnt(0)
	v_mul_u32_u24_sdwa v88, v25, v67 dst_sel:DWORD dst_unused:UNUSED_PAD src0_sel:WORD_0 src1_sel:DWORD
	v_mul_u32_u24_sdwa v25, v25, v67 dst_sel:DWORD dst_unused:UNUSED_PAD src0_sel:WORD_1 src1_sel:DWORD
	v_mul_u32_u24_sdwa v89, v26, v67 dst_sel:DWORD dst_unused:UNUSED_PAD src0_sel:WORD_0 src1_sel:DWORD
	v_mul_u32_u24_sdwa v26, v26, v67 dst_sel:DWORD dst_unused:UNUSED_PAD src0_sel:WORD_1 src1_sel:DWORD
	;; [unrolled: 2-line block ×4, first 2 shown]
	v_pk_fma_f16 v32, v29, v88, v32
	v_pk_fma_f16 v84, v29, v25, v84
	;; [unrolled: 1-line block ×8, first 2 shown]
	ds_read_b128 v[25:28], v61 offset:240
	s_waitcnt lgkmcnt(0)
	v_mul_u32_u24_sdwa v87, v25, v67 dst_sel:DWORD dst_unused:UNUSED_PAD src0_sel:WORD_0 src1_sel:DWORD
	v_mul_u32_u24_sdwa v25, v25, v67 dst_sel:DWORD dst_unused:UNUSED_PAD src0_sel:WORD_1 src1_sel:DWORD
	v_mul_u32_u24_sdwa v88, v26, v67 dst_sel:DWORD dst_unused:UNUSED_PAD src0_sel:WORD_0 src1_sel:DWORD
	v_mul_u32_u24_sdwa v26, v26, v67 dst_sel:DWORD dst_unused:UNUSED_PAD src0_sel:WORD_1 src1_sel:DWORD
	;; [unrolled: 2-line block ×4, first 2 shown]
	v_pk_fma_f16 v32, v30, v87, v32
	v_pk_fma_f16 v84, v30, v25, v84
	;; [unrolled: 1-line block ×8, first 2 shown]
	ds_read2_b32 v[29:30], v69 offset1:32
	ds_read_b128 v[25:28], v61 offset:256
	s_waitcnt lgkmcnt(0)
	v_mul_u32_u24_sdwa v88, v25, v67 dst_sel:DWORD dst_unused:UNUSED_PAD src0_sel:WORD_0 src1_sel:DWORD
	v_mul_u32_u24_sdwa v25, v25, v67 dst_sel:DWORD dst_unused:UNUSED_PAD src0_sel:WORD_1 src1_sel:DWORD
	v_mul_u32_u24_sdwa v89, v26, v67 dst_sel:DWORD dst_unused:UNUSED_PAD src0_sel:WORD_0 src1_sel:DWORD
	v_mul_u32_u24_sdwa v26, v26, v67 dst_sel:DWORD dst_unused:UNUSED_PAD src0_sel:WORD_1 src1_sel:DWORD
	v_mul_u32_u24_sdwa v90, v27, v67 dst_sel:DWORD dst_unused:UNUSED_PAD src0_sel:WORD_0 src1_sel:DWORD
	v_mul_u32_u24_sdwa v27, v27, v67 dst_sel:DWORD dst_unused:UNUSED_PAD src0_sel:WORD_1 src1_sel:DWORD
	v_mul_u32_u24_sdwa v91, v28, v67 dst_sel:DWORD dst_unused:UNUSED_PAD src0_sel:WORD_0 src1_sel:DWORD
	v_mul_u32_u24_sdwa v28, v28, v67 dst_sel:DWORD dst_unused:UNUSED_PAD src0_sel:WORD_1 src1_sel:DWORD
	v_pk_fma_f16 v32, v29, v88, v32
	v_pk_fma_f16 v84, v29, v25, v84
	v_pk_fma_f16 v82, v29, v89, v82
	v_pk_fma_f16 v85, v29, v26, v85
	v_pk_fma_f16 v83, v29, v90, v83
	v_pk_fma_f16 v86, v29, v27, v86
	v_pk_fma_f16 v31, v29, v91, v31
	v_pk_fma_f16 v29, v29, v28, v87
	ds_read_b128 v[25:28], v61 offset:272
	s_waitcnt lgkmcnt(0)
	v_mul_u32_u24_sdwa v87, v25, v67 dst_sel:DWORD dst_unused:UNUSED_PAD src0_sel:WORD_0 src1_sel:DWORD
	v_mul_u32_u24_sdwa v25, v25, v67 dst_sel:DWORD dst_unused:UNUSED_PAD src0_sel:WORD_1 src1_sel:DWORD
	v_mul_u32_u24_sdwa v88, v26, v67 dst_sel:DWORD dst_unused:UNUSED_PAD src0_sel:WORD_0 src1_sel:DWORD
	v_mul_u32_u24_sdwa v26, v26, v67 dst_sel:DWORD dst_unused:UNUSED_PAD src0_sel:WORD_1 src1_sel:DWORD
	v_mul_u32_u24_sdwa v89, v27, v67 dst_sel:DWORD dst_unused:UNUSED_PAD src0_sel:WORD_0 src1_sel:DWORD
	v_mul_u32_u24_sdwa v27, v27, v67 dst_sel:DWORD dst_unused:UNUSED_PAD src0_sel:WORD_1 src1_sel:DWORD
	v_mul_u32_u24_sdwa v90, v28, v67 dst_sel:DWORD dst_unused:UNUSED_PAD src0_sel:WORD_0 src1_sel:DWORD
	v_mul_u32_u24_sdwa v28, v28, v67 dst_sel:DWORD dst_unused:UNUSED_PAD src0_sel:WORD_1 src1_sel:DWORD
	v_pk_fma_f16 v32, v30, v87, v32
	v_pk_fma_f16 v84, v30, v25, v84
	v_pk_fma_f16 v82, v30, v88, v82
	v_pk_fma_f16 v85, v30, v26, v85
	v_pk_fma_f16 v83, v30, v89, v83
	v_pk_fma_f16 v86, v30, v27, v86
	v_pk_fma_f16 v31, v30, v90, v31
	v_pk_fma_f16 v87, v30, v28, v29
	ds_read2_b32 v[29:30], v69 offset0:64 offset1:96
	ds_read_b128 v[25:28], v61 offset:288
	s_waitcnt lgkmcnt(0)
	v_mul_u32_u24_sdwa v88, v25, v67 dst_sel:DWORD dst_unused:UNUSED_PAD src0_sel:WORD_0 src1_sel:DWORD
	v_mul_u32_u24_sdwa v25, v25, v67 dst_sel:DWORD dst_unused:UNUSED_PAD src0_sel:WORD_1 src1_sel:DWORD
	v_mul_u32_u24_sdwa v89, v26, v67 dst_sel:DWORD dst_unused:UNUSED_PAD src0_sel:WORD_0 src1_sel:DWORD
	v_mul_u32_u24_sdwa v26, v26, v67 dst_sel:DWORD dst_unused:UNUSED_PAD src0_sel:WORD_1 src1_sel:DWORD
	v_mul_u32_u24_sdwa v90, v27, v67 dst_sel:DWORD dst_unused:UNUSED_PAD src0_sel:WORD_0 src1_sel:DWORD
	v_mul_u32_u24_sdwa v27, v27, v67 dst_sel:DWORD dst_unused:UNUSED_PAD src0_sel:WORD_1 src1_sel:DWORD
	v_mul_u32_u24_sdwa v91, v28, v67 dst_sel:DWORD dst_unused:UNUSED_PAD src0_sel:WORD_0 src1_sel:DWORD
	v_mul_u32_u24_sdwa v28, v28, v67 dst_sel:DWORD dst_unused:UNUSED_PAD src0_sel:WORD_1 src1_sel:DWORD
	v_pk_fma_f16 v32, v29, v88, v32
	v_pk_fma_f16 v84, v29, v25, v84
	v_pk_fma_f16 v82, v29, v89, v82
	v_pk_fma_f16 v85, v29, v26, v85
	v_pk_fma_f16 v83, v29, v90, v83
	v_pk_fma_f16 v86, v29, v27, v86
	v_pk_fma_f16 v31, v29, v91, v31
	v_pk_fma_f16 v29, v29, v28, v87
	ds_read_b128 v[25:28], v61 offset:304
	s_waitcnt lgkmcnt(0)
	v_mul_u32_u24_sdwa v87, v25, v67 dst_sel:DWORD dst_unused:UNUSED_PAD src0_sel:WORD_0 src1_sel:DWORD
	v_mul_u32_u24_sdwa v25, v25, v67 dst_sel:DWORD dst_unused:UNUSED_PAD src0_sel:WORD_1 src1_sel:DWORD
	v_mul_u32_u24_sdwa v88, v26, v67 dst_sel:DWORD dst_unused:UNUSED_PAD src0_sel:WORD_0 src1_sel:DWORD
	v_mul_u32_u24_sdwa v26, v26, v67 dst_sel:DWORD dst_unused:UNUSED_PAD src0_sel:WORD_1 src1_sel:DWORD
	v_mul_u32_u24_sdwa v89, v27, v67 dst_sel:DWORD dst_unused:UNUSED_PAD src0_sel:WORD_0 src1_sel:DWORD
	v_mul_u32_u24_sdwa v27, v27, v67 dst_sel:DWORD dst_unused:UNUSED_PAD src0_sel:WORD_1 src1_sel:DWORD
	v_mul_u32_u24_sdwa v90, v28, v67 dst_sel:DWORD dst_unused:UNUSED_PAD src0_sel:WORD_0 src1_sel:DWORD
	v_mul_u32_u24_sdwa v28, v28, v67 dst_sel:DWORD dst_unused:UNUSED_PAD src0_sel:WORD_1 src1_sel:DWORD
	v_pk_fma_f16 v32, v30, v87, v32
	v_pk_fma_f16 v84, v30, v25, v84
	v_pk_fma_f16 v82, v30, v88, v82
	v_pk_fma_f16 v85, v30, v26, v85
	v_pk_fma_f16 v83, v30, v89, v83
	v_pk_fma_f16 v86, v30, v27, v86
	v_pk_fma_f16 v31, v30, v90, v31
	v_pk_fma_f16 v87, v30, v28, v29
	ds_read2_b32 v[29:30], v69 offset0:128 offset1:160
	;; [unrolled: 37-line block ×3, first 2 shown]
	ds_read_b128 v[25:28], v61 offset:352
	s_waitcnt lgkmcnt(0)
	v_mul_u32_u24_sdwa v88, v25, v67 dst_sel:DWORD dst_unused:UNUSED_PAD src0_sel:WORD_0 src1_sel:DWORD
	v_mul_u32_u24_sdwa v25, v25, v67 dst_sel:DWORD dst_unused:UNUSED_PAD src0_sel:WORD_1 src1_sel:DWORD
	v_mul_u32_u24_sdwa v89, v26, v67 dst_sel:DWORD dst_unused:UNUSED_PAD src0_sel:WORD_0 src1_sel:DWORD
	v_mul_u32_u24_sdwa v26, v26, v67 dst_sel:DWORD dst_unused:UNUSED_PAD src0_sel:WORD_1 src1_sel:DWORD
	;; [unrolled: 2-line block ×4, first 2 shown]
	v_pk_fma_f16 v32, v29, v88, v32
	v_pk_fma_f16 v84, v29, v25, v84
	v_pk_fma_f16 v82, v29, v89, v82
	v_pk_fma_f16 v85, v29, v26, v85
	v_pk_fma_f16 v83, v29, v90, v83
	v_pk_fma_f16 v86, v29, v27, v86
	v_pk_fma_f16 v31, v29, v91, v31
	v_pk_fma_f16 v29, v29, v28, v87
	ds_read_b128 v[25:28], v61 offset:368
	s_waitcnt lgkmcnt(0)
	v_mul_u32_u24_sdwa v87, v25, v67 dst_sel:DWORD dst_unused:UNUSED_PAD src0_sel:WORD_0 src1_sel:DWORD
	v_mul_u32_u24_sdwa v25, v25, v67 dst_sel:DWORD dst_unused:UNUSED_PAD src0_sel:WORD_1 src1_sel:DWORD
	v_mul_u32_u24_sdwa v88, v26, v67 dst_sel:DWORD dst_unused:UNUSED_PAD src0_sel:WORD_0 src1_sel:DWORD
	v_mul_u32_u24_sdwa v26, v26, v67 dst_sel:DWORD dst_unused:UNUSED_PAD src0_sel:WORD_1 src1_sel:DWORD
	;; [unrolled: 2-line block ×4, first 2 shown]
	v_pk_fma_f16 v32, v30, v87, v32
	v_pk_fma_f16 v84, v30, v25, v84
	v_pk_fma_f16 v82, v30, v88, v82
	v_pk_fma_f16 v85, v30, v26, v85
	v_pk_fma_f16 v83, v30, v89, v83
	v_pk_fma_f16 v86, v30, v27, v86
	v_pk_fma_f16 v31, v30, v90, v31
	v_pk_fma_f16 v87, v30, v28, v29
	ds_read2_b32 v[29:30], v70 offset1:32
	ds_read_b128 v[25:28], v61 offset:384
	s_waitcnt lgkmcnt(0)
	v_mul_u32_u24_sdwa v88, v25, v67 dst_sel:DWORD dst_unused:UNUSED_PAD src0_sel:WORD_0 src1_sel:DWORD
	v_mul_u32_u24_sdwa v25, v25, v67 dst_sel:DWORD dst_unused:UNUSED_PAD src0_sel:WORD_1 src1_sel:DWORD
	v_mul_u32_u24_sdwa v89, v26, v67 dst_sel:DWORD dst_unused:UNUSED_PAD src0_sel:WORD_0 src1_sel:DWORD
	v_mul_u32_u24_sdwa v26, v26, v67 dst_sel:DWORD dst_unused:UNUSED_PAD src0_sel:WORD_1 src1_sel:DWORD
	v_mul_u32_u24_sdwa v90, v27, v67 dst_sel:DWORD dst_unused:UNUSED_PAD src0_sel:WORD_0 src1_sel:DWORD
	v_mul_u32_u24_sdwa v27, v27, v67 dst_sel:DWORD dst_unused:UNUSED_PAD src0_sel:WORD_1 src1_sel:DWORD
	v_mul_u32_u24_sdwa v91, v28, v67 dst_sel:DWORD dst_unused:UNUSED_PAD src0_sel:WORD_0 src1_sel:DWORD
	v_mul_u32_u24_sdwa v28, v28, v67 dst_sel:DWORD dst_unused:UNUSED_PAD src0_sel:WORD_1 src1_sel:DWORD
	v_pk_fma_f16 v32, v29, v88, v32
	v_pk_fma_f16 v84, v29, v25, v84
	v_pk_fma_f16 v82, v29, v89, v82
	v_pk_fma_f16 v85, v29, v26, v85
	v_pk_fma_f16 v83, v29, v90, v83
	v_pk_fma_f16 v86, v29, v27, v86
	v_pk_fma_f16 v31, v29, v91, v31
	v_pk_fma_f16 v29, v29, v28, v87
	ds_read_b128 v[25:28], v61 offset:400
	s_waitcnt lgkmcnt(0)
	v_mul_u32_u24_sdwa v87, v25, v67 dst_sel:DWORD dst_unused:UNUSED_PAD src0_sel:WORD_0 src1_sel:DWORD
	v_mul_u32_u24_sdwa v25, v25, v67 dst_sel:DWORD dst_unused:UNUSED_PAD src0_sel:WORD_1 src1_sel:DWORD
	v_mul_u32_u24_sdwa v88, v26, v67 dst_sel:DWORD dst_unused:UNUSED_PAD src0_sel:WORD_0 src1_sel:DWORD
	v_mul_u32_u24_sdwa v26, v26, v67 dst_sel:DWORD dst_unused:UNUSED_PAD src0_sel:WORD_1 src1_sel:DWORD
	v_mul_u32_u24_sdwa v89, v27, v67 dst_sel:DWORD dst_unused:UNUSED_PAD src0_sel:WORD_0 src1_sel:DWORD
	v_mul_u32_u24_sdwa v27, v27, v67 dst_sel:DWORD dst_unused:UNUSED_PAD src0_sel:WORD_1 src1_sel:DWORD
	v_mul_u32_u24_sdwa v90, v28, v67 dst_sel:DWORD dst_unused:UNUSED_PAD src0_sel:WORD_0 src1_sel:DWORD
	v_mul_u32_u24_sdwa v28, v28, v67 dst_sel:DWORD dst_unused:UNUSED_PAD src0_sel:WORD_1 src1_sel:DWORD
	v_pk_fma_f16 v32, v30, v87, v32
	v_pk_fma_f16 v84, v30, v25, v84
	v_pk_fma_f16 v82, v30, v88, v82
	v_pk_fma_f16 v85, v30, v26, v85
	v_pk_fma_f16 v83, v30, v89, v83
	v_pk_fma_f16 v86, v30, v27, v86
	v_pk_fma_f16 v31, v30, v90, v31
	v_pk_fma_f16 v87, v30, v28, v29
	ds_read2_b32 v[29:30], v70 offset0:64 offset1:96
	ds_read_b128 v[25:28], v61 offset:416
	s_waitcnt lgkmcnt(0)
	v_mul_u32_u24_sdwa v88, v25, v67 dst_sel:DWORD dst_unused:UNUSED_PAD src0_sel:WORD_0 src1_sel:DWORD
	v_mul_u32_u24_sdwa v25, v25, v67 dst_sel:DWORD dst_unused:UNUSED_PAD src0_sel:WORD_1 src1_sel:DWORD
	v_mul_u32_u24_sdwa v89, v26, v67 dst_sel:DWORD dst_unused:UNUSED_PAD src0_sel:WORD_0 src1_sel:DWORD
	v_mul_u32_u24_sdwa v26, v26, v67 dst_sel:DWORD dst_unused:UNUSED_PAD src0_sel:WORD_1 src1_sel:DWORD
	v_mul_u32_u24_sdwa v90, v27, v67 dst_sel:DWORD dst_unused:UNUSED_PAD src0_sel:WORD_0 src1_sel:DWORD
	v_mul_u32_u24_sdwa v27, v27, v67 dst_sel:DWORD dst_unused:UNUSED_PAD src0_sel:WORD_1 src1_sel:DWORD
	v_mul_u32_u24_sdwa v91, v28, v67 dst_sel:DWORD dst_unused:UNUSED_PAD src0_sel:WORD_0 src1_sel:DWORD
	v_mul_u32_u24_sdwa v28, v28, v67 dst_sel:DWORD dst_unused:UNUSED_PAD src0_sel:WORD_1 src1_sel:DWORD
	v_pk_fma_f16 v32, v29, v88, v32
	v_pk_fma_f16 v84, v29, v25, v84
	v_pk_fma_f16 v82, v29, v89, v82
	v_pk_fma_f16 v85, v29, v26, v85
	v_pk_fma_f16 v83, v29, v90, v83
	v_pk_fma_f16 v86, v29, v27, v86
	v_pk_fma_f16 v31, v29, v91, v31
	v_pk_fma_f16 v29, v29, v28, v87
	ds_read_b128 v[25:28], v61 offset:432
	s_waitcnt lgkmcnt(0)
	v_mul_u32_u24_sdwa v87, v25, v67 dst_sel:DWORD dst_unused:UNUSED_PAD src0_sel:WORD_0 src1_sel:DWORD
	v_mul_u32_u24_sdwa v25, v25, v67 dst_sel:DWORD dst_unused:UNUSED_PAD src0_sel:WORD_1 src1_sel:DWORD
	v_mul_u32_u24_sdwa v88, v26, v67 dst_sel:DWORD dst_unused:UNUSED_PAD src0_sel:WORD_0 src1_sel:DWORD
	v_mul_u32_u24_sdwa v26, v26, v67 dst_sel:DWORD dst_unused:UNUSED_PAD src0_sel:WORD_1 src1_sel:DWORD
	v_mul_u32_u24_sdwa v89, v27, v67 dst_sel:DWORD dst_unused:UNUSED_PAD src0_sel:WORD_0 src1_sel:DWORD
	v_mul_u32_u24_sdwa v27, v27, v67 dst_sel:DWORD dst_unused:UNUSED_PAD src0_sel:WORD_1 src1_sel:DWORD
	v_mul_u32_u24_sdwa v90, v28, v67 dst_sel:DWORD dst_unused:UNUSED_PAD src0_sel:WORD_0 src1_sel:DWORD
	v_mul_u32_u24_sdwa v28, v28, v67 dst_sel:DWORD dst_unused:UNUSED_PAD src0_sel:WORD_1 src1_sel:DWORD
	v_pk_fma_f16 v32, v30, v87, v32
	v_pk_fma_f16 v84, v30, v25, v84
	v_pk_fma_f16 v82, v30, v88, v82
	v_pk_fma_f16 v85, v30, v26, v85
	v_pk_fma_f16 v83, v30, v89, v83
	v_pk_fma_f16 v86, v30, v27, v86
	v_pk_fma_f16 v31, v30, v90, v31
	v_pk_fma_f16 v87, v30, v28, v29
	ds_read2_b32 v[29:30], v70 offset0:128 offset1:160
	;; [unrolled: 37-line block ×3, first 2 shown]
	ds_read_b128 v[25:28], v61 offset:480
	s_waitcnt lgkmcnt(0)
	v_mul_u32_u24_sdwa v88, v25, v67 dst_sel:DWORD dst_unused:UNUSED_PAD src0_sel:WORD_0 src1_sel:DWORD
	v_mul_u32_u24_sdwa v25, v25, v67 dst_sel:DWORD dst_unused:UNUSED_PAD src0_sel:WORD_1 src1_sel:DWORD
	v_mul_u32_u24_sdwa v89, v26, v67 dst_sel:DWORD dst_unused:UNUSED_PAD src0_sel:WORD_0 src1_sel:DWORD
	v_mul_u32_u24_sdwa v26, v26, v67 dst_sel:DWORD dst_unused:UNUSED_PAD src0_sel:WORD_1 src1_sel:DWORD
	;; [unrolled: 2-line block ×4, first 2 shown]
	v_pk_fma_f16 v32, v29, v88, v32
	v_pk_fma_f16 v84, v29, v25, v84
	;; [unrolled: 1-line block ×8, first 2 shown]
	ds_read_b128 v[25:28], v61 offset:496
	s_waitcnt lgkmcnt(0)
	v_mul_u32_u24_sdwa v87, v25, v67 dst_sel:DWORD dst_unused:UNUSED_PAD src0_sel:WORD_0 src1_sel:DWORD
	v_mul_u32_u24_sdwa v25, v25, v67 dst_sel:DWORD dst_unused:UNUSED_PAD src0_sel:WORD_1 src1_sel:DWORD
	v_mul_u32_u24_sdwa v88, v26, v67 dst_sel:DWORD dst_unused:UNUSED_PAD src0_sel:WORD_0 src1_sel:DWORD
	v_mul_u32_u24_sdwa v26, v26, v67 dst_sel:DWORD dst_unused:UNUSED_PAD src0_sel:WORD_1 src1_sel:DWORD
	;; [unrolled: 2-line block ×4, first 2 shown]
	v_pk_fma_f16 v32, v30, v87, v32
	v_pk_fma_f16 v84, v30, v25, v84
	;; [unrolled: 1-line block ×8, first 2 shown]
	ds_read2_b32 v[29:30], v71 offset1:32
	ds_read_b128 v[25:28], v61 offset:512
	s_waitcnt lgkmcnt(0)
	v_mul_u32_u24_sdwa v88, v25, v67 dst_sel:DWORD dst_unused:UNUSED_PAD src0_sel:WORD_0 src1_sel:DWORD
	v_mul_u32_u24_sdwa v25, v25, v67 dst_sel:DWORD dst_unused:UNUSED_PAD src0_sel:WORD_1 src1_sel:DWORD
	v_mul_u32_u24_sdwa v89, v26, v67 dst_sel:DWORD dst_unused:UNUSED_PAD src0_sel:WORD_0 src1_sel:DWORD
	v_mul_u32_u24_sdwa v26, v26, v67 dst_sel:DWORD dst_unused:UNUSED_PAD src0_sel:WORD_1 src1_sel:DWORD
	v_mul_u32_u24_sdwa v90, v27, v67 dst_sel:DWORD dst_unused:UNUSED_PAD src0_sel:WORD_0 src1_sel:DWORD
	v_mul_u32_u24_sdwa v27, v27, v67 dst_sel:DWORD dst_unused:UNUSED_PAD src0_sel:WORD_1 src1_sel:DWORD
	v_mul_u32_u24_sdwa v91, v28, v67 dst_sel:DWORD dst_unused:UNUSED_PAD src0_sel:WORD_0 src1_sel:DWORD
	v_mul_u32_u24_sdwa v28, v28, v67 dst_sel:DWORD dst_unused:UNUSED_PAD src0_sel:WORD_1 src1_sel:DWORD
	v_pk_fma_f16 v32, v29, v88, v32
	v_pk_fma_f16 v84, v29, v25, v84
	v_pk_fma_f16 v82, v29, v89, v82
	v_pk_fma_f16 v85, v29, v26, v85
	v_pk_fma_f16 v83, v29, v90, v83
	v_pk_fma_f16 v86, v29, v27, v86
	v_pk_fma_f16 v31, v29, v91, v31
	v_pk_fma_f16 v29, v29, v28, v87
	ds_read_b128 v[25:28], v61 offset:528
	s_waitcnt lgkmcnt(0)
	v_mul_u32_u24_sdwa v87, v25, v67 dst_sel:DWORD dst_unused:UNUSED_PAD src0_sel:WORD_0 src1_sel:DWORD
	v_mul_u32_u24_sdwa v25, v25, v67 dst_sel:DWORD dst_unused:UNUSED_PAD src0_sel:WORD_1 src1_sel:DWORD
	v_mul_u32_u24_sdwa v88, v26, v67 dst_sel:DWORD dst_unused:UNUSED_PAD src0_sel:WORD_0 src1_sel:DWORD
	v_mul_u32_u24_sdwa v26, v26, v67 dst_sel:DWORD dst_unused:UNUSED_PAD src0_sel:WORD_1 src1_sel:DWORD
	v_mul_u32_u24_sdwa v89, v27, v67 dst_sel:DWORD dst_unused:UNUSED_PAD src0_sel:WORD_0 src1_sel:DWORD
	v_mul_u32_u24_sdwa v27, v27, v67 dst_sel:DWORD dst_unused:UNUSED_PAD src0_sel:WORD_1 src1_sel:DWORD
	v_mul_u32_u24_sdwa v90, v28, v67 dst_sel:DWORD dst_unused:UNUSED_PAD src0_sel:WORD_0 src1_sel:DWORD
	v_mul_u32_u24_sdwa v28, v28, v67 dst_sel:DWORD dst_unused:UNUSED_PAD src0_sel:WORD_1 src1_sel:DWORD
	v_pk_fma_f16 v32, v30, v87, v32
	v_pk_fma_f16 v84, v30, v25, v84
	v_pk_fma_f16 v82, v30, v88, v82
	v_pk_fma_f16 v85, v30, v26, v85
	v_pk_fma_f16 v83, v30, v89, v83
	v_pk_fma_f16 v86, v30, v27, v86
	v_pk_fma_f16 v31, v30, v90, v31
	v_pk_fma_f16 v87, v30, v28, v29
	ds_read2_b32 v[29:30], v71 offset0:64 offset1:96
	ds_read_b128 v[25:28], v61 offset:544
	s_waitcnt lgkmcnt(0)
	v_mul_u32_u24_sdwa v88, v25, v67 dst_sel:DWORD dst_unused:UNUSED_PAD src0_sel:WORD_0 src1_sel:DWORD
	v_mul_u32_u24_sdwa v25, v25, v67 dst_sel:DWORD dst_unused:UNUSED_PAD src0_sel:WORD_1 src1_sel:DWORD
	v_mul_u32_u24_sdwa v89, v26, v67 dst_sel:DWORD dst_unused:UNUSED_PAD src0_sel:WORD_0 src1_sel:DWORD
	v_mul_u32_u24_sdwa v26, v26, v67 dst_sel:DWORD dst_unused:UNUSED_PAD src0_sel:WORD_1 src1_sel:DWORD
	v_mul_u32_u24_sdwa v90, v27, v67 dst_sel:DWORD dst_unused:UNUSED_PAD src0_sel:WORD_0 src1_sel:DWORD
	v_mul_u32_u24_sdwa v27, v27, v67 dst_sel:DWORD dst_unused:UNUSED_PAD src0_sel:WORD_1 src1_sel:DWORD
	v_mul_u32_u24_sdwa v91, v28, v67 dst_sel:DWORD dst_unused:UNUSED_PAD src0_sel:WORD_0 src1_sel:DWORD
	v_mul_u32_u24_sdwa v28, v28, v67 dst_sel:DWORD dst_unused:UNUSED_PAD src0_sel:WORD_1 src1_sel:DWORD
	v_pk_fma_f16 v32, v29, v88, v32
	v_pk_fma_f16 v84, v29, v25, v84
	v_pk_fma_f16 v82, v29, v89, v82
	v_pk_fma_f16 v85, v29, v26, v85
	v_pk_fma_f16 v83, v29, v90, v83
	v_pk_fma_f16 v86, v29, v27, v86
	v_pk_fma_f16 v31, v29, v91, v31
	v_pk_fma_f16 v29, v29, v28, v87
	ds_read_b128 v[25:28], v61 offset:560
	s_waitcnt lgkmcnt(0)
	v_mul_u32_u24_sdwa v87, v25, v67 dst_sel:DWORD dst_unused:UNUSED_PAD src0_sel:WORD_0 src1_sel:DWORD
	v_mul_u32_u24_sdwa v25, v25, v67 dst_sel:DWORD dst_unused:UNUSED_PAD src0_sel:WORD_1 src1_sel:DWORD
	v_mul_u32_u24_sdwa v88, v26, v67 dst_sel:DWORD dst_unused:UNUSED_PAD src0_sel:WORD_0 src1_sel:DWORD
	v_mul_u32_u24_sdwa v26, v26, v67 dst_sel:DWORD dst_unused:UNUSED_PAD src0_sel:WORD_1 src1_sel:DWORD
	v_mul_u32_u24_sdwa v89, v27, v67 dst_sel:DWORD dst_unused:UNUSED_PAD src0_sel:WORD_0 src1_sel:DWORD
	v_mul_u32_u24_sdwa v27, v27, v67 dst_sel:DWORD dst_unused:UNUSED_PAD src0_sel:WORD_1 src1_sel:DWORD
	v_mul_u32_u24_sdwa v90, v28, v67 dst_sel:DWORD dst_unused:UNUSED_PAD src0_sel:WORD_0 src1_sel:DWORD
	v_mul_u32_u24_sdwa v28, v28, v67 dst_sel:DWORD dst_unused:UNUSED_PAD src0_sel:WORD_1 src1_sel:DWORD
	v_pk_fma_f16 v32, v30, v87, v32
	v_pk_fma_f16 v84, v30, v25, v84
	v_pk_fma_f16 v82, v30, v88, v82
	v_pk_fma_f16 v85, v30, v26, v85
	v_pk_fma_f16 v83, v30, v89, v83
	v_pk_fma_f16 v86, v30, v27, v86
	v_pk_fma_f16 v31, v30, v90, v31
	v_pk_fma_f16 v87, v30, v28, v29
	ds_read2_b32 v[29:30], v71 offset0:128 offset1:160
	;; [unrolled: 37-line block ×3, first 2 shown]
	ds_read_b128 v[25:28], v61 offset:608
	s_waitcnt lgkmcnt(0)
	v_mul_u32_u24_sdwa v88, v25, v67 dst_sel:DWORD dst_unused:UNUSED_PAD src0_sel:WORD_0 src1_sel:DWORD
	v_mul_u32_u24_sdwa v25, v25, v67 dst_sel:DWORD dst_unused:UNUSED_PAD src0_sel:WORD_1 src1_sel:DWORD
	v_mul_u32_u24_sdwa v89, v26, v67 dst_sel:DWORD dst_unused:UNUSED_PAD src0_sel:WORD_0 src1_sel:DWORD
	v_mul_u32_u24_sdwa v26, v26, v67 dst_sel:DWORD dst_unused:UNUSED_PAD src0_sel:WORD_1 src1_sel:DWORD
	;; [unrolled: 2-line block ×4, first 2 shown]
	v_pk_fma_f16 v32, v29, v88, v32
	v_pk_fma_f16 v84, v29, v25, v84
	;; [unrolled: 1-line block ×8, first 2 shown]
	ds_read_b128 v[25:28], v61 offset:624
	s_waitcnt lgkmcnt(0)
	v_mul_u32_u24_sdwa v87, v25, v67 dst_sel:DWORD dst_unused:UNUSED_PAD src0_sel:WORD_0 src1_sel:DWORD
	v_mul_u32_u24_sdwa v25, v25, v67 dst_sel:DWORD dst_unused:UNUSED_PAD src0_sel:WORD_1 src1_sel:DWORD
	v_mul_u32_u24_sdwa v88, v26, v67 dst_sel:DWORD dst_unused:UNUSED_PAD src0_sel:WORD_0 src1_sel:DWORD
	v_mul_u32_u24_sdwa v26, v26, v67 dst_sel:DWORD dst_unused:UNUSED_PAD src0_sel:WORD_1 src1_sel:DWORD
	v_mul_u32_u24_sdwa v89, v27, v67 dst_sel:DWORD dst_unused:UNUSED_PAD src0_sel:WORD_0 src1_sel:DWORD
	v_mul_u32_u24_sdwa v27, v27, v67 dst_sel:DWORD dst_unused:UNUSED_PAD src0_sel:WORD_1 src1_sel:DWORD
	v_mul_u32_u24_sdwa v90, v28, v67 dst_sel:DWORD dst_unused:UNUSED_PAD src0_sel:WORD_0 src1_sel:DWORD
	v_mul_u32_u24_sdwa v28, v28, v67 dst_sel:DWORD dst_unused:UNUSED_PAD src0_sel:WORD_1 src1_sel:DWORD
	v_pk_fma_f16 v32, v30, v87, v32
	v_pk_fma_f16 v84, v30, v25, v84
	;; [unrolled: 1-line block ×8, first 2 shown]
	ds_read2_b32 v[29:30], v72 offset1:32
	ds_read_b128 v[25:28], v61 offset:640
	s_waitcnt lgkmcnt(0)
	v_mul_u32_u24_sdwa v88, v25, v67 dst_sel:DWORD dst_unused:UNUSED_PAD src0_sel:WORD_0 src1_sel:DWORD
	v_mul_u32_u24_sdwa v25, v25, v67 dst_sel:DWORD dst_unused:UNUSED_PAD src0_sel:WORD_1 src1_sel:DWORD
	v_mul_u32_u24_sdwa v89, v26, v67 dst_sel:DWORD dst_unused:UNUSED_PAD src0_sel:WORD_0 src1_sel:DWORD
	v_mul_u32_u24_sdwa v26, v26, v67 dst_sel:DWORD dst_unused:UNUSED_PAD src0_sel:WORD_1 src1_sel:DWORD
	v_mul_u32_u24_sdwa v90, v27, v67 dst_sel:DWORD dst_unused:UNUSED_PAD src0_sel:WORD_0 src1_sel:DWORD
	v_mul_u32_u24_sdwa v27, v27, v67 dst_sel:DWORD dst_unused:UNUSED_PAD src0_sel:WORD_1 src1_sel:DWORD
	v_mul_u32_u24_sdwa v91, v28, v67 dst_sel:DWORD dst_unused:UNUSED_PAD src0_sel:WORD_0 src1_sel:DWORD
	v_mul_u32_u24_sdwa v28, v28, v67 dst_sel:DWORD dst_unused:UNUSED_PAD src0_sel:WORD_1 src1_sel:DWORD
	v_pk_fma_f16 v32, v29, v88, v32
	v_pk_fma_f16 v84, v29, v25, v84
	v_pk_fma_f16 v82, v29, v89, v82
	v_pk_fma_f16 v85, v29, v26, v85
	v_pk_fma_f16 v83, v29, v90, v83
	v_pk_fma_f16 v86, v29, v27, v86
	v_pk_fma_f16 v31, v29, v91, v31
	v_pk_fma_f16 v29, v29, v28, v87
	ds_read_b128 v[25:28], v61 offset:656
	s_waitcnt lgkmcnt(0)
	v_mul_u32_u24_sdwa v87, v25, v67 dst_sel:DWORD dst_unused:UNUSED_PAD src0_sel:WORD_0 src1_sel:DWORD
	v_mul_u32_u24_sdwa v25, v25, v67 dst_sel:DWORD dst_unused:UNUSED_PAD src0_sel:WORD_1 src1_sel:DWORD
	v_mul_u32_u24_sdwa v88, v26, v67 dst_sel:DWORD dst_unused:UNUSED_PAD src0_sel:WORD_0 src1_sel:DWORD
	v_mul_u32_u24_sdwa v26, v26, v67 dst_sel:DWORD dst_unused:UNUSED_PAD src0_sel:WORD_1 src1_sel:DWORD
	v_mul_u32_u24_sdwa v89, v27, v67 dst_sel:DWORD dst_unused:UNUSED_PAD src0_sel:WORD_0 src1_sel:DWORD
	v_mul_u32_u24_sdwa v27, v27, v67 dst_sel:DWORD dst_unused:UNUSED_PAD src0_sel:WORD_1 src1_sel:DWORD
	v_mul_u32_u24_sdwa v90, v28, v67 dst_sel:DWORD dst_unused:UNUSED_PAD src0_sel:WORD_0 src1_sel:DWORD
	v_mul_u32_u24_sdwa v28, v28, v67 dst_sel:DWORD dst_unused:UNUSED_PAD src0_sel:WORD_1 src1_sel:DWORD
	v_pk_fma_f16 v32, v30, v87, v32
	v_pk_fma_f16 v84, v30, v25, v84
	v_pk_fma_f16 v82, v30, v88, v82
	v_pk_fma_f16 v85, v30, v26, v85
	v_pk_fma_f16 v83, v30, v89, v83
	v_pk_fma_f16 v86, v30, v27, v86
	v_pk_fma_f16 v31, v30, v90, v31
	v_pk_fma_f16 v87, v30, v28, v29
	ds_read2_b32 v[29:30], v72 offset0:64 offset1:96
	ds_read_b128 v[25:28], v61 offset:672
	s_waitcnt lgkmcnt(0)
	v_mul_u32_u24_sdwa v88, v25, v67 dst_sel:DWORD dst_unused:UNUSED_PAD src0_sel:WORD_0 src1_sel:DWORD
	v_mul_u32_u24_sdwa v25, v25, v67 dst_sel:DWORD dst_unused:UNUSED_PAD src0_sel:WORD_1 src1_sel:DWORD
	v_mul_u32_u24_sdwa v89, v26, v67 dst_sel:DWORD dst_unused:UNUSED_PAD src0_sel:WORD_0 src1_sel:DWORD
	v_mul_u32_u24_sdwa v26, v26, v67 dst_sel:DWORD dst_unused:UNUSED_PAD src0_sel:WORD_1 src1_sel:DWORD
	v_mul_u32_u24_sdwa v90, v27, v67 dst_sel:DWORD dst_unused:UNUSED_PAD src0_sel:WORD_0 src1_sel:DWORD
	v_mul_u32_u24_sdwa v27, v27, v67 dst_sel:DWORD dst_unused:UNUSED_PAD src0_sel:WORD_1 src1_sel:DWORD
	v_mul_u32_u24_sdwa v91, v28, v67 dst_sel:DWORD dst_unused:UNUSED_PAD src0_sel:WORD_0 src1_sel:DWORD
	v_mul_u32_u24_sdwa v28, v28, v67 dst_sel:DWORD dst_unused:UNUSED_PAD src0_sel:WORD_1 src1_sel:DWORD
	v_pk_fma_f16 v32, v29, v88, v32
	v_pk_fma_f16 v84, v29, v25, v84
	v_pk_fma_f16 v82, v29, v89, v82
	v_pk_fma_f16 v85, v29, v26, v85
	v_pk_fma_f16 v83, v29, v90, v83
	v_pk_fma_f16 v86, v29, v27, v86
	v_pk_fma_f16 v31, v29, v91, v31
	v_pk_fma_f16 v29, v29, v28, v87
	ds_read_b128 v[25:28], v61 offset:688
	s_waitcnt lgkmcnt(0)
	v_mul_u32_u24_sdwa v87, v25, v67 dst_sel:DWORD dst_unused:UNUSED_PAD src0_sel:WORD_0 src1_sel:DWORD
	v_mul_u32_u24_sdwa v25, v25, v67 dst_sel:DWORD dst_unused:UNUSED_PAD src0_sel:WORD_1 src1_sel:DWORD
	v_mul_u32_u24_sdwa v88, v26, v67 dst_sel:DWORD dst_unused:UNUSED_PAD src0_sel:WORD_0 src1_sel:DWORD
	v_mul_u32_u24_sdwa v26, v26, v67 dst_sel:DWORD dst_unused:UNUSED_PAD src0_sel:WORD_1 src1_sel:DWORD
	v_mul_u32_u24_sdwa v89, v27, v67 dst_sel:DWORD dst_unused:UNUSED_PAD src0_sel:WORD_0 src1_sel:DWORD
	v_mul_u32_u24_sdwa v27, v27, v67 dst_sel:DWORD dst_unused:UNUSED_PAD src0_sel:WORD_1 src1_sel:DWORD
	v_mul_u32_u24_sdwa v90, v28, v67 dst_sel:DWORD dst_unused:UNUSED_PAD src0_sel:WORD_0 src1_sel:DWORD
	v_mul_u32_u24_sdwa v28, v28, v67 dst_sel:DWORD dst_unused:UNUSED_PAD src0_sel:WORD_1 src1_sel:DWORD
	v_pk_fma_f16 v32, v30, v87, v32
	v_pk_fma_f16 v84, v30, v25, v84
	v_pk_fma_f16 v82, v30, v88, v82
	v_pk_fma_f16 v85, v30, v26, v85
	v_pk_fma_f16 v83, v30, v89, v83
	v_pk_fma_f16 v86, v30, v27, v86
	v_pk_fma_f16 v31, v30, v90, v31
	v_pk_fma_f16 v87, v30, v28, v29
	ds_read2_b32 v[29:30], v72 offset0:128 offset1:160
	;; [unrolled: 37-line block ×3, first 2 shown]
	ds_read_b128 v[25:28], v61 offset:736
	s_waitcnt lgkmcnt(0)
	v_mul_u32_u24_sdwa v88, v25, v67 dst_sel:DWORD dst_unused:UNUSED_PAD src0_sel:WORD_0 src1_sel:DWORD
	v_mul_u32_u24_sdwa v25, v25, v67 dst_sel:DWORD dst_unused:UNUSED_PAD src0_sel:WORD_1 src1_sel:DWORD
	v_mul_u32_u24_sdwa v89, v26, v67 dst_sel:DWORD dst_unused:UNUSED_PAD src0_sel:WORD_0 src1_sel:DWORD
	v_mul_u32_u24_sdwa v26, v26, v67 dst_sel:DWORD dst_unused:UNUSED_PAD src0_sel:WORD_1 src1_sel:DWORD
	;; [unrolled: 2-line block ×4, first 2 shown]
	v_pk_fma_f16 v32, v29, v88, v32
	v_pk_fma_f16 v84, v29, v25, v84
	;; [unrolled: 1-line block ×8, first 2 shown]
	ds_read_b128 v[25:28], v61 offset:752
	s_waitcnt lgkmcnt(0)
	v_mul_u32_u24_sdwa v87, v25, v67 dst_sel:DWORD dst_unused:UNUSED_PAD src0_sel:WORD_0 src1_sel:DWORD
	v_mul_u32_u24_sdwa v25, v25, v67 dst_sel:DWORD dst_unused:UNUSED_PAD src0_sel:WORD_1 src1_sel:DWORD
	v_mul_u32_u24_sdwa v88, v26, v67 dst_sel:DWORD dst_unused:UNUSED_PAD src0_sel:WORD_0 src1_sel:DWORD
	v_mul_u32_u24_sdwa v26, v26, v67 dst_sel:DWORD dst_unused:UNUSED_PAD src0_sel:WORD_1 src1_sel:DWORD
	;; [unrolled: 2-line block ×4, first 2 shown]
	v_pk_fma_f16 v32, v30, v87, v32
	v_pk_fma_f16 v84, v30, v25, v84
	;; [unrolled: 1-line block ×8, first 2 shown]
	ds_read2_b32 v[29:30], v73 offset1:32
	ds_read_b128 v[25:28], v61 offset:768
	s_waitcnt lgkmcnt(0)
	v_mul_u32_u24_sdwa v88, v25, v67 dst_sel:DWORD dst_unused:UNUSED_PAD src0_sel:WORD_0 src1_sel:DWORD
	v_mul_u32_u24_sdwa v25, v25, v67 dst_sel:DWORD dst_unused:UNUSED_PAD src0_sel:WORD_1 src1_sel:DWORD
	v_mul_u32_u24_sdwa v89, v26, v67 dst_sel:DWORD dst_unused:UNUSED_PAD src0_sel:WORD_0 src1_sel:DWORD
	v_mul_u32_u24_sdwa v26, v26, v67 dst_sel:DWORD dst_unused:UNUSED_PAD src0_sel:WORD_1 src1_sel:DWORD
	v_mul_u32_u24_sdwa v90, v27, v67 dst_sel:DWORD dst_unused:UNUSED_PAD src0_sel:WORD_0 src1_sel:DWORD
	v_mul_u32_u24_sdwa v27, v27, v67 dst_sel:DWORD dst_unused:UNUSED_PAD src0_sel:WORD_1 src1_sel:DWORD
	v_mul_u32_u24_sdwa v91, v28, v67 dst_sel:DWORD dst_unused:UNUSED_PAD src0_sel:WORD_0 src1_sel:DWORD
	v_mul_u32_u24_sdwa v28, v28, v67 dst_sel:DWORD dst_unused:UNUSED_PAD src0_sel:WORD_1 src1_sel:DWORD
	v_pk_fma_f16 v32, v29, v88, v32
	v_pk_fma_f16 v84, v29, v25, v84
	v_pk_fma_f16 v82, v29, v89, v82
	v_pk_fma_f16 v85, v29, v26, v85
	v_pk_fma_f16 v83, v29, v90, v83
	v_pk_fma_f16 v86, v29, v27, v86
	v_pk_fma_f16 v31, v29, v91, v31
	v_pk_fma_f16 v29, v29, v28, v87
	ds_read_b128 v[25:28], v61 offset:784
	s_waitcnt lgkmcnt(0)
	v_mul_u32_u24_sdwa v87, v25, v67 dst_sel:DWORD dst_unused:UNUSED_PAD src0_sel:WORD_0 src1_sel:DWORD
	v_mul_u32_u24_sdwa v25, v25, v67 dst_sel:DWORD dst_unused:UNUSED_PAD src0_sel:WORD_1 src1_sel:DWORD
	v_mul_u32_u24_sdwa v88, v26, v67 dst_sel:DWORD dst_unused:UNUSED_PAD src0_sel:WORD_0 src1_sel:DWORD
	v_mul_u32_u24_sdwa v26, v26, v67 dst_sel:DWORD dst_unused:UNUSED_PAD src0_sel:WORD_1 src1_sel:DWORD
	v_mul_u32_u24_sdwa v89, v27, v67 dst_sel:DWORD dst_unused:UNUSED_PAD src0_sel:WORD_0 src1_sel:DWORD
	v_mul_u32_u24_sdwa v27, v27, v67 dst_sel:DWORD dst_unused:UNUSED_PAD src0_sel:WORD_1 src1_sel:DWORD
	v_mul_u32_u24_sdwa v90, v28, v67 dst_sel:DWORD dst_unused:UNUSED_PAD src0_sel:WORD_0 src1_sel:DWORD
	v_mul_u32_u24_sdwa v28, v28, v67 dst_sel:DWORD dst_unused:UNUSED_PAD src0_sel:WORD_1 src1_sel:DWORD
	v_pk_fma_f16 v32, v30, v87, v32
	v_pk_fma_f16 v84, v30, v25, v84
	v_pk_fma_f16 v82, v30, v88, v82
	v_pk_fma_f16 v85, v30, v26, v85
	v_pk_fma_f16 v83, v30, v89, v83
	v_pk_fma_f16 v86, v30, v27, v86
	v_pk_fma_f16 v31, v30, v90, v31
	v_pk_fma_f16 v87, v30, v28, v29
	ds_read2_b32 v[29:30], v73 offset0:64 offset1:96
	ds_read_b128 v[25:28], v61 offset:800
	s_waitcnt lgkmcnt(0)
	v_mul_u32_u24_sdwa v88, v25, v67 dst_sel:DWORD dst_unused:UNUSED_PAD src0_sel:WORD_0 src1_sel:DWORD
	v_mul_u32_u24_sdwa v25, v25, v67 dst_sel:DWORD dst_unused:UNUSED_PAD src0_sel:WORD_1 src1_sel:DWORD
	v_mul_u32_u24_sdwa v89, v26, v67 dst_sel:DWORD dst_unused:UNUSED_PAD src0_sel:WORD_0 src1_sel:DWORD
	v_mul_u32_u24_sdwa v26, v26, v67 dst_sel:DWORD dst_unused:UNUSED_PAD src0_sel:WORD_1 src1_sel:DWORD
	v_mul_u32_u24_sdwa v90, v27, v67 dst_sel:DWORD dst_unused:UNUSED_PAD src0_sel:WORD_0 src1_sel:DWORD
	v_mul_u32_u24_sdwa v27, v27, v67 dst_sel:DWORD dst_unused:UNUSED_PAD src0_sel:WORD_1 src1_sel:DWORD
	v_mul_u32_u24_sdwa v91, v28, v67 dst_sel:DWORD dst_unused:UNUSED_PAD src0_sel:WORD_0 src1_sel:DWORD
	v_mul_u32_u24_sdwa v28, v28, v67 dst_sel:DWORD dst_unused:UNUSED_PAD src0_sel:WORD_1 src1_sel:DWORD
	v_pk_fma_f16 v32, v29, v88, v32
	v_pk_fma_f16 v84, v29, v25, v84
	v_pk_fma_f16 v82, v29, v89, v82
	v_pk_fma_f16 v85, v29, v26, v85
	v_pk_fma_f16 v83, v29, v90, v83
	v_pk_fma_f16 v86, v29, v27, v86
	v_pk_fma_f16 v31, v29, v91, v31
	v_pk_fma_f16 v29, v29, v28, v87
	ds_read_b128 v[25:28], v61 offset:816
	s_waitcnt lgkmcnt(0)
	v_mul_u32_u24_sdwa v87, v25, v67 dst_sel:DWORD dst_unused:UNUSED_PAD src0_sel:WORD_0 src1_sel:DWORD
	v_mul_u32_u24_sdwa v25, v25, v67 dst_sel:DWORD dst_unused:UNUSED_PAD src0_sel:WORD_1 src1_sel:DWORD
	v_mul_u32_u24_sdwa v88, v26, v67 dst_sel:DWORD dst_unused:UNUSED_PAD src0_sel:WORD_0 src1_sel:DWORD
	v_mul_u32_u24_sdwa v26, v26, v67 dst_sel:DWORD dst_unused:UNUSED_PAD src0_sel:WORD_1 src1_sel:DWORD
	v_mul_u32_u24_sdwa v89, v27, v67 dst_sel:DWORD dst_unused:UNUSED_PAD src0_sel:WORD_0 src1_sel:DWORD
	v_mul_u32_u24_sdwa v27, v27, v67 dst_sel:DWORD dst_unused:UNUSED_PAD src0_sel:WORD_1 src1_sel:DWORD
	v_mul_u32_u24_sdwa v90, v28, v67 dst_sel:DWORD dst_unused:UNUSED_PAD src0_sel:WORD_0 src1_sel:DWORD
	v_mul_u32_u24_sdwa v28, v28, v67 dst_sel:DWORD dst_unused:UNUSED_PAD src0_sel:WORD_1 src1_sel:DWORD
	v_pk_fma_f16 v32, v30, v87, v32
	v_pk_fma_f16 v84, v30, v25, v84
	v_pk_fma_f16 v82, v30, v88, v82
	v_pk_fma_f16 v85, v30, v26, v85
	v_pk_fma_f16 v83, v30, v89, v83
	v_pk_fma_f16 v86, v30, v27, v86
	v_pk_fma_f16 v31, v30, v90, v31
	v_pk_fma_f16 v87, v30, v28, v29
	ds_read2_b32 v[29:30], v73 offset0:128 offset1:160
	;; [unrolled: 37-line block ×3, first 2 shown]
	ds_read_b128 v[25:28], v61 offset:864
	s_waitcnt lgkmcnt(0)
	v_mul_u32_u24_sdwa v88, v25, v67 dst_sel:DWORD dst_unused:UNUSED_PAD src0_sel:WORD_0 src1_sel:DWORD
	v_mul_u32_u24_sdwa v25, v25, v67 dst_sel:DWORD dst_unused:UNUSED_PAD src0_sel:WORD_1 src1_sel:DWORD
	v_mul_u32_u24_sdwa v89, v26, v67 dst_sel:DWORD dst_unused:UNUSED_PAD src0_sel:WORD_0 src1_sel:DWORD
	v_mul_u32_u24_sdwa v26, v26, v67 dst_sel:DWORD dst_unused:UNUSED_PAD src0_sel:WORD_1 src1_sel:DWORD
	;; [unrolled: 2-line block ×4, first 2 shown]
	v_pk_fma_f16 v32, v29, v88, v32
	v_pk_fma_f16 v84, v29, v25, v84
	;; [unrolled: 1-line block ×8, first 2 shown]
	ds_read_b128 v[25:28], v61 offset:880
	s_waitcnt lgkmcnt(0)
	v_mul_u32_u24_sdwa v87, v25, v67 dst_sel:DWORD dst_unused:UNUSED_PAD src0_sel:WORD_0 src1_sel:DWORD
	v_mul_u32_u24_sdwa v25, v25, v67 dst_sel:DWORD dst_unused:UNUSED_PAD src0_sel:WORD_1 src1_sel:DWORD
	v_mul_u32_u24_sdwa v88, v26, v67 dst_sel:DWORD dst_unused:UNUSED_PAD src0_sel:WORD_0 src1_sel:DWORD
	v_mul_u32_u24_sdwa v26, v26, v67 dst_sel:DWORD dst_unused:UNUSED_PAD src0_sel:WORD_1 src1_sel:DWORD
	;; [unrolled: 2-line block ×4, first 2 shown]
	v_pk_fma_f16 v32, v30, v87, v32
	v_pk_fma_f16 v84, v30, v25, v84
	;; [unrolled: 1-line block ×8, first 2 shown]
	ds_read2_b32 v[29:30], v74 offset1:32
	ds_read_b128 v[25:28], v61 offset:896
	s_waitcnt lgkmcnt(0)
	v_mul_u32_u24_sdwa v88, v25, v67 dst_sel:DWORD dst_unused:UNUSED_PAD src0_sel:WORD_0 src1_sel:DWORD
	v_mul_u32_u24_sdwa v25, v25, v67 dst_sel:DWORD dst_unused:UNUSED_PAD src0_sel:WORD_1 src1_sel:DWORD
	v_mul_u32_u24_sdwa v89, v26, v67 dst_sel:DWORD dst_unused:UNUSED_PAD src0_sel:WORD_0 src1_sel:DWORD
	v_mul_u32_u24_sdwa v26, v26, v67 dst_sel:DWORD dst_unused:UNUSED_PAD src0_sel:WORD_1 src1_sel:DWORD
	v_mul_u32_u24_sdwa v90, v27, v67 dst_sel:DWORD dst_unused:UNUSED_PAD src0_sel:WORD_0 src1_sel:DWORD
	v_mul_u32_u24_sdwa v27, v27, v67 dst_sel:DWORD dst_unused:UNUSED_PAD src0_sel:WORD_1 src1_sel:DWORD
	v_mul_u32_u24_sdwa v91, v28, v67 dst_sel:DWORD dst_unused:UNUSED_PAD src0_sel:WORD_0 src1_sel:DWORD
	v_mul_u32_u24_sdwa v28, v28, v67 dst_sel:DWORD dst_unused:UNUSED_PAD src0_sel:WORD_1 src1_sel:DWORD
	v_pk_fma_f16 v32, v29, v88, v32
	v_pk_fma_f16 v84, v29, v25, v84
	v_pk_fma_f16 v82, v29, v89, v82
	v_pk_fma_f16 v85, v29, v26, v85
	v_pk_fma_f16 v83, v29, v90, v83
	v_pk_fma_f16 v86, v29, v27, v86
	v_pk_fma_f16 v31, v29, v91, v31
	v_pk_fma_f16 v29, v29, v28, v87
	ds_read_b128 v[25:28], v61 offset:912
	s_waitcnt lgkmcnt(0)
	v_mul_u32_u24_sdwa v87, v25, v67 dst_sel:DWORD dst_unused:UNUSED_PAD src0_sel:WORD_0 src1_sel:DWORD
	v_mul_u32_u24_sdwa v25, v25, v67 dst_sel:DWORD dst_unused:UNUSED_PAD src0_sel:WORD_1 src1_sel:DWORD
	v_mul_u32_u24_sdwa v88, v26, v67 dst_sel:DWORD dst_unused:UNUSED_PAD src0_sel:WORD_0 src1_sel:DWORD
	v_mul_u32_u24_sdwa v26, v26, v67 dst_sel:DWORD dst_unused:UNUSED_PAD src0_sel:WORD_1 src1_sel:DWORD
	v_mul_u32_u24_sdwa v89, v27, v67 dst_sel:DWORD dst_unused:UNUSED_PAD src0_sel:WORD_0 src1_sel:DWORD
	v_mul_u32_u24_sdwa v27, v27, v67 dst_sel:DWORD dst_unused:UNUSED_PAD src0_sel:WORD_1 src1_sel:DWORD
	v_mul_u32_u24_sdwa v90, v28, v67 dst_sel:DWORD dst_unused:UNUSED_PAD src0_sel:WORD_0 src1_sel:DWORD
	v_mul_u32_u24_sdwa v28, v28, v67 dst_sel:DWORD dst_unused:UNUSED_PAD src0_sel:WORD_1 src1_sel:DWORD
	v_pk_fma_f16 v32, v30, v87, v32
	v_pk_fma_f16 v84, v30, v25, v84
	v_pk_fma_f16 v82, v30, v88, v82
	v_pk_fma_f16 v85, v30, v26, v85
	v_pk_fma_f16 v83, v30, v89, v83
	v_pk_fma_f16 v86, v30, v27, v86
	v_pk_fma_f16 v31, v30, v90, v31
	v_pk_fma_f16 v87, v30, v28, v29
	ds_read2_b32 v[29:30], v74 offset0:64 offset1:96
	ds_read_b128 v[25:28], v61 offset:928
	s_waitcnt lgkmcnt(0)
	v_mul_u32_u24_sdwa v88, v25, v67 dst_sel:DWORD dst_unused:UNUSED_PAD src0_sel:WORD_0 src1_sel:DWORD
	v_mul_u32_u24_sdwa v25, v25, v67 dst_sel:DWORD dst_unused:UNUSED_PAD src0_sel:WORD_1 src1_sel:DWORD
	v_mul_u32_u24_sdwa v89, v26, v67 dst_sel:DWORD dst_unused:UNUSED_PAD src0_sel:WORD_0 src1_sel:DWORD
	v_mul_u32_u24_sdwa v26, v26, v67 dst_sel:DWORD dst_unused:UNUSED_PAD src0_sel:WORD_1 src1_sel:DWORD
	v_mul_u32_u24_sdwa v90, v27, v67 dst_sel:DWORD dst_unused:UNUSED_PAD src0_sel:WORD_0 src1_sel:DWORD
	v_mul_u32_u24_sdwa v27, v27, v67 dst_sel:DWORD dst_unused:UNUSED_PAD src0_sel:WORD_1 src1_sel:DWORD
	v_mul_u32_u24_sdwa v91, v28, v67 dst_sel:DWORD dst_unused:UNUSED_PAD src0_sel:WORD_0 src1_sel:DWORD
	v_mul_u32_u24_sdwa v28, v28, v67 dst_sel:DWORD dst_unused:UNUSED_PAD src0_sel:WORD_1 src1_sel:DWORD
	v_pk_fma_f16 v32, v29, v88, v32
	v_pk_fma_f16 v84, v29, v25, v84
	v_pk_fma_f16 v82, v29, v89, v82
	v_pk_fma_f16 v85, v29, v26, v85
	v_pk_fma_f16 v83, v29, v90, v83
	v_pk_fma_f16 v86, v29, v27, v86
	v_pk_fma_f16 v31, v29, v91, v31
	v_pk_fma_f16 v29, v29, v28, v87
	ds_read_b128 v[25:28], v61 offset:944
	s_waitcnt lgkmcnt(0)
	v_mul_u32_u24_sdwa v87, v25, v67 dst_sel:DWORD dst_unused:UNUSED_PAD src0_sel:WORD_0 src1_sel:DWORD
	v_mul_u32_u24_sdwa v25, v25, v67 dst_sel:DWORD dst_unused:UNUSED_PAD src0_sel:WORD_1 src1_sel:DWORD
	v_mul_u32_u24_sdwa v88, v26, v67 dst_sel:DWORD dst_unused:UNUSED_PAD src0_sel:WORD_0 src1_sel:DWORD
	v_mul_u32_u24_sdwa v26, v26, v67 dst_sel:DWORD dst_unused:UNUSED_PAD src0_sel:WORD_1 src1_sel:DWORD
	v_mul_u32_u24_sdwa v89, v27, v67 dst_sel:DWORD dst_unused:UNUSED_PAD src0_sel:WORD_0 src1_sel:DWORD
	v_mul_u32_u24_sdwa v27, v27, v67 dst_sel:DWORD dst_unused:UNUSED_PAD src0_sel:WORD_1 src1_sel:DWORD
	v_mul_u32_u24_sdwa v90, v28, v67 dst_sel:DWORD dst_unused:UNUSED_PAD src0_sel:WORD_0 src1_sel:DWORD
	v_mul_u32_u24_sdwa v28, v28, v67 dst_sel:DWORD dst_unused:UNUSED_PAD src0_sel:WORD_1 src1_sel:DWORD
	v_pk_fma_f16 v32, v30, v87, v32
	v_pk_fma_f16 v84, v30, v25, v84
	v_pk_fma_f16 v82, v30, v88, v82
	v_pk_fma_f16 v85, v30, v26, v85
	v_pk_fma_f16 v83, v30, v89, v83
	v_pk_fma_f16 v86, v30, v27, v86
	v_pk_fma_f16 v31, v30, v90, v31
	v_pk_fma_f16 v87, v30, v28, v29
	ds_read2_b32 v[29:30], v74 offset0:128 offset1:160
	;; [unrolled: 37-line block ×3, first 2 shown]
	ds_read_b128 v[27:30], v61 offset:992
	s_waitcnt lgkmcnt(0)
	v_mul_u32_u24_sdwa v89, v27, v67 dst_sel:DWORD dst_unused:UNUSED_PAD src0_sel:WORD_1 src1_sel:DWORD
	v_mul_u32_u24_sdwa v90, v28, v67 dst_sel:DWORD dst_unused:UNUSED_PAD src0_sel:WORD_0 src1_sel:DWORD
	v_mul_u32_u24_sdwa v91, v28, v67 dst_sel:DWORD dst_unused:UNUSED_PAD src0_sel:WORD_1 src1_sel:DWORD
	v_mul_u32_u24_sdwa v92, v29, v67 dst_sel:DWORD dst_unused:UNUSED_PAD src0_sel:WORD_0 src1_sel:DWORD
	;; [unrolled: 2-line block ×3, first 2 shown]
	v_mul_u32_u24_sdwa v95, v30, v67 dst_sel:DWORD dst_unused:UNUSED_PAD src0_sel:WORD_1 src1_sel:DWORD
	v_pk_fma_f16 v28, v25, v89, v84
	v_pk_fma_f16 v29, v25, v90, v82
	;; [unrolled: 1-line block ×4, first 2 shown]
	ds_read_b128 v[89:92], v61 offset:1008
	s_waitcnt lgkmcnt(0)
	s_barrier
	buffer_gl0_inv
	s_load_dword s11, s[0:1], 0x4
	v_mul_u32_u24_sdwa v88, v27, v67 dst_sel:DWORD dst_unused:UNUSED_PAD src0_sel:WORD_0 src1_sel:DWORD
	v_pk_fma_f16 v85, v25, v93, v86
	v_pk_fma_f16 v86, v25, v94, v31
	;; [unrolled: 1-line block ×4, first 2 shown]
	v_mul_u32_u24_sdwa v31, v89, v67 dst_sel:DWORD dst_unused:UNUSED_PAD src0_sel:WORD_0 src1_sel:DWORD
	v_mul_u32_u24_sdwa v32, v89, v67 dst_sel:DWORD dst_unused:UNUSED_PAD src0_sel:WORD_1 src1_sel:DWORD
	v_mul_u32_u24_sdwa v87, v90, v67 dst_sel:DWORD dst_unused:UNUSED_PAD src0_sel:WORD_0 src1_sel:DWORD
	v_mul_u32_u24_sdwa v88, v90, v67 dst_sel:DWORD dst_unused:UNUSED_PAD src0_sel:WORD_1 src1_sel:DWORD
	;; [unrolled: 2-line block ×4, first 2 shown]
	s_waitcnt lgkmcnt(0)
	s_lshl_b32 s11, s11, 6
	v_pk_fma_f16 v83, v26, v31, v27
	v_pk_fma_f16 v82, v26, v32, v28
	v_pk_fma_f16 v32, v26, v87, v29
	v_pk_fma_f16 v31, v26, v88, v30
	v_pk_fma_f16 v30, v26, v89, v84
	v_pk_fma_f16 v29, v26, v90, v85
	v_pk_fma_f16 v28, v26, v91, v86
	v_pk_fma_f16 v27, v26, v92, v25
	s_add_i32 s15, s11, s15
	s_cmp_ge_i32 s15, s34
	s_cbranch_scc0 .LBB21_9
; %bb.10:
	v_mov_b32_e32 v9, v44
.LBB21_11:
	v_lshlrev_b32_e32 v44, 1, v0
	v_cmp_lt_i32_e32 vcc_lo, v50, v43
	s_cmp_lg_u64 s[16:17], 0
	s_cselect_b32 s0, -1, 0
	s_cmp_eq_u32 s28, 0
	v_cndmask_b32_e32 v10, v9, v50, vcc_lo
	v_cmp_lt_i32_e32 vcc_lo, v48, v43
	s_cselect_b32 s1, -1, 0
	s_and_b32 s0, s1, s0
	v_lshlrev_b32_e32 v10, 2, v10
	v_cndmask_b32_e32 v18, v9, v48, vcc_lo
	v_cmp_lt_i32_e32 vcc_lo, v47, v43
	ds_bpermute_b32 v11, v10, v75
	ds_bpermute_b32 v12, v10, v76
	;; [unrolled: 1-line block ×8, first 2 shown]
	v_lshlrev_b32_e32 v18, 2, v18
	v_cndmask_b32_e32 v26, v9, v47, vcc_lo
	v_cmp_lt_i32_e32 vcc_lo, v46, v43
	v_lshlrev_b32_e32 v26, 2, v26
	s_waitcnt lgkmcnt(7)
	v_add_f32_e32 v11, v75, v11
	s_waitcnt lgkmcnt(6)
	v_add_f32_e32 v12, v76, v12
	;; [unrolled: 2-line block ×8, first 2 shown]
	ds_bpermute_b32 v19, v18, v11
	ds_bpermute_b32 v20, v18, v12
	;; [unrolled: 1-line block ×8, first 2 shown]
	s_waitcnt lgkmcnt(7)
	v_add_f32_e32 v11, v11, v19
	s_waitcnt lgkmcnt(6)
	v_add_f32_e32 v12, v12, v20
	;; [unrolled: 2-line block ×8, first 2 shown]
	ds_bpermute_b32 v18, v26, v11
	ds_bpermute_b32 v19, v26, v12
	;; [unrolled: 1-line block ×8, first 2 shown]
	v_cndmask_b32_e32 v26, v9, v46, vcc_lo
	v_cmp_lt_i32_e32 vcc_lo, v45, v43
	v_lshlrev_b32_e32 v26, 2, v26
	v_cndmask_b32_e32 v9, v9, v45, vcc_lo
	s_and_b32 vcc_lo, exec_lo, s0
	v_lshlrev_b32_e32 v9, 2, v9
	s_waitcnt lgkmcnt(7)
	v_add_f32_e32 v11, v11, v18
	s_waitcnt lgkmcnt(6)
	v_add_f32_e32 v12, v12, v19
	;; [unrolled: 2-line block ×8, first 2 shown]
	ds_bpermute_b32 v18, v26, v11
	ds_bpermute_b32 v19, v26, v12
	;; [unrolled: 1-line block ×8, first 2 shown]
	s_waitcnt lgkmcnt(7)
	v_add_f32_e32 v11, v11, v18
	s_waitcnt lgkmcnt(6)
	v_add_f32_e32 v12, v12, v19
	;; [unrolled: 2-line block ×8, first 2 shown]
	ds_bpermute_b32 v10, v9, v11
	ds_bpermute_b32 v19, v9, v12
	;; [unrolled: 1-line block ×8, first 2 shown]
	s_waitcnt lgkmcnt(7)
	v_add_f32_e32 v9, v11, v10
	s_waitcnt lgkmcnt(6)
	v_add_f32_e32 v10, v12, v19
	;; [unrolled: 2-line block ×8, first 2 shown]
	s_cbranch_vccz .LBB21_13
; %bb.12:
	s_ashr_i32 s31, s30, 31
	v_mov_b32_e32 v17, 0
	s_lshl_b64 s[0:1], s[30:31], 2
	v_max_f32_e32 v18, v2, v2
	s_add_u32 s0, s16, s0
	s_addc_u32 s1, s17, s1
	v_max_f32_e32 v19, v3, v3
	global_load_dwordx4 v[45:48], v17, s[0:1]
	v_max_f32_e32 v17, v1, v1
	v_max_f32_e32 v20, v4, v4
	;; [unrolled: 1-line block ×6, first 2 shown]
	v_mov_b32_e32 v25, 0x10001
	s_waitcnt vmcnt(0)
	v_max_f32_e32 v24, v45, v45
	v_max_f32_e32 v26, v46, v46
	;; [unrolled: 1-line block ×12, first 2 shown]
	v_sub_f32_e32 v26, v1, v17
	v_sub_f32_e32 v49, v2, v18
	;; [unrolled: 1-line block ×8, first 2 shown]
	v_mov_b32_e32 v1, v17
	v_sub_f32_e32 v43, v45, v17
	v_mov_b32_e32 v2, v18
	v_mov_b32_e32 v3, v19
	;; [unrolled: 1-line block ×7, first 2 shown]
	v_mul_f32_e32 v17, 0x3fb8aa3b, v26
	v_sub_f32_e32 v50, v46, v18
	v_mul_f32_e32 v18, 0x3fb8aa3b, v43
	v_sub_f32_e32 v52, v47, v19
	v_mul_f32_e32 v19, 0x3fb8aa3b, v49
	v_fma_f32 v67, 0x3fb8aa3b, v26, -v17
	v_rndne_f32_e32 v68, v17
	v_fma_f32 v69, 0x3fb8aa3b, v43, -v18
	v_rndne_f32_e32 v70, v18
	v_sub_f32_e32 v54, v48, v20
	v_fmac_f32_e32 v67, 0x32a5705f, v26
	v_sub_f32_e32 v17, v17, v68
	v_mul_f32_e32 v20, 0x3fb8aa3b, v50
	v_fma_f32 v71, 0x3fb8aa3b, v49, -v19
	v_rndne_f32_e32 v72, v19
	v_fmac_f32_e32 v69, 0x32a5705f, v43
	v_sub_f32_e32 v18, v18, v70
	v_add_f32_e32 v17, v17, v67
	v_sub_f32_e32 v45, v45, v21
	v_mul_f32_e32 v21, 0x3fb8aa3b, v51
	v_fma_f32 v73, 0x3fb8aa3b, v50, -v20
	v_rndne_f32_e32 v74, v20
	v_fmac_f32_e32 v71, 0x32a5705f, v49
	v_sub_f32_e32 v19, v19, v72
	v_add_f32_e32 v18, v18, v69
	v_exp_f32_e32 v17, v17
	v_sub_f32_e32 v46, v46, v22
	v_mul_f32_e32 v22, 0x3fb8aa3b, v52
	v_fma_f32 v75, 0x3fb8aa3b, v51, -v21
	v_rndne_f32_e32 v76, v21
	v_cvt_i32_f32_e32 v68, v68
	v_fmac_f32_e32 v73, 0x32a5705f, v50
	v_sub_f32_e32 v20, v20, v74
	v_add_f32_e32 v19, v19, v71
	v_exp_f32_e32 v18, v18
	v_sub_f32_e32 v47, v47, v23
	v_mul_f32_e32 v23, 0x3fb8aa3b, v53
	v_fma_f32 v77, 0x3fb8aa3b, v52, -v22
	v_rndne_f32_e32 v78, v22
	v_cvt_i32_f32_e32 v70, v70
	v_fmac_f32_e32 v75, 0x32a5705f, v51
	v_sub_f32_e32 v21, v21, v76
	v_add_f32_e32 v20, v20, v73
	v_exp_f32_e32 v19, v19
	v_ldexp_f32 v17, v17, v68
	v_cmp_ngt_f32_e32 vcc_lo, 0xc2ce8ed0, v26
	v_sub_f32_e32 v48, v48, v24
	v_mul_f32_e32 v24, 0x3fb8aa3b, v54
	v_fma_f32 v79, 0x3fb8aa3b, v53, -v23
	v_rndne_f32_e32 v80, v23
	v_cvt_i32_f32_e32 v72, v72
	v_fmac_f32_e32 v77, 0x32a5705f, v52
	v_sub_f32_e32 v22, v22, v78
	v_add_f32_e32 v21, v21, v75
	v_exp_f32_e32 v20, v20
	v_ldexp_f32 v18, v18, v70
	v_cndmask_b32_e32 v17, 0, v17, vcc_lo
	v_cmp_ngt_f32_e32 vcc_lo, 0xc2ce8ed0, v43
	v_mul_f32_e32 v59, 0x3fb8aa3b, v55
	v_fma_f32 v81, 0x3fb8aa3b, v54, -v24
	v_rndne_f32_e32 v84, v24
	v_cvt_i32_f32_e32 v74, v74
	v_fmac_f32_e32 v79, 0x32a5705f, v53
	v_sub_f32_e32 v23, v23, v80
	v_add_f32_e32 v22, v22, v77
	v_exp_f32_e32 v21, v21
	v_ldexp_f32 v19, v19, v72
	v_cndmask_b32_e32 v18, 0, v18, vcc_lo
	v_cmp_ngt_f32_e32 vcc_lo, 0xc2ce8ed0, v49
	;; [unrolled: 11-line block ×9, first 2 shown]
	v_fma_f32 v99, 0x3fb8aa3b, v48, -v66
	v_rndne_f32_e32 v100, v66
	v_cvt_i32_f32_e32 v92, v92
	v_fmac_f32_e32 v97, 0x32a5705f, v58
	v_sub_f32_e32 v65, v65, v98
	v_add_f32_e32 v64, v64, v95
	v_exp_f32_e32 v63, v63
	v_ldexp_f32 v61, v61, v90
	v_cndmask_b32_e32 v60, 0, v60, vcc_lo
	v_cmp_ngt_f32_e32 vcc_lo, 0xc2ce8ed0, v56
	v_cvt_i32_f32_e32 v94, v94
	v_fmac_f32_e32 v99, 0x32a5705f, v48
	v_sub_f32_e32 v66, v66, v100
	v_add_f32_e32 v65, v65, v97
	v_exp_f32_e32 v64, v64
	v_ldexp_f32 v62, v62, v92
	v_cndmask_b32_e32 v61, 0, v61, vcc_lo
	v_cmp_ngt_f32_e32 vcc_lo, 0xc2ce8ed0, v46
	v_cvt_i32_f32_e32 v96, v96
	v_add_f32_e32 v66, v66, v99
	v_exp_f32_e32 v65, v65
	v_ldexp_f32 v63, v63, v94
	v_cndmask_b32_e32 v62, 0, v62, vcc_lo
	v_cmp_ngt_f32_e32 vcc_lo, 0xc2ce8ed0, v57
	v_cvt_i32_f32_e32 v98, v98
	v_exp_f32_e32 v66, v66
	v_ldexp_f32 v64, v64, v96
	v_cvt_i32_f32_e32 v100, v100
	v_cndmask_b32_e32 v63, 0, v63, vcc_lo
	v_cmp_ngt_f32_e32 vcc_lo, 0xc2ce8ed0, v47
	v_ldexp_f32 v65, v65, v98
	v_cndmask_b32_e32 v64, 0, v64, vcc_lo
	v_cmp_ngt_f32_e32 vcc_lo, 0xc2ce8ed0, v58
	v_ldexp_f32 v66, v66, v100
	v_cndmask_b32_e32 v65, 0, v65, vcc_lo
	v_cmp_ngt_f32_e32 vcc_lo, 0xc2ce8ed0, v48
	v_cndmask_b32_e32 v66, 0, v66, vcc_lo
	v_cmp_nlt_f32_e32 vcc_lo, 0x42b17218, v26
	v_cndmask_b32_e32 v26, 0x7f800000, v17, vcc_lo
	v_cmp_nlt_f32_e32 vcc_lo, 0x42b17218, v43
	;; [unrolled: 2-line block ×3, first 2 shown]
	v_fmac_f32_e32 v17, v9, v26
	v_cndmask_b32_e32 v43, 0x7f800000, v19, vcc_lo
	v_cmp_nlt_f32_e32 vcc_lo, 0x42b17218, v50
	v_cvt_f16_f32_e32 v9, v26
	v_cndmask_b32_e32 v18, 0x7f800000, v20, vcc_lo
	v_cmp_nlt_f32_e32 vcc_lo, 0x42b17218, v51
	v_mul_u32_u24_sdwa v26, v9, v25 dst_sel:DWORD dst_unused:UNUSED_PAD src0_sel:WORD_0 src1_sel:DWORD
	v_mov_b32_e32 v9, v17
	v_fmac_f32_e32 v18, v10, v43
	v_cndmask_b32_e32 v49, 0x7f800000, v21, vcc_lo
	v_cmp_nlt_f32_e32 vcc_lo, 0x42b17218, v52
	v_cvt_f16_f32_e32 v10, v43
	v_pk_mul_f16 v83, v83, v26
	v_cndmask_b32_e32 v19, 0x7f800000, v22, vcc_lo
	v_cmp_nlt_f32_e32 vcc_lo, 0x42b17218, v53
	v_mul_u32_u24_sdwa v43, v10, v25 dst_sel:DWORD dst_unused:UNUSED_PAD src0_sel:WORD_0 src1_sel:DWORD
	v_mov_b32_e32 v10, v18
	v_fmac_f32_e32 v19, v11, v49
	v_cndmask_b32_e32 v50, 0x7f800000, v23, vcc_lo
	v_cmp_nlt_f32_e32 vcc_lo, 0x42b17218, v54
	v_cvt_f16_f32_e32 v11, v49
	v_pk_mul_f16 v82, v82, v43
	v_cndmask_b32_e32 v20, 0x7f800000, v24, vcc_lo
	v_cmp_nlt_f32_e32 vcc_lo, 0x42b17218, v55
	v_fmac_f32_e32 v20, v12, v50
	v_cndmask_b32_e32 v51, 0x7f800000, v59, vcc_lo
	v_cmp_nlt_f32_e32 vcc_lo, 0x42b17218, v45
	v_cvt_f16_f32_e32 v12, v50
	v_cndmask_b32_e32 v21, 0x7f800000, v60, vcc_lo
	v_cmp_nlt_f32_e32 vcc_lo, 0x42b17218, v56
	v_fmac_f32_e32 v21, v13, v51
	v_cndmask_b32_e32 v45, 0x7f800000, v61, vcc_lo
	v_cmp_nlt_f32_e32 vcc_lo, 0x42b17218, v46
	v_cvt_f16_f32_e32 v13, v51
	;; [unrolled: 6-line block ×3, first 2 shown]
	v_mul_u32_u24_sdwa v45, v11, v25 dst_sel:DWORD dst_unused:UNUSED_PAD src0_sel:WORD_0 src1_sel:DWORD
	v_mov_b32_e32 v11, v19
	v_cndmask_b32_e32 v23, 0x7f800000, v64, vcc_lo
	v_cmp_nlt_f32_e32 vcc_lo, 0x42b17218, v58
	v_pk_mul_f16 v32, v32, v45
	v_fmac_f32_e32 v23, v15, v46
	v_cndmask_b32_e32 v47, 0x7f800000, v65, vcc_lo
	v_cmp_nlt_f32_e32 vcc_lo, 0x42b17218, v48
	v_cvt_f16_f32_e32 v15, v46
	v_mul_u32_u24_sdwa v46, v12, v25 dst_sel:DWORD dst_unused:UNUSED_PAD src0_sel:WORD_0 src1_sel:DWORD
	v_mul_u32_u24_sdwa v48, v14, v25 dst_sel:DWORD dst_unused:UNUSED_PAD src0_sel:WORD_0 src1_sel:DWORD
	v_mov_b32_e32 v12, v20
	v_cndmask_b32_e32 v24, 0x7f800000, v66, vcc_lo
	v_mul_u32_u24_sdwa v49, v15, v25 dst_sel:DWORD dst_unused:UNUSED_PAD src0_sel:WORD_0 src1_sel:DWORD
	v_mov_b32_e32 v14, v22
	v_mov_b32_e32 v15, v23
	v_pk_mul_f16 v31, v31, v46
	v_fmac_f32_e32 v24, v16, v47
	v_cvt_f16_f32_e32 v16, v47
	v_mul_u32_u24_sdwa v47, v13, v25 dst_sel:DWORD dst_unused:UNUSED_PAD src0_sel:WORD_0 src1_sel:DWORD
	v_mov_b32_e32 v13, v21
	v_pk_mul_f16 v29, v29, v48
	v_pk_mul_f16 v28, v28, v49
	v_mul_u32_u24_sdwa v16, v16, v25 dst_sel:DWORD dst_unused:UNUSED_PAD src0_sel:WORD_0 src1_sel:DWORD
	v_pk_mul_f16 v30, v30, v47
	v_pk_mul_f16 v27, v27, v16
	v_mov_b32_e32 v16, v24
	s_mov_b32 s0, exec_lo
	v_cmpx_gt_i32_e64 s2, v42
	s_cbranch_execnz .LBB21_14
	s_branch .LBB21_50
.LBB21_13:
	v_mov_b32_e32 v24, v16
	v_mov_b32_e32 v23, v15
	;; [unrolled: 1-line block ×8, first 2 shown]
	s_mov_b32 s0, exec_lo
	v_cmpx_gt_i32_e64 s2, v42
	s_cbranch_execz .LBB21_50
.LBB21_14:
	s_load_dword s1, s[4:5], 0xd4
	v_mov_b32_e32 v42, 1.0
	s_waitcnt lgkmcnt(0)
	s_cmp_lg_u32 s1, 1
	s_cselect_b32 s6, -1, 0
	s_cmp_eq_u32 s1, 1
	s_cselect_b32 s4, -1, 0
	s_and_b32 vcc_lo, exec_lo, s6
	s_cbranch_vccnz .LBB21_16
; %bb.15:
	v_div_scale_f32 v25, null, v9, v9, 1.0
	v_rcp_f32_e32 v26, v25
	v_fma_f32 v42, -v25, v26, 1.0
	v_fmac_f32_e32 v26, v42, v26
	v_div_scale_f32 v42, vcc_lo, 1.0, v9, 1.0
	v_mul_f32_e32 v43, v42, v26
	v_fma_f32 v45, -v25, v43, v42
	v_fmac_f32_e32 v43, v45, v26
	v_fma_f32 v25, -v25, v43, v42
	v_div_fmas_f32 v25, v25, v26, v43
	v_div_fixup_f32 v42, v25, v9, 1.0
.LBB21_16:
	s_mul_i32 s5, s29, s2
	v_mov_b32_e32 v46, 0
	s_add_i32 s5, s5, s14
	v_cmp_eq_u32_e32 vcc_lo, 0, v0
	v_add_nc_u32_e32 v9, s5, v41
	s_and_b32 s7, vcc_lo, s6
	v_mul_lo_u32 v41, v9, s3
	v_add_nc_u32_e32 v9, s30, v41
	v_mad_u64_u32 v[25:26], null, s1, v9, s[28:29]
	v_cvt_f32_f16_e32 v9, v83
	v_cvt_f32_f16_sdwa v26, v83 dst_sel:DWORD dst_unused:UNUSED_PAD src0_sel:WORD_1
	v_mul_f32_e32 v47, v42, v9
	v_lshl_add_u32 v45, v25, 6, v44
	v_mul_f32_e32 v48, v42, v26
	v_lshlrev_b64 v[45:46], 2, v[45:46]
	v_add_co_u32 v42, s0, s20, v45
	v_add_co_ci_u32_e64 v43, null, s21, v46, s0
	global_store_dwordx2 v[42:43], v[47:48], off
	s_and_saveexec_b32 s0, s7
	s_cbranch_execz .LBB21_18
; %bb.17:
	v_ashrrev_i32_e32 v26, 31, v25
	v_mov_b32_e32 v0, v1
	v_mov_b32_e32 v1, v17
	v_lshlrev_b64 v[25:26], 3, v[25:26]
	v_add_co_u32 v25, vcc_lo, s22, v25
	v_add_co_ci_u32_e64 v26, null, s23, v26, vcc_lo
	global_store_dwordx2 v[25:26], v[0:1], off
.LBB21_18:
	s_or_b32 exec_lo, exec_lo, s0
	v_cndmask_b32_e64 v9, 0, 1, s4
	v_mov_b32_e32 v17, 1.0
	s_andn2_b32 vcc_lo, exec_lo, s4
	s_cbranch_vccnz .LBB21_20
; %bb.19:
	v_div_scale_f32 v0, null, v10, v10, 1.0
	v_rcp_f32_e32 v1, v0
	v_fma_f32 v17, -v0, v1, 1.0
	v_fmac_f32_e32 v1, v17, v1
	v_div_scale_f32 v17, vcc_lo, 1.0, v10, 1.0
	v_mul_f32_e32 v25, v17, v1
	v_fma_f32 v26, -v0, v25, v17
	v_fmac_f32_e32 v25, v26, v1
	v_fma_f32 v0, -v0, v25, v17
	v_div_fmas_f32 v0, v0, v1, v25
	v_div_fixup_f32 v17, v0, v10, 1.0
.LBB21_20:
	s_add_i32 s6, s30, 1
	v_mov_b32_e32 v26, 0
	v_add_nc_u32_e32 v0, s6, v41
	v_cvt_f32_f16_sdwa v10, v82 dst_sel:DWORD dst_unused:UNUSED_PAD src0_sel:WORD_1
	v_mad_u64_u32 v[0:1], null, s1, v0, s[28:29]
	v_cvt_f32_f16_e32 v1, v82
	v_mul_f32_e32 v43, v17, v10
	v_mul_f32_e32 v42, v17, v1
	v_lshl_add_u32 v25, v0, 6, v44
	v_lshlrev_b64 v[25:26], 2, v[25:26]
	v_add_co_u32 v25, vcc_lo, s20, v25
	v_add_co_ci_u32_e64 v26, null, s21, v26, vcc_lo
	global_store_dwordx2 v[25:26], v[42:43], off
	s_and_saveexec_b32 s0, s7
	s_cbranch_execz .LBB21_22
; %bb.21:
	v_ashrrev_i32_e32 v1, 31, v0
	v_mov_b32_e32 v17, v2
	v_lshlrev_b64 v[0:1], 3, v[0:1]
	v_add_co_u32 v0, vcc_lo, s22, v0
	v_add_co_ci_u32_e64 v1, null, s23, v1, vcc_lo
	global_store_dwordx2 v[0:1], v[17:18], off
.LBB21_22:
	s_or_b32 exec_lo, exec_lo, s0
	v_cmp_ne_u32_e32 vcc_lo, 1, v9
	v_mov_b32_e32 v2, 1.0
	s_cbranch_vccnz .LBB21_24
; %bb.23:
	v_div_scale_f32 v0, null, v11, v11, 1.0
	v_rcp_f32_e32 v1, v0
	v_fma_f32 v2, -v0, v1, 1.0
	v_fmac_f32_e32 v1, v2, v1
	v_div_scale_f32 v2, vcc_lo, 1.0, v11, 1.0
	v_mul_f32_e32 v10, v2, v1
	v_fma_f32 v17, -v0, v10, v2
	v_fmac_f32_e32 v10, v17, v1
	v_fma_f32 v0, -v0, v10, v2
	v_div_fmas_f32 v0, v0, v1, v10
	v_div_fixup_f32 v2, v0, v11, 1.0
.LBB21_24:
	s_add_i32 s4, s30, 2
	v_mov_b32_e32 v11, 0
	v_add_nc_u32_e32 v0, s4, v41
	v_cvt_f32_f16_sdwa v17, v32 dst_sel:DWORD dst_unused:UNUSED_PAD src0_sel:WORD_1
	v_mad_u64_u32 v[0:1], null, s1, v0, s[28:29]
	v_cvt_f32_f16_e32 v1, v32
	v_mul_f32_e32 v1, v2, v1
	v_lshl_add_u32 v10, v0, 6, v44
	v_mul_f32_e32 v2, v2, v17
	v_lshlrev_b64 v[10:11], 2, v[10:11]
	v_add_co_u32 v10, vcc_lo, s20, v10
	v_add_co_ci_u32_e64 v11, null, s21, v11, vcc_lo
	global_store_dwordx2 v[10:11], v[1:2], off
	s_and_saveexec_b32 s0, s7
	s_cbranch_execz .LBB21_26
; %bb.25:
	v_ashrrev_i32_e32 v1, 31, v0
	v_mov_b32_e32 v18, v3
	v_lshlrev_b64 v[0:1], 3, v[0:1]
	v_add_co_u32 v0, vcc_lo, s22, v0
	v_add_co_ci_u32_e64 v1, null, s23, v1, vcc_lo
	global_store_dwordx2 v[0:1], v[18:19], off
.LBB21_26:
	s_or_b32 exec_lo, exec_lo, s0
	v_cmp_ne_u32_e32 vcc_lo, 1, v9
	v_mov_b32_e32 v2, 1.0
	s_cbranch_vccnz .LBB21_28
; %bb.27:
	v_div_scale_f32 v0, null, v12, v12, 1.0
	v_rcp_f32_e32 v1, v0
	v_fma_f32 v2, -v0, v1, 1.0
	v_fmac_f32_e32 v1, v2, v1
	v_div_scale_f32 v2, vcc_lo, 1.0, v12, 1.0
	v_mul_f32_e32 v3, v2, v1
	v_fma_f32 v10, -v0, v3, v2
	v_fmac_f32_e32 v3, v10, v1
	v_fma_f32 v0, -v0, v3, v2
	v_div_fmas_f32 v0, v0, v1, v3
	v_div_fixup_f32 v2, v0, v12, 1.0
.LBB21_28:
	s_add_i32 s0, s30, 3
	v_mov_b32_e32 v11, 0
	v_add_nc_u32_e32 v0, s0, v41
	v_cvt_f32_f16_sdwa v3, v31 dst_sel:DWORD dst_unused:UNUSED_PAD src0_sel:WORD_1
	v_mad_u64_u32 v[0:1], null, s1, v0, s[28:29]
	v_cvt_f32_f16_e32 v1, v31
	v_mul_f32_e32 v1, v2, v1
	v_lshl_add_u32 v10, v0, 6, v44
	v_mul_f32_e32 v2, v2, v3
	v_lshlrev_b64 v[10:11], 2, v[10:11]
	v_add_co_u32 v10, vcc_lo, s20, v10
	v_add_co_ci_u32_e64 v11, null, s21, v11, vcc_lo
	global_store_dwordx2 v[10:11], v[1:2], off
	s_and_saveexec_b32 s8, s7
	s_cbranch_execz .LBB21_30
; %bb.29:
	v_ashrrev_i32_e32 v1, 31, v0
	v_mov_b32_e32 v19, v4
	v_lshlrev_b64 v[0:1], 3, v[0:1]
	v_add_co_u32 v0, vcc_lo, s22, v0
	v_add_co_ci_u32_e64 v1, null, s23, v1, vcc_lo
	global_store_dwordx2 v[0:1], v[19:20], off
.LBB21_30:
	s_or_b32 exec_lo, exec_lo, s8
	v_cmp_gt_i32_e32 vcc_lo, s2, v40
	s_and_b32 exec_lo, exec_lo, vcc_lo
	s_cbranch_execz .LBB21_50
; %bb.31:
	v_cmp_ne_u32_e32 vcc_lo, 1, v9
	v_mov_b32_e32 v2, 1.0
	s_cbranch_vccnz .LBB21_33
; %bb.32:
	v_div_scale_f32 v0, null, v13, v13, 1.0
	v_rcp_f32_e32 v1, v0
	v_fma_f32 v2, -v0, v1, 1.0
	v_fmac_f32_e32 v1, v2, v1
	v_div_scale_f32 v2, vcc_lo, 1.0, v13, 1.0
	v_mul_f32_e32 v3, v2, v1
	v_fma_f32 v4, -v0, v3, v2
	v_fmac_f32_e32 v3, v4, v1
	v_fma_f32 v0, -v0, v3, v2
	v_div_fmas_f32 v0, v0, v1, v3
	v_div_fixup_f32 v2, v0, v13, 1.0
.LBB21_33:
	v_add_nc_u32_e32 v0, s5, v38
	v_mov_b32_e32 v4, 0
	v_cvt_f32_f16_sdwa v10, v30 dst_sel:DWORD dst_unused:UNUSED_PAD src0_sel:WORD_1
	v_mad_u64_u32 v[0:1], null, v0, s3, s[30:31]
	v_mad_u64_u32 v[0:1], null, s1, v0, s[28:29]
	v_cvt_f32_f16_e32 v1, v30
	v_mul_f32_e32 v1, v2, v1
	v_lshl_add_u32 v3, v0, 6, v44
	v_mul_f32_e32 v2, v2, v10
	v_lshlrev_b64 v[3:4], 2, v[3:4]
	v_add_co_u32 v3, vcc_lo, s20, v3
	v_add_co_ci_u32_e64 v4, null, s21, v4, vcc_lo
	global_store_dwordx2 v[3:4], v[1:2], off
	s_and_saveexec_b32 s8, s7
	s_cbranch_execz .LBB21_35
; %bb.34:
	v_ashrrev_i32_e32 v1, 31, v0
	v_mov_b32_e32 v20, v5
	v_lshlrev_b64 v[0:1], 3, v[0:1]
	v_add_co_u32 v0, vcc_lo, s22, v0
	v_add_co_ci_u32_e64 v1, null, s23, v1, vcc_lo
	global_store_dwordx2 v[0:1], v[20:21], off
.LBB21_35:
	s_or_b32 exec_lo, exec_lo, s8
	v_cmp_gt_i32_e32 vcc_lo, s2, v39
	s_and_b32 exec_lo, exec_lo, vcc_lo
	s_cbranch_execz .LBB21_50
; %bb.36:
	v_cmp_ne_u32_e32 vcc_lo, 1, v9
	v_mov_b32_e32 v2, 1.0
	s_cbranch_vccnz .LBB21_38
; %bb.37:
	v_div_scale_f32 v0, null, v14, v14, 1.0
	v_rcp_f32_e32 v1, v0
	v_fma_f32 v2, -v0, v1, 1.0
	v_fmac_f32_e32 v1, v2, v1
	v_div_scale_f32 v2, vcc_lo, 1.0, v14, 1.0
	v_mul_f32_e32 v3, v2, v1
	v_fma_f32 v4, -v0, v3, v2
	v_fmac_f32_e32 v3, v4, v1
	v_fma_f32 v0, -v0, v3, v2
	v_div_fmas_f32 v0, v0, v1, v3
	v_div_fixup_f32 v2, v0, v14, 1.0
.LBB21_38:
	v_add_nc_u32_e32 v0, s5, v37
	v_mov_b32_e32 v4, 0
	v_cvt_f32_f16_sdwa v5, v29 dst_sel:DWORD dst_unused:UNUSED_PAD src0_sel:WORD_1
	v_mad_u64_u32 v[0:1], null, v0, s3, s[6:7]
	;; [unrolled: 44-line block ×4, first 2 shown]
	v_mad_u64_u32 v[0:1], null, s1, v0, s[28:29]
	v_cvt_f32_f16_e32 v1, v27
	v_mul_f32_e32 v1, v2, v1
	v_lshl_add_u32 v3, v0, 6, v44
	v_mul_f32_e32 v2, v2, v5
	v_lshlrev_b64 v[3:4], 2, v[3:4]
	v_add_co_u32 v3, vcc_lo, s20, v3
	v_add_co_ci_u32_e64 v4, null, s21, v4, vcc_lo
	global_store_dwordx2 v[3:4], v[1:2], off
	s_and_b32 exec_lo, exec_lo, s7
	s_cbranch_execz .LBB21_50
; %bb.49:
	v_ashrrev_i32_e32 v1, 31, v0
	v_mov_b32_e32 v23, v8
	v_lshlrev_b64 v[0:1], 3, v[0:1]
	v_add_co_u32 v0, vcc_lo, s22, v0
	v_add_co_ci_u32_e64 v1, null, s23, v1, vcc_lo
	global_store_dwordx2 v[0:1], v[23:24], off
	s_endpgm
.LBB21_50:
	s_endpgm
	.section	.rodata,"a",@progbits
	.p2align	6, 0x0
	.amdhsa_kernel _ZL15flash_attn_tileILi64ELi64ELi8ELi4ELb0EEvPKcS1_S1_S1_S1_PKiPfP15HIP_vector_typeIfLj2EEffffjfiS5_IjLj3EEiiiiiiiiiiiliiliiiiil
		.amdhsa_group_segment_fixed_size 17408
		.amdhsa_private_segment_fixed_size 0
		.amdhsa_kernarg_size 464
		.amdhsa_user_sgpr_count 6
		.amdhsa_user_sgpr_private_segment_buffer 1
		.amdhsa_user_sgpr_dispatch_ptr 0
		.amdhsa_user_sgpr_queue_ptr 0
		.amdhsa_user_sgpr_kernarg_segment_ptr 1
		.amdhsa_user_sgpr_dispatch_id 0
		.amdhsa_user_sgpr_flat_scratch_init 0
		.amdhsa_user_sgpr_private_segment_size 0
		.amdhsa_wavefront_size32 1
		.amdhsa_uses_dynamic_stack 0
		.amdhsa_system_sgpr_private_segment_wavefront_offset 0
		.amdhsa_system_sgpr_workgroup_id_x 1
		.amdhsa_system_sgpr_workgroup_id_y 1
		.amdhsa_system_sgpr_workgroup_id_z 1
		.amdhsa_system_sgpr_workgroup_info 0
		.amdhsa_system_vgpr_workitem_id 1
		.amdhsa_next_free_vgpr 138
		.amdhsa_next_free_sgpr 43
		.amdhsa_reserve_vcc 1
		.amdhsa_reserve_flat_scratch 0
		.amdhsa_float_round_mode_32 0
		.amdhsa_float_round_mode_16_64 0
		.amdhsa_float_denorm_mode_32 3
		.amdhsa_float_denorm_mode_16_64 3
		.amdhsa_dx10_clamp 1
		.amdhsa_ieee_mode 1
		.amdhsa_fp16_overflow 0
		.amdhsa_workgroup_processor_mode 1
		.amdhsa_memory_ordered 1
		.amdhsa_forward_progress 1
		.amdhsa_shared_vgpr_count 0
		.amdhsa_exception_fp_ieee_invalid_op 0
		.amdhsa_exception_fp_denorm_src 0
		.amdhsa_exception_fp_ieee_div_zero 0
		.amdhsa_exception_fp_ieee_overflow 0
		.amdhsa_exception_fp_ieee_underflow 0
		.amdhsa_exception_fp_ieee_inexact 0
		.amdhsa_exception_int_div_zero 0
	.end_amdhsa_kernel
	.section	.text._ZL15flash_attn_tileILi64ELi64ELi8ELi4ELb0EEvPKcS1_S1_S1_S1_PKiPfP15HIP_vector_typeIfLj2EEffffjfiS5_IjLj3EEiiiiiiiiiiiliiliiiiil,"axG",@progbits,_ZL15flash_attn_tileILi64ELi64ELi8ELi4ELb0EEvPKcS1_S1_S1_S1_PKiPfP15HIP_vector_typeIfLj2EEffffjfiS5_IjLj3EEiiiiiiiiiiiliiliiiiil,comdat
.Lfunc_end21:
	.size	_ZL15flash_attn_tileILi64ELi64ELi8ELi4ELb0EEvPKcS1_S1_S1_S1_PKiPfP15HIP_vector_typeIfLj2EEffffjfiS5_IjLj3EEiiiiiiiiiiiliiliiiiil, .Lfunc_end21-_ZL15flash_attn_tileILi64ELi64ELi8ELi4ELb0EEvPKcS1_S1_S1_S1_PKiPfP15HIP_vector_typeIfLj2EEffffjfiS5_IjLj3EEiiiiiiiiiiiliiliiiiil
                                        ; -- End function
	.set _ZL15flash_attn_tileILi64ELi64ELi8ELi4ELb0EEvPKcS1_S1_S1_S1_PKiPfP15HIP_vector_typeIfLj2EEffffjfiS5_IjLj3EEiiiiiiiiiiiliiliiiiil.num_vgpr, 138
	.set _ZL15flash_attn_tileILi64ELi64ELi8ELi4ELb0EEvPKcS1_S1_S1_S1_PKiPfP15HIP_vector_typeIfLj2EEffffjfiS5_IjLj3EEiiiiiiiiiiiliiliiiiil.num_agpr, 0
	.set _ZL15flash_attn_tileILi64ELi64ELi8ELi4ELb0EEvPKcS1_S1_S1_S1_PKiPfP15HIP_vector_typeIfLj2EEffffjfiS5_IjLj3EEiiiiiiiiiiiliiliiiiil.numbered_sgpr, 43
	.set _ZL15flash_attn_tileILi64ELi64ELi8ELi4ELb0EEvPKcS1_S1_S1_S1_PKiPfP15HIP_vector_typeIfLj2EEffffjfiS5_IjLj3EEiiiiiiiiiiiliiliiiiil.num_named_barrier, 0
	.set _ZL15flash_attn_tileILi64ELi64ELi8ELi4ELb0EEvPKcS1_S1_S1_S1_PKiPfP15HIP_vector_typeIfLj2EEffffjfiS5_IjLj3EEiiiiiiiiiiiliiliiiiil.private_seg_size, 0
	.set _ZL15flash_attn_tileILi64ELi64ELi8ELi4ELb0EEvPKcS1_S1_S1_S1_PKiPfP15HIP_vector_typeIfLj2EEffffjfiS5_IjLj3EEiiiiiiiiiiiliiliiiiil.uses_vcc, 1
	.set _ZL15flash_attn_tileILi64ELi64ELi8ELi4ELb0EEvPKcS1_S1_S1_S1_PKiPfP15HIP_vector_typeIfLj2EEffffjfiS5_IjLj3EEiiiiiiiiiiiliiliiiiil.uses_flat_scratch, 0
	.set _ZL15flash_attn_tileILi64ELi64ELi8ELi4ELb0EEvPKcS1_S1_S1_S1_PKiPfP15HIP_vector_typeIfLj2EEffffjfiS5_IjLj3EEiiiiiiiiiiiliiliiiiil.has_dyn_sized_stack, 0
	.set _ZL15flash_attn_tileILi64ELi64ELi8ELi4ELb0EEvPKcS1_S1_S1_S1_PKiPfP15HIP_vector_typeIfLj2EEffffjfiS5_IjLj3EEiiiiiiiiiiiliiliiiiil.has_recursion, 0
	.set _ZL15flash_attn_tileILi64ELi64ELi8ELi4ELb0EEvPKcS1_S1_S1_S1_PKiPfP15HIP_vector_typeIfLj2EEffffjfiS5_IjLj3EEiiiiiiiiiiiliiliiiiil.has_indirect_call, 0
	.section	.AMDGPU.csdata,"",@progbits
; Kernel info:
; codeLenInByte = 31860
; TotalNumSgprs: 45
; NumVgprs: 138
; ScratchSize: 0
; MemoryBound: 0
; FloatMode: 240
; IeeeMode: 1
; LDSByteSize: 17408 bytes/workgroup (compile time only)
; SGPRBlocks: 0
; VGPRBlocks: 17
; NumSGPRsForWavesPerEU: 45
; NumVGPRsForWavesPerEU: 138
; Occupancy: 7
; WaveLimiterHint : 1
; COMPUTE_PGM_RSRC2:SCRATCH_EN: 0
; COMPUTE_PGM_RSRC2:USER_SGPR: 6
; COMPUTE_PGM_RSRC2:TRAP_HANDLER: 0
; COMPUTE_PGM_RSRC2:TGID_X_EN: 1
; COMPUTE_PGM_RSRC2:TGID_Y_EN: 1
; COMPUTE_PGM_RSRC2:TGID_Z_EN: 1
; COMPUTE_PGM_RSRC2:TIDIG_COMP_CNT: 1
	.section	.text._ZL33flash_attn_stream_k_fixup_uniformILi64ELi8ELi4EEvPfPK15HIP_vector_typeIfLj2EEiiiiiiS1_IjLj3EES5_S5_,"axG",@progbits,_ZL33flash_attn_stream_k_fixup_uniformILi64ELi8ELi4EEvPfPK15HIP_vector_typeIfLj2EEiiiiiiS1_IjLj3EES5_S5_,comdat
	.globl	_ZL33flash_attn_stream_k_fixup_uniformILi64ELi8ELi4EEvPfPK15HIP_vector_typeIfLj2EEiiiiiiS1_IjLj3EES5_S5_ ; -- Begin function _ZL33flash_attn_stream_k_fixup_uniformILi64ELi8ELi4EEvPfPK15HIP_vector_typeIfLj2EEiiiiiiS1_IjLj3EES5_S5_
	.p2align	8
	.type	_ZL33flash_attn_stream_k_fixup_uniformILi64ELi8ELi4EEvPfPK15HIP_vector_typeIfLj2EEiiiiiiS1_IjLj3EES5_S5_,@function
_ZL33flash_attn_stream_k_fixup_uniformILi64ELi8ELi4EEvPfPK15HIP_vector_typeIfLj2EEiiiiiiS1_IjLj3EES5_S5_: ; @_ZL33flash_attn_stream_k_fixup_uniformILi64ELi8ELi4EEvPfPK15HIP_vector_typeIfLj2EEiiiiiiS1_IjLj3EES5_S5_
; %bb.0:
	s_clause 0x2
	s_load_dwordx8 s[12:19], s[4:5], 0x1c
	s_load_dwordx4 s[20:23], s[4:5], 0x3c
	s_load_dwordx2 s[10:11], s[4:5], 0x10
	s_waitcnt lgkmcnt(0)
	s_mul_hi_u32 s0, s15, s6
	s_add_i32 s0, s6, s0
	s_lshr_b32 s0, s0, s16
	s_mul_i32 s1, s0, s17
	s_sub_i32 s2, s6, s1
	s_mul_hi_u32 s1, s2, s18
	s_add_i32 s1, s2, s1
	s_lshr_b32 s1, s1, s19
	s_mul_i32 s3, s1, s20
	s_sub_i32 s2, s2, s3
	s_mul_hi_u32 s3, s2, s21
	s_add_i32 s3, s2, s3
	s_lshr_b32 s3, s3, s22
	s_mul_i32 s9, s3, s23
	s_lshl_b32 s15, s3, 2
	s_sub_i32 s9, s2, s9
	s_lshl_b32 s2, s9, 3
	s_add_i32 s2, s2, s7
	s_cmp_lt_i32 s2, s10
	s_cselect_b32 s2, -1, 0
	s_add_i32 s3, s15, s8
	s_cmp_lt_i32 s3, s13
	s_cselect_b32 s3, -1, 0
	s_and_b32 s2, s2, s3
	s_andn2_b32 vcc_lo, exec_lo, s2
	s_cbranch_vccnz .LBB22_6
; %bb.1:
	s_mul_i32 s0, s0, s10
	s_mul_i32 s10, s1, s13
	s_add_i32 s0, s0, s7
	s_mul_i32 s0, s0, s11
	s_add_i32 s13, s0, s8
	s_load_dwordx4 s[0:3], s[4:5], 0x0
	s_add_i32 s4, s13, s10
	s_mul_i32 s5, s11, s9
	s_add_i32 s4, s4, s15
	s_lshl_b32 s5, s5, 9
	s_lshl_b32 s4, s4, 6
	;; [unrolled: 1-line block ×3, first 2 shown]
	s_add_i32 s5, s5, s4
	s_mul_i32 s4, s14, s6
	v_or_b32_e32 v1, s5, v0
	s_add_i32 s11, s4, s14
	v_ashrrev_i32_e32 v2, 31, v1
	v_lshlrev_b64 v[1:2], 2, v[1:2]
	s_waitcnt lgkmcnt(0)
	v_add_co_u32 v1, vcc_lo, s0, v1
	v_add_co_ci_u32_e64 v2, null, s1, v2, vcc_lo
	s_add_i32 s0, s10, s8
	s_lshl_b32 s1, s11, 5
	s_add_i32 s0, s0, s1
	global_load_dword v5, v[1:2], off
	s_sub_i32 s0, s0, 32
	s_ashr_i32 s1, s0, 31
	s_lshl_b64 s[0:1], s[0:1], 3
	s_add_u32 s0, s2, s0
	s_addc_u32 s1, s3, s1
	s_add_i32 s5, s11, -2
	s_load_dword s13, s[0:1], 0x4
	s_cmp_lt_i32 s5, s4
	s_cbranch_scc1 .LBB22_4
; %bb.2:
	s_lshl_b32 s16, s12, 7
	s_load_dword s15, s[0:1], 0x0
	s_ashr_i32 s17, s16, 31
	s_waitcnt lgkmcnt(0)
	v_mov_b32_e32 v6, s13
	s_lshl_b64 s[0:1], s[16:17], 2
	s_add_u32 s5, s2, s0
	s_addc_u32 s9, s3, s1
	s_add_i32 s6, s6, 1
	s_lshl_b32 s0, s7, 8
	s_lshl_b32 s1, s8, 6
	s_mul_i32 s6, s14, s6
	s_add_i32 s0, s1, s0
	s_lshl_b32 s1, s6, 11
	s_add_i32 s0, s0, s1
	s_lshl_b32 s1, s6, 5
	v_or_b32_e32 v0, s0, v0
	s_lshl_b32 s0, s12, 5
	s_add_i32 s1, s8, s1
	s_add_i32 s6, s11, -1
	s_add_i32 s0, s1, s0
	v_add_nc_u32_e32 v3, 0xfffff000, v0
	v_mov_b32_e32 v0, s15
	s_add_i32 s0, s0, s10
	s_sub_i32 s0, s0, 64
.LBB22_3:                               ; =>This Inner Loop Header: Depth=1
	v_ashrrev_i32_e32 v4, 31, v3
	s_ashr_i32 s1, s0, 31
	s_lshl_b64 s[10:11], s[0:1], 3
	s_add_u32 s10, s2, s10
	v_lshlrev_b64 v[7:8], 2, v[3:4]
	s_addc_u32 s11, s3, s11
	v_add_nc_u32_e32 v3, 0xfffff800, v3
	s_add_i32 s6, s6, -1
	s_sub_i32 s0, s0, 32
	s_cmp_le_i32 s6, s4
	v_add_co_u32 v7, vcc_lo, s5, v7
	v_add_co_ci_u32_e64 v8, null, s9, v8, vcc_lo
	s_load_dwordx2 s[10:11], s[10:11], 0x0
	global_load_dword v4, v[7:8], off
	v_max_f32_e32 v7, v0, v0
	s_waitcnt lgkmcnt(0)
	v_max_f32_e64 v8, s10, s10
	v_max_f32_e32 v7, v7, v8
	v_sub_f32_e32 v8, s10, v7
	v_sub_f32_e32 v0, v0, v7
	v_mul_f32_e32 v9, 0x3fb8aa3b, v8
	v_mul_f32_e32 v12, 0x3fb8aa3b, v0
	v_cmp_ngt_f32_e32 vcc_lo, 0xc2ce8ed0, v8
	v_fma_f32 v10, 0x3fb8aa3b, v8, -v9
	v_rndne_f32_e32 v11, v9
	v_fma_f32 v13, 0x3fb8aa3b, v0, -v12
	v_rndne_f32_e32 v14, v12
	v_fmac_f32_e32 v10, 0x32a5705f, v8
	v_sub_f32_e32 v9, v9, v11
	v_fmac_f32_e32 v13, 0x32a5705f, v0
	v_cvt_i32_f32_e32 v11, v11
	v_add_f32_e32 v9, v9, v10
	v_sub_f32_e32 v10, v12, v14
	v_exp_f32_e32 v9, v9
	v_add_f32_e32 v10, v10, v13
	v_exp_f32_e32 v10, v10
	v_ldexp_f32 v9, v9, v11
	v_cvt_i32_f32_e32 v11, v14
	v_cndmask_b32_e32 v9, 0, v9, vcc_lo
	v_cmp_nlt_f32_e32 vcc_lo, 0x42b17218, v8
	v_ldexp_f32 v10, v10, v11
	v_mov_b32_e32 v11, v6
	v_cndmask_b32_e32 v9, 0x7f800000, v9, vcc_lo
	v_cmp_ngt_f32_e32 vcc_lo, 0xc2ce8ed0, v0
	v_cndmask_b32_e32 v10, 0, v10, vcc_lo
	v_cmp_le_f32_e32 vcc_lo, 0xc1a00000, v8
	v_cndmask_b32_e32 v8, 0, v9, vcc_lo
	v_cmp_nlt_f32_e32 vcc_lo, 0x42b17218, v0
	s_waitcnt vmcnt(1)
	v_mov_b32_e32 v9, v5
	v_cndmask_b32_e32 v5, 0x7f800000, v10, vcc_lo
	v_mul_f32_e32 v10, s11, v8
	v_cmp_le_f32_e32 vcc_lo, 0xc1a00000, v0
	v_mov_b32_e32 v0, v7
	v_mov_b32_e32 v6, v10
	v_cndmask_b32_e32 v12, 0, v5, vcc_lo
	v_fmac_f32_e32 v6, v11, v12
	s_waitcnt vmcnt(0)
	v_mul_f32_e32 v5, v4, v8
	v_fmac_f32_e32 v5, v9, v12
	s_cbranch_scc0 .LBB22_3
	s_branch .LBB22_5
.LBB22_4:
	s_waitcnt lgkmcnt(0)
	v_mov_b32_e32 v6, s13
.LBB22_5:
	s_waitcnt vmcnt(0)
	v_div_scale_f32 v0, null, v6, v6, v5
	v_rcp_f32_e32 v3, v0
	v_fma_f32 v4, -v0, v3, 1.0
	v_fmac_f32_e32 v3, v4, v3
	v_div_scale_f32 v4, vcc_lo, v5, v6, v5
	v_mul_f32_e32 v7, v4, v3
	v_fma_f32 v8, -v0, v7, v4
	v_fmac_f32_e32 v7, v8, v3
	v_fma_f32 v0, -v0, v7, v4
	v_div_fmas_f32 v0, v0, v3, v7
	v_div_fixup_f32 v0, v0, v6, v5
	global_store_dword v[1:2], v0, off
.LBB22_6:
	s_endpgm
	.section	.rodata,"a",@progbits
	.p2align	6, 0x0
	.amdhsa_kernel _ZL33flash_attn_stream_k_fixup_uniformILi64ELi8ELi4EEvPfPK15HIP_vector_typeIfLj2EEiiiiiiS1_IjLj3EES5_S5_
		.amdhsa_group_segment_fixed_size 0
		.amdhsa_private_segment_fixed_size 0
		.amdhsa_kernarg_size 76
		.amdhsa_user_sgpr_count 6
		.amdhsa_user_sgpr_private_segment_buffer 1
		.amdhsa_user_sgpr_dispatch_ptr 0
		.amdhsa_user_sgpr_queue_ptr 0
		.amdhsa_user_sgpr_kernarg_segment_ptr 1
		.amdhsa_user_sgpr_dispatch_id 0
		.amdhsa_user_sgpr_flat_scratch_init 0
		.amdhsa_user_sgpr_private_segment_size 0
		.amdhsa_wavefront_size32 1
		.amdhsa_uses_dynamic_stack 0
		.amdhsa_system_sgpr_private_segment_wavefront_offset 0
		.amdhsa_system_sgpr_workgroup_id_x 1
		.amdhsa_system_sgpr_workgroup_id_y 1
		.amdhsa_system_sgpr_workgroup_id_z 1
		.amdhsa_system_sgpr_workgroup_info 0
		.amdhsa_system_vgpr_workitem_id 0
		.amdhsa_next_free_vgpr 15
		.amdhsa_next_free_sgpr 24
		.amdhsa_reserve_vcc 1
		.amdhsa_reserve_flat_scratch 0
		.amdhsa_float_round_mode_32 0
		.amdhsa_float_round_mode_16_64 0
		.amdhsa_float_denorm_mode_32 3
		.amdhsa_float_denorm_mode_16_64 3
		.amdhsa_dx10_clamp 1
		.amdhsa_ieee_mode 1
		.amdhsa_fp16_overflow 0
		.amdhsa_workgroup_processor_mode 1
		.amdhsa_memory_ordered 1
		.amdhsa_forward_progress 1
		.amdhsa_shared_vgpr_count 0
		.amdhsa_exception_fp_ieee_invalid_op 0
		.amdhsa_exception_fp_denorm_src 0
		.amdhsa_exception_fp_ieee_div_zero 0
		.amdhsa_exception_fp_ieee_overflow 0
		.amdhsa_exception_fp_ieee_underflow 0
		.amdhsa_exception_fp_ieee_inexact 0
		.amdhsa_exception_int_div_zero 0
	.end_amdhsa_kernel
	.section	.text._ZL33flash_attn_stream_k_fixup_uniformILi64ELi8ELi4EEvPfPK15HIP_vector_typeIfLj2EEiiiiiiS1_IjLj3EES5_S5_,"axG",@progbits,_ZL33flash_attn_stream_k_fixup_uniformILi64ELi8ELi4EEvPfPK15HIP_vector_typeIfLj2EEiiiiiiS1_IjLj3EES5_S5_,comdat
.Lfunc_end22:
	.size	_ZL33flash_attn_stream_k_fixup_uniformILi64ELi8ELi4EEvPfPK15HIP_vector_typeIfLj2EEiiiiiiS1_IjLj3EES5_S5_, .Lfunc_end22-_ZL33flash_attn_stream_k_fixup_uniformILi64ELi8ELi4EEvPfPK15HIP_vector_typeIfLj2EEiiiiiiS1_IjLj3EES5_S5_
                                        ; -- End function
	.set _ZL33flash_attn_stream_k_fixup_uniformILi64ELi8ELi4EEvPfPK15HIP_vector_typeIfLj2EEiiiiiiS1_IjLj3EES5_S5_.num_vgpr, 15
	.set _ZL33flash_attn_stream_k_fixup_uniformILi64ELi8ELi4EEvPfPK15HIP_vector_typeIfLj2EEiiiiiiS1_IjLj3EES5_S5_.num_agpr, 0
	.set _ZL33flash_attn_stream_k_fixup_uniformILi64ELi8ELi4EEvPfPK15HIP_vector_typeIfLj2EEiiiiiiS1_IjLj3EES5_S5_.numbered_sgpr, 24
	.set _ZL33flash_attn_stream_k_fixup_uniformILi64ELi8ELi4EEvPfPK15HIP_vector_typeIfLj2EEiiiiiiS1_IjLj3EES5_S5_.num_named_barrier, 0
	.set _ZL33flash_attn_stream_k_fixup_uniformILi64ELi8ELi4EEvPfPK15HIP_vector_typeIfLj2EEiiiiiiS1_IjLj3EES5_S5_.private_seg_size, 0
	.set _ZL33flash_attn_stream_k_fixup_uniformILi64ELi8ELi4EEvPfPK15HIP_vector_typeIfLj2EEiiiiiiS1_IjLj3EES5_S5_.uses_vcc, 1
	.set _ZL33flash_attn_stream_k_fixup_uniformILi64ELi8ELi4EEvPfPK15HIP_vector_typeIfLj2EEiiiiiiS1_IjLj3EES5_S5_.uses_flat_scratch, 0
	.set _ZL33flash_attn_stream_k_fixup_uniformILi64ELi8ELi4EEvPfPK15HIP_vector_typeIfLj2EEiiiiiiS1_IjLj3EES5_S5_.has_dyn_sized_stack, 0
	.set _ZL33flash_attn_stream_k_fixup_uniformILi64ELi8ELi4EEvPfPK15HIP_vector_typeIfLj2EEiiiiiiS1_IjLj3EES5_S5_.has_recursion, 0
	.set _ZL33flash_attn_stream_k_fixup_uniformILi64ELi8ELi4EEvPfPK15HIP_vector_typeIfLj2EEiiiiiiS1_IjLj3EES5_S5_.has_indirect_call, 0
	.section	.AMDGPU.csdata,"",@progbits
; Kernel info:
; codeLenInByte = 848
; TotalNumSgprs: 26
; NumVgprs: 15
; ScratchSize: 0
; MemoryBound: 0
; FloatMode: 240
; IeeeMode: 1
; LDSByteSize: 0 bytes/workgroup (compile time only)
; SGPRBlocks: 0
; VGPRBlocks: 1
; NumSGPRsForWavesPerEU: 26
; NumVGPRsForWavesPerEU: 15
; Occupancy: 16
; WaveLimiterHint : 0
; COMPUTE_PGM_RSRC2:SCRATCH_EN: 0
; COMPUTE_PGM_RSRC2:USER_SGPR: 6
; COMPUTE_PGM_RSRC2:TRAP_HANDLER: 0
; COMPUTE_PGM_RSRC2:TGID_X_EN: 1
; COMPUTE_PGM_RSRC2:TGID_Y_EN: 1
; COMPUTE_PGM_RSRC2:TGID_Z_EN: 1
; COMPUTE_PGM_RSRC2:TIDIG_COMP_CNT: 0
	.section	.text._ZL33flash_attn_stream_k_fixup_generalILi64ELi8ELi4EEvPfPK15HIP_vector_typeIfLj2EEiiiiS1_IjLj3EES5_S5_S5_,"axG",@progbits,_ZL33flash_attn_stream_k_fixup_generalILi64ELi8ELi4EEvPfPK15HIP_vector_typeIfLj2EEiiiiS1_IjLj3EES5_S5_S5_,comdat
	.globl	_ZL33flash_attn_stream_k_fixup_generalILi64ELi8ELi4EEvPfPK15HIP_vector_typeIfLj2EEiiiiS1_IjLj3EES5_S5_S5_ ; -- Begin function _ZL33flash_attn_stream_k_fixup_generalILi64ELi8ELi4EEvPfPK15HIP_vector_typeIfLj2EEiiiiS1_IjLj3EES5_S5_S5_
	.p2align	8
	.type	_ZL33flash_attn_stream_k_fixup_generalILi64ELi8ELi4EEvPfPK15HIP_vector_typeIfLj2EEiiiiS1_IjLj3EES5_S5_S5_,@function
_ZL33flash_attn_stream_k_fixup_generalILi64ELi8ELi4EEvPfPK15HIP_vector_typeIfLj2EEiiiiS1_IjLj3EES5_S5_S5_: ; @_ZL33flash_attn_stream_k_fixup_generalILi64ELi8ELi4EEvPfPK15HIP_vector_typeIfLj2EEiiiiS1_IjLj3EES5_S5_S5_
; %bb.0:
	s_clause 0x1
	s_load_dwordx4 s[0:3], s[4:5], 0x10
	s_load_dword s9, s[4:5], 0x50
	s_mov_b32 s16, 0
	s_waitcnt lgkmcnt(0)
	s_mul_hi_i32 s17, s3, s6
	s_mul_i32 s18, s3, s6
	s_cmp_lg_u64 s[16:17], 0
	s_cbranch_scc0 .LBB23_21
; %bb.1:
	s_add_u32 s10, s9, 0
	s_addc_u32 s11, 0, 0
	s_xor_b64 s[10:11], s[10:11], 0
	v_cvt_f32_u32_e32 v1, s10
	v_cvt_f32_u32_e32 v2, s11
	s_sub_u32 s14, 0, s10
	s_subb_u32 s15, 0, s11
	v_fmamk_f32 v1, v2, 0x4f800000, v1
	v_rcp_f32_e32 v1, v1
	v_mul_f32_e32 v1, 0x5f7ffffc, v1
	v_mul_f32_e32 v2, 0x2f800000, v1
	v_trunc_f32_e32 v2, v2
	v_fmamk_f32 v1, v2, 0xcf800000, v1
	v_cvt_u32_f32_e32 v2, v2
	v_cvt_u32_f32_e32 v1, v1
	v_readfirstlane_b32 s12, v2
	v_readfirstlane_b32 s13, v1
	s_mul_i32 s19, s14, s12
	s_mul_hi_u32 s21, s14, s13
	s_mul_i32 s20, s15, s13
	s_add_i32 s19, s21, s19
	s_mul_i32 s22, s14, s13
	s_add_i32 s19, s19, s20
	s_mul_hi_u32 s21, s13, s22
	s_mul_i32 s24, s13, s19
	s_mul_hi_u32 s23, s12, s22
	s_mul_i32 s20, s12, s22
	s_mul_hi_u32 s22, s13, s19
	s_add_u32 s21, s21, s24
	s_addc_u32 s22, 0, s22
	s_mul_hi_u32 s25, s12, s19
	s_add_u32 s20, s21, s20
	s_mul_i32 s19, s12, s19
	s_addc_u32 s20, s22, s23
	s_addc_u32 s21, s25, 0
	s_add_u32 s19, s20, s19
	s_addc_u32 s20, 0, s21
	s_add_u32 s13, s13, s19
	s_cselect_b32 s19, -1, 0
	s_mul_hi_u32 s21, s14, s13
	s_cmp_lg_u32 s19, 0
	s_mul_i32 s19, s14, s13
	s_addc_u32 s12, s12, s20
	s_mul_i32 s15, s15, s13
	s_mul_i32 s14, s14, s12
	s_mul_hi_u32 s20, s13, s19
	s_add_i32 s14, s21, s14
	s_mul_hi_u32 s21, s12, s19
	s_add_i32 s14, s14, s15
	s_mul_i32 s15, s12, s19
	s_mul_i32 s23, s13, s14
	s_mul_hi_u32 s22, s13, s14
	s_add_u32 s20, s20, s23
	s_addc_u32 s22, 0, s22
	s_mul_hi_u32 s19, s12, s14
	s_add_u32 s15, s20, s15
	s_mul_i32 s14, s12, s14
	s_addc_u32 s15, s22, s21
	s_addc_u32 s19, s19, 0
	s_add_u32 s14, s15, s14
	s_addc_u32 s15, 0, s19
	s_add_u32 s19, s13, s14
	s_cselect_b32 s13, -1, 0
	s_cmp_lg_u32 s13, 0
	s_addc_u32 s20, s12, s15
	s_ashr_i32 s12, s17, 31
	s_add_u32 s14, s18, s12
	s_mov_b32 s13, s12
	s_addc_u32 s15, s17, s12
	s_xor_b64 s[14:15], s[14:15], s[12:13]
	s_mul_i32 s21, s14, s20
	s_mul_hi_u32 s22, s14, s19
	s_mul_hi_u32 s17, s14, s20
	;; [unrolled: 1-line block ×3, first 2 shown]
	s_mul_i32 s19, s15, s19
	s_add_u32 s21, s22, s21
	s_addc_u32 s17, 0, s17
	s_mul_hi_u32 s23, s15, s20
	s_add_u32 s19, s21, s19
	s_mul_i32 s20, s15, s20
	s_addc_u32 s17, s17, s24
	s_addc_u32 s19, s23, 0
	s_add_u32 s17, s17, s20
	s_addc_u32 s19, 0, s19
	s_mul_hi_u32 s20, s10, s17
	s_mul_i32 s21, s10, s19
	s_mul_i32 s22, s11, s17
	s_add_i32 s20, s20, s21
	s_mul_i32 s21, s10, s17
	s_add_i32 s20, s20, s22
	s_sub_i32 s22, s15, s20
	s_sub_u32 s14, s14, s21
	s_cselect_b32 s21, -1, 0
	s_cmp_lg_u32 s21, 0
	s_subb_u32 s22, s22, s11
	s_sub_u32 s23, s14, s10
	s_cselect_b32 s24, -1, 0
	s_cmp_lg_u32 s24, 0
	s_subb_u32 s22, s22, 0
	s_cmp_ge_u32 s22, s11
	s_cselect_b32 s24, -1, 0
	s_cmp_ge_u32 s23, s10
	s_cselect_b32 s23, -1, 0
	s_cmp_eq_u32 s22, s11
	s_cselect_b32 s22, s23, s24
	s_add_u32 s23, s17, 1
	s_addc_u32 s24, s19, 0
	s_add_u32 s25, s17, 2
	s_addc_u32 s26, s19, 0
	s_cmp_lg_u32 s22, 0
	s_cselect_b32 s22, s25, s23
	s_cselect_b32 s23, s26, s24
	s_cmp_lg_u32 s21, 0
	s_subb_u32 s15, s15, s20
	s_cmp_ge_u32 s15, s11
	s_cselect_b32 s20, -1, 0
	s_cmp_ge_u32 s14, s10
	s_cselect_b32 s10, -1, 0
	s_cmp_eq_u32 s15, s11
	s_cselect_b32 s10, s10, s20
	s_cmp_lg_u32 s10, 0
	s_cselect_b32 s11, s23, s19
	s_cselect_b32 s10, s22, s17
	s_xor_b64 s[12:13], s[12:13], 0
	s_xor_b64 s[10:11], s[10:11], s[12:13]
	s_sub_u32 s10, s10, s12
	s_load_dwordx4 s[12:15], s[4:5], 0x44
	s_andn2_b32 vcc_lo, exec_lo, s16
	s_cbranch_vccnz .LBB23_3
.LBB23_2:
	v_cvt_f32_u32_e32 v1, s9
	s_sub_i32 s11, 0, s9
	v_rcp_iflag_f32_e32 v1, v1
	v_mul_f32_e32 v1, 0x4f7ffffe, v1
	v_cvt_u32_f32_e32 v1, v1
	v_readfirstlane_b32 s10, v1
	s_mul_i32 s11, s11, s10
	s_mul_hi_u32 s11, s10, s11
	s_add_i32 s10, s10, s11
	s_mul_hi_u32 s10, s18, s10
	s_mul_i32 s11, s10, s9
	s_waitcnt lgkmcnt(0)
	s_add_i32 s15, s10, 1
	s_sub_i32 s11, s18, s11
	s_sub_i32 s16, s11, s9
	s_cmp_ge_u32 s11, s9
	s_cselect_b32 s10, s15, s10
	s_cselect_b32 s11, s16, s11
	s_add_i32 s15, s10, 1
	s_cmp_ge_u32 s11, s9
	s_cselect_b32 s10, s15, s10
.LBB23_3:
	s_add_i32 s11, s6, 1
	s_mov_b32 s16, 0
	s_mul_hi_i32 s17, s3, s11
	s_mul_i32 s11, s3, s11
	s_cmp_lg_u64 s[16:17], 0
	s_cbranch_scc0 .LBB23_22
; %bb.4:
	s_add_u32 s18, s9, 0
	s_addc_u32 s19, 0, 0
	s_xor_b64 s[18:19], s[18:19], 0
	v_cvt_f32_u32_e32 v1, s18
	v_cvt_f32_u32_e32 v2, s19
	s_sub_u32 s21, 0, s18
	s_subb_u32 s22, 0, s19
	v_fmamk_f32 v1, v2, 0x4f800000, v1
	v_rcp_f32_e32 v1, v1
	v_mul_f32_e32 v1, 0x5f7ffffc, v1
	v_mul_f32_e32 v2, 0x2f800000, v1
	v_trunc_f32_e32 v2, v2
	v_fmamk_f32 v1, v2, 0xcf800000, v1
	v_cvt_u32_f32_e32 v2, v2
	v_cvt_u32_f32_e32 v1, v1
	s_waitcnt lgkmcnt(0)
	v_readfirstlane_b32 s15, v2
	v_readfirstlane_b32 s20, v1
	s_mul_i32 s23, s21, s15
	s_mul_hi_u32 s25, s21, s20
	s_mul_i32 s24, s22, s20
	s_add_i32 s23, s25, s23
	s_mul_i32 s26, s21, s20
	s_add_i32 s23, s23, s24
	s_mul_hi_u32 s25, s20, s26
	s_mul_i32 s28, s20, s23
	s_mul_hi_u32 s27, s15, s26
	s_mul_i32 s24, s15, s26
	s_mul_hi_u32 s26, s20, s23
	s_add_u32 s25, s25, s28
	s_addc_u32 s26, 0, s26
	s_mul_hi_u32 s29, s15, s23
	s_add_u32 s24, s25, s24
	s_mul_i32 s23, s15, s23
	s_addc_u32 s24, s26, s27
	s_addc_u32 s25, s29, 0
	s_add_u32 s23, s24, s23
	s_addc_u32 s24, 0, s25
	s_add_u32 s20, s20, s23
	s_cselect_b32 s23, -1, 0
	s_mul_hi_u32 s25, s21, s20
	s_cmp_lg_u32 s23, 0
	s_mul_i32 s23, s21, s20
	s_addc_u32 s15, s15, s24
	s_mul_i32 s22, s22, s20
	s_mul_i32 s21, s21, s15
	s_mul_hi_u32 s24, s20, s23
	s_add_i32 s21, s25, s21
	s_mul_hi_u32 s25, s15, s23
	s_add_i32 s21, s21, s22
	s_mul_i32 s22, s15, s23
	s_mul_i32 s27, s20, s21
	s_mul_hi_u32 s26, s20, s21
	s_add_u32 s24, s24, s27
	s_addc_u32 s26, 0, s26
	s_mul_hi_u32 s23, s15, s21
	s_add_u32 s22, s24, s22
	s_mul_i32 s21, s15, s21
	s_addc_u32 s22, s26, s25
	s_addc_u32 s23, s23, 0
	s_add_u32 s21, s22, s21
	s_addc_u32 s22, 0, s23
	s_add_u32 s24, s20, s21
	s_cselect_b32 s20, -1, 0
	s_cmp_lg_u32 s20, 0
	s_addc_u32 s15, s15, s22
	s_ashr_i32 s20, s17, 31
	s_add_u32 s22, s11, s20
	s_mov_b32 s21, s20
	s_addc_u32 s23, s17, s20
	s_xor_b64 s[22:23], s[22:23], s[20:21]
	s_mul_i32 s25, s22, s15
	s_mul_hi_u32 s26, s22, s24
	s_mul_hi_u32 s17, s22, s15
	;; [unrolled: 1-line block ×3, first 2 shown]
	s_mul_i32 s24, s23, s24
	s_add_u32 s25, s26, s25
	s_addc_u32 s17, 0, s17
	s_mul_hi_u32 s27, s23, s15
	s_add_u32 s24, s25, s24
	s_mul_i32 s15, s23, s15
	s_addc_u32 s17, s17, s28
	s_addc_u32 s24, s27, 0
	s_add_u32 s15, s17, s15
	s_addc_u32 s17, 0, s24
	s_mul_hi_u32 s24, s18, s15
	s_mul_i32 s25, s18, s17
	s_mul_i32 s26, s19, s15
	s_add_i32 s24, s24, s25
	s_mul_i32 s25, s18, s15
	s_add_i32 s24, s24, s26
	s_sub_i32 s26, s23, s24
	s_sub_u32 s22, s22, s25
	s_cselect_b32 s25, -1, 0
	s_cmp_lg_u32 s25, 0
	s_subb_u32 s26, s26, s19
	s_sub_u32 s27, s22, s18
	s_cselect_b32 s28, -1, 0
	s_cmp_lg_u32 s28, 0
	s_subb_u32 s26, s26, 0
	s_cmp_ge_u32 s26, s19
	s_cselect_b32 s28, -1, 0
	s_cmp_ge_u32 s27, s18
	s_cselect_b32 s27, -1, 0
	s_cmp_eq_u32 s26, s19
	s_cselect_b32 s26, s27, s28
	s_add_u32 s27, s15, 1
	s_addc_u32 s28, s17, 0
	s_add_u32 s29, s15, 2
	s_addc_u32 s30, s17, 0
	s_cmp_lg_u32 s26, 0
	s_cselect_b32 s26, s29, s27
	s_cselect_b32 s27, s30, s28
	s_cmp_lg_u32 s25, 0
	s_subb_u32 s23, s23, s24
	s_cmp_ge_u32 s23, s19
	s_cselect_b32 s24, -1, 0
	s_cmp_ge_u32 s22, s18
	s_cselect_b32 s18, -1, 0
	s_cmp_eq_u32 s23, s19
	s_cselect_b32 s18, s18, s24
	s_cmp_lg_u32 s18, 0
	s_cselect_b32 s19, s27, s17
	s_cselect_b32 s18, s26, s15
	s_xor_b64 s[20:21], s[20:21], 0
	s_xor_b64 s[18:19], s[18:19], s[20:21]
	s_sub_u32 s18, s18, s20
	s_andn2_b32 vcc_lo, exec_lo, s16
	s_cbranch_vccnz .LBB23_6
.LBB23_5:
	v_cvt_f32_u32_e32 v1, s9
	s_sub_i32 s16, 0, s9
	v_rcp_iflag_f32_e32 v1, v1
	v_mul_f32_e32 v1, 0x4f7ffffe, v1
	v_cvt_u32_f32_e32 v1, v1
	s_waitcnt lgkmcnt(0)
	v_readfirstlane_b32 s15, v1
	s_mul_i32 s16, s16, s15
	s_mul_hi_u32 s16, s15, s16
	s_add_i32 s15, s15, s16
	s_mul_hi_u32 s15, s11, s15
	s_mul_i32 s16, s15, s9
	s_sub_i32 s11, s11, s16
	s_add_i32 s16, s15, 1
	s_sub_i32 s17, s11, s9
	s_cmp_ge_u32 s11, s9
	s_cselect_b32 s15, s16, s15
	s_cselect_b32 s11, s17, s11
	s_add_i32 s16, s15, 1
	s_cmp_ge_u32 s11, s9
	s_cselect_b32 s18, s16, s15
.LBB23_6:
	s_cmp_eq_u32 s10, s18
	s_waitcnt lgkmcnt(0)
	s_mul_hi_u32 s11, s10, s12
	s_cselect_b32 s15, -1, 0
	s_add_i32 s11, s11, s10
	s_lshr_b32 s11, s11, s13
	s_mul_i32 s16, s11, s14
	s_cmp_eq_u32 s16, s10
	s_mul_hi_u32 s16, s18, s12
	s_cselect_b32 s17, -1, 0
	s_add_i32 s16, s16, s18
	s_lshr_b32 s16, s16, s13
	s_cmp_eq_u32 s11, s16
	s_mul_i32 s16, s16, s14
	s_cselect_b32 s19, -1, 0
	s_cmp_lg_u32 s16, s18
	s_cselect_b32 s16, -1, 0
	s_or_b32 s15, s15, s17
	s_and_b32 s16, s19, s16
	s_or_b32 s15, s15, s16
	s_and_b32 vcc_lo, exec_lo, s15
	s_cbranch_vccnz .LBB23_24
; %bb.7:
	s_clause 0x1
	s_load_dwordx8 s[20:27], s[4:5], 0x20
	s_load_dword s16, s[4:5], 0x40
	s_waitcnt lgkmcnt(0)
	s_mul_hi_u32 s15, s10, s20
	s_add_i32 s15, s15, s10
	s_lshr_b32 s15, s15, s21
	s_mul_i32 s17, s15, s22
	s_sub_i32 s17, s10, s17
	s_mul_hi_u32 s18, s17, s23
	s_add_i32 s18, s17, s18
	s_lshr_b32 s22, s18, s24
	s_mul_i32 s18, s22, s25
	s_sub_i32 s17, s17, s18
	s_mul_hi_u32 s18, s17, s26
	s_add_i32 s18, s17, s18
	s_lshr_b32 s18, s18, s27
	s_mul_i32 s16, s18, s16
	s_lshl_b32 s24, s18, 2
	s_sub_i32 s16, s17, s16
	s_mul_hi_u32 s17, s16, s12
	s_add_i32 s16, s16, s17
	s_lshr_b32 s23, s16, s13
	s_lshl_b32 s16, s23, 3
	s_add_i32 s16, s16, s7
	s_cmp_lt_i32 s16, s0
	s_cselect_b32 s16, -1, 0
	s_add_i32 s17, s24, s8
	s_cmp_lt_i32 s17, s2
	s_cselect_b32 s17, -1, 0
	s_and_b32 s16, s16, s17
	s_andn2_b32 vcc_lo, exec_lo, s16
	s_cbranch_vccnz .LBB23_24
; %bb.8:
	s_load_dwordx4 s[16:19], s[4:5], 0x0
	s_mov_b32 s4, 0
	s_lshl_b32 s20, s9, 7
	s_mov_b32 s21, s4
	s_lshl_b32 s5, s7, 2
	s_lshl_b64 s[20:21], s[20:21], 2
	s_mul_i32 s0, s15, s0
	s_add_i32 s15, s5, s8
	s_mul_i32 s22, s22, s2
	v_cvt_f32_u32_e32 v4, s9
	v_rcp_iflag_f32_e32 v4, v4
	s_waitcnt lgkmcnt(0)
	s_add_u32 s20, s18, s20
	s_addc_u32 s21, s19, s21
	s_add_i32 s0, s0, s7
	s_mul_i32 s0, s0, s1
	s_mul_i32 s1, s1, s23
	s_add_i32 s0, s0, s8
	s_lshl_b32 s1, s1, 9
	s_add_i32 s0, s0, s22
	v_mul_f32_e32 v4, 0x4f7ffffe, v4
	s_add_i32 s0, s0, s24
	s_lshl_b32 s0, s0, 6
	s_add_i32 s1, s1, s0
	s_lshl_b32 s0, s6, 5
	v_or_b32_e32 v1, s1, v0
	s_add_i32 s0, s15, s0
	v_lshl_or_b32 v0, s15, 6, v0
	s_ashr_i32 s1, s0, 31
	v_cvt_u32_f32_e32 v4, v4
	v_ashrrev_i32_e32 v2, 31, v1
	s_lshl_b64 s[0:1], s[0:1], 3
	s_add_u32 s0, s18, s0
	s_addc_u32 s1, s19, s1
	v_lshlrev_b64 v[1:2], 2, v[1:2]
	s_load_dwordx2 s[0:1], s[0:1], 0x0
	s_add_i32 s8, s6, -1
	s_sub_i32 s2, 0, s9
	v_add_co_u32 v1, vcc_lo, s16, v1
	v_add_co_ci_u32_e64 v2, null, s17, v2, vcc_lo
	global_load_dword v3, v[1:2], off
	s_waitcnt lgkmcnt(0)
	v_mov_b32_e32 v5, s1
	v_mov_b32_e32 v6, s0
.LBB23_9:                               ; =>This Inner Loop Header: Depth=1
	s_mul_hi_i32 s5, s8, s3
	s_mul_i32 s6, s8, s3
	s_cmp_lg_u64 s[4:5], 0
	s_mov_b32 s7, -1
                                        ; implicit-def: $sgpr0_sgpr1
	s_cbranch_scc0 .LBB23_11
; %bb.10:                               ;   in Loop: Header=BB23_9 Depth=1
	s_add_u32 s0, s9, 0
	s_addc_u32 s1, 0, 0
	s_xor_b64 s[0:1], s[0:1], 0
	v_cvt_f32_u32_e32 v7, s0
	v_cvt_f32_u32_e32 v8, s1
	s_sub_u32 s17, 0, s0
	s_subb_u32 s22, 0, s1
	v_fmac_f32_e32 v7, 0x4f800000, v8
	v_rcp_f32_e32 v7, v7
	v_mul_f32_e32 v7, 0x5f7ffffc, v7
	v_mul_f32_e32 v8, 0x2f800000, v7
	v_trunc_f32_e32 v8, v8
	v_fmac_f32_e32 v7, 0xcf800000, v8
	v_cvt_u32_f32_e32 v8, v8
	v_cvt_u32_f32_e32 v7, v7
	v_readfirstlane_b32 s7, v8
	v_readfirstlane_b32 s16, v7
	s_mul_i32 s23, s17, s7
	s_mul_hi_u32 s25, s17, s16
	s_mul_i32 s24, s22, s16
	s_add_i32 s23, s25, s23
	s_mul_i32 s26, s17, s16
	s_add_i32 s23, s23, s24
	s_mul_hi_u32 s25, s16, s26
	s_mul_i32 s28, s16, s23
	s_mul_hi_u32 s27, s7, s26
	s_mul_i32 s24, s7, s26
	s_mul_hi_u32 s26, s16, s23
	s_add_u32 s25, s25, s28
	s_addc_u32 s26, 0, s26
	s_mul_hi_u32 s29, s7, s23
	s_add_u32 s24, s25, s24
	s_mul_i32 s23, s7, s23
	s_addc_u32 s24, s26, s27
	s_addc_u32 s25, s29, 0
	s_add_u32 s23, s24, s23
	s_addc_u32 s24, 0, s25
	s_add_u32 s16, s16, s23
	s_cselect_b32 s23, -1, 0
	s_mul_hi_u32 s25, s17, s16
	s_cmp_lg_u32 s23, 0
	s_mul_i32 s23, s17, s16
	s_addc_u32 s7, s7, s24
	s_mul_i32 s22, s22, s16
	s_mul_i32 s17, s17, s7
	s_mul_hi_u32 s24, s16, s23
	s_add_i32 s17, s25, s17
	s_mul_hi_u32 s25, s7, s23
	s_add_i32 s17, s17, s22
	s_mul_i32 s22, s7, s23
	s_mul_i32 s27, s16, s17
	s_mul_hi_u32 s26, s16, s17
	s_add_u32 s24, s24, s27
	s_addc_u32 s26, 0, s26
	s_mul_hi_u32 s23, s7, s17
	s_add_u32 s22, s24, s22
	s_mul_i32 s17, s7, s17
	s_addc_u32 s22, s26, s25
	s_addc_u32 s23, s23, 0
	s_add_u32 s17, s22, s17
	s_addc_u32 s22, 0, s23
	s_add_u32 s24, s16, s17
	s_cselect_b32 s16, -1, 0
	s_cmp_lg_u32 s16, 0
	s_addc_u32 s7, s7, s22
	s_ashr_i32 s16, s5, 31
	s_add_u32 s22, s6, s16
	s_mov_b32 s17, s16
	s_addc_u32 s23, s5, s16
	s_xor_b64 s[22:23], s[22:23], s[16:17]
	s_mul_i32 s25, s22, s7
	s_mul_hi_u32 s26, s22, s24
	s_mul_hi_u32 s5, s22, s7
	;; [unrolled: 1-line block ×3, first 2 shown]
	s_mul_i32 s24, s23, s24
	s_add_u32 s25, s26, s25
	s_addc_u32 s5, 0, s5
	s_mul_hi_u32 s27, s23, s7
	s_add_u32 s24, s25, s24
	s_mul_i32 s7, s23, s7
	s_addc_u32 s5, s5, s28
	s_addc_u32 s24, s27, 0
	s_add_u32 s5, s5, s7
	s_addc_u32 s7, 0, s24
	s_mul_hi_u32 s24, s0, s5
	s_mul_i32 s25, s0, s7
	s_mul_i32 s26, s1, s5
	s_add_i32 s24, s24, s25
	s_mul_i32 s25, s0, s5
	s_add_i32 s24, s24, s26
	s_sub_i32 s26, s23, s24
	s_sub_u32 s22, s22, s25
	s_cselect_b32 s25, -1, 0
	s_cmp_lg_u32 s25, 0
	s_subb_u32 s26, s26, s1
	s_sub_u32 s27, s22, s0
	s_cselect_b32 s28, -1, 0
	s_cmp_lg_u32 s28, 0
	s_subb_u32 s26, s26, 0
	s_cmp_ge_u32 s26, s1
	s_cselect_b32 s28, -1, 0
	s_cmp_ge_u32 s27, s0
	s_cselect_b32 s27, -1, 0
	s_cmp_eq_u32 s26, s1
	s_cselect_b32 s26, s27, s28
	s_add_u32 s27, s5, 1
	s_addc_u32 s28, s7, 0
	s_add_u32 s29, s5, 2
	s_addc_u32 s30, s7, 0
	s_cmp_lg_u32 s26, 0
	s_cselect_b32 s26, s29, s27
	s_cselect_b32 s27, s30, s28
	s_cmp_lg_u32 s25, 0
	s_subb_u32 s23, s23, s24
	s_cmp_ge_u32 s23, s1
	s_cselect_b32 s24, -1, 0
	s_cmp_ge_u32 s22, s0
	s_cselect_b32 s0, -1, 0
	s_cmp_eq_u32 s23, s1
	s_cselect_b32 s0, s0, s24
	s_cmp_lg_u32 s0, 0
	s_cselect_b32 s1, s27, s7
	s_cselect_b32 s0, s26, s5
	s_xor_b64 s[16:17], s[16:17], 0
	s_mov_b32 s7, 0
	s_xor_b64 s[0:1], s[0:1], s[16:17]
	s_sub_u32 s0, s0, s16
.LBB23_11:                              ;   in Loop: Header=BB23_9 Depth=1
	s_andn2_b32 vcc_lo, exec_lo, s7
	s_cbranch_vccnz .LBB23_13
; %bb.12:                               ;   in Loop: Header=BB23_9 Depth=1
	v_readfirstlane_b32 s0, v4
	s_mul_i32 s1, s2, s0
	s_mul_hi_u32 s1, s0, s1
	s_add_i32 s0, s0, s1
	s_mul_hi_u32 s0, s6, s0
	s_mul_i32 s1, s0, s9
	s_add_i32 s5, s0, 1
	s_sub_i32 s1, s6, s1
	s_sub_i32 s6, s1, s9
	s_cmp_ge_u32 s1, s9
	s_cselect_b32 s0, s5, s0
	s_cselect_b32 s1, s6, s1
	s_add_i32 s5, s0, 1
	s_cmp_ge_u32 s1, s9
	s_cselect_b32 s0, s5, s0
.LBB23_13:                              ;   in Loop: Header=BB23_9 Depth=1
	s_cmp_lg_u32 s10, s0
	s_mov_b32 s6, -1
                                        ; implicit-def: $sgpr5
                                        ; implicit-def: $vgpr8
                                        ; implicit-def: $vgpr7
                                        ; implicit-def: $vgpr9
                                        ; implicit-def: $sgpr1
                                        ; implicit-def: $sgpr16
	s_cbranch_scc0 .LBB23_18
; %bb.14:                               ;   in Loop: Header=BB23_9 Depth=1
	s_add_i32 s1, s8, s9
	s_mov_b32 s7, s4
	s_lshl_b32 s1, s1, 5
	s_mov_b32 s16, s10
	s_add_i32 s6, s1, s15
	s_mul_hi_u32 s1, s0, s12
	s_lshl_b64 s[6:7], s[6:7], 3
	s_add_u32 s6, s18, s6
	s_addc_u32 s7, s19, s7
	s_add_i32 s1, s1, s0
	s_lshr_b32 s1, s1, s13
	s_mul_i32 s5, s1, s14
	s_cmp_eq_u32 s5, s0
	s_cselect_b32 s5, -1, 0
	s_cmp_lt_u32 s1, s11
	s_cselect_b32 s1, -1, 0
	s_or_b32 s1, s1, s5
	s_mov_b32 s5, -1
	s_and_b32 vcc_lo, exec_lo, s1
	s_mov_b32 s1, s8
	s_cbranch_vccnz .LBB23_16
; %bb.15:                               ;   in Loop: Header=BB23_9 Depth=1
	s_add_i32 s1, s8, -1
	s_mov_b32 s5, 0
	s_mov_b32 s16, s0
.LBB23_16:                              ;   in Loop: Header=BB23_9 Depth=1
	v_lshl_add_u32 v7, s8, 11, v0
	s_load_dwordx2 s[6:7], s[6:7], 0x0
	v_ashrrev_i32_e32 v8, 31, v7
	v_lshlrev_b64 v[7:8], 2, v[7:8]
	v_add_co_u32 v7, vcc_lo, s20, v7
	v_add_co_ci_u32_e64 v8, null, s21, v8, vcc_lo
	s_waitcnt lgkmcnt(0)
	v_max_f32_e64 v9, s6, s6
	global_load_dword v8, v[7:8], off
	v_max_f32_e32 v7, v6, v6
	v_max_f32_e32 v7, v7, v9
	v_sub_f32_e32 v9, s6, v7
	v_sub_f32_e32 v10, v6, v7
	v_mul_f32_e32 v11, 0x3fb8aa3b, v9
	v_mul_f32_e32 v12, 0x3fb8aa3b, v10
	v_cmp_ngt_f32_e32 vcc_lo, 0xc2ce8ed0, v9
	v_fma_f32 v13, 0x3fb8aa3b, v9, -v11
	v_rndne_f32_e32 v14, v11
	v_fma_f32 v15, 0x3fb8aa3b, v10, -v12
	v_rndne_f32_e32 v16, v12
	v_fmac_f32_e32 v13, 0x32a5705f, v9
	v_sub_f32_e32 v11, v11, v14
	v_fmac_f32_e32 v15, 0x32a5705f, v10
	v_sub_f32_e32 v12, v12, v16
	v_add_f32_e32 v11, v11, v13
	v_cvt_i32_f32_e32 v13, v14
	v_add_f32_e32 v12, v12, v15
	v_cvt_i32_f32_e32 v14, v16
	v_exp_f32_e32 v11, v11
	v_exp_f32_e32 v12, v12
	v_ldexp_f32 v11, v11, v13
	v_ldexp_f32 v12, v12, v14
	v_cndmask_b32_e32 v11, 0, v11, vcc_lo
	v_cmp_ngt_f32_e32 vcc_lo, 0xc2ce8ed0, v10
	v_cndmask_b32_e32 v12, 0, v12, vcc_lo
	v_cmp_nlt_f32_e32 vcc_lo, 0x42b17218, v9
	v_cndmask_b32_e32 v11, 0x7f800000, v11, vcc_lo
	v_cmp_nlt_f32_e32 vcc_lo, 0x42b17218, v10
	v_cndmask_b32_e32 v12, 0x7f800000, v12, vcc_lo
	v_cmp_le_f32_e32 vcc_lo, 0xc1a00000, v9
	v_cndmask_b32_e32 v9, 0, v11, vcc_lo
	v_cmp_le_f32_e32 vcc_lo, 0xc1a00000, v10
	v_cndmask_b32_e32 v10, 0, v12, vcc_lo
	s_waitcnt vmcnt(0)
	v_mul_f32_e32 v8, v8, v9
	v_mul_f32_e32 v9, s7, v9
	v_fmac_f32_e32 v8, v3, v10
	v_fmac_f32_e32 v9, v5, v10
	s_cbranch_execz .LBB23_19
.LBB23_17:                              ;   in Loop: Header=BB23_9 Depth=1
	s_andn2_b32 vcc_lo, exec_lo, s5
	s_cbranch_vccnz .LBB23_20
	s_branch .LBB23_23
.LBB23_18:                              ;   in Loop: Header=BB23_9 Depth=1
	s_andn2_b32 vcc_lo, exec_lo, s6
	s_cbranch_vccnz .LBB23_17
.LBB23_19:                              ;   in Loop: Header=BB23_9 Depth=1
	v_mov_b32_e32 v9, v5
	v_mov_b32_e32 v7, v6
	s_waitcnt vmcnt(0)
	v_mov_b32_e32 v8, v3
	s_add_i32 s1, s8, -1
	s_mov_b32 s16, s10
	s_cbranch_execz .LBB23_23
.LBB23_20:                              ;   in Loop: Header=BB23_9 Depth=1
	v_mov_b32_e32 v5, v9
	v_mov_b32_e32 v6, v7
	s_waitcnt vmcnt(0)
	v_mov_b32_e32 v3, v8
	s_mov_b32 s10, s16
	s_mov_b32 s8, s1
	s_branch .LBB23_9
.LBB23_21:
                                        ; implicit-def: $sgpr10_sgpr11
	s_load_dwordx4 s[12:15], s[4:5], 0x44
	s_branch .LBB23_2
.LBB23_22:
                                        ; implicit-def: $sgpr18_sgpr19
	s_branch .LBB23_5
.LBB23_23:
	v_div_scale_f32 v0, null, v9, v9, v8
	s_waitcnt vmcnt(0)
	v_rcp_f32_e32 v3, v0
	v_fma_f32 v4, -v0, v3, 1.0
	v_fmac_f32_e32 v3, v4, v3
	v_div_scale_f32 v4, vcc_lo, v8, v9, v8
	v_mul_f32_e32 v5, v4, v3
	v_fma_f32 v6, -v0, v5, v4
	v_fmac_f32_e32 v5, v6, v3
	v_fma_f32 v0, -v0, v5, v4
	v_div_fmas_f32 v0, v0, v3, v5
	v_div_fixup_f32 v0, v0, v9, v8
	global_store_dword v[1:2], v0, off
.LBB23_24:
	s_endpgm
	.section	.rodata,"a",@progbits
	.p2align	6, 0x0
	.amdhsa_kernel _ZL33flash_attn_stream_k_fixup_generalILi64ELi8ELi4EEvPfPK15HIP_vector_typeIfLj2EEiiiiS1_IjLj3EES5_S5_S5_
		.amdhsa_group_segment_fixed_size 0
		.amdhsa_private_segment_fixed_size 0
		.amdhsa_kernarg_size 336
		.amdhsa_user_sgpr_count 6
		.amdhsa_user_sgpr_private_segment_buffer 1
		.amdhsa_user_sgpr_dispatch_ptr 0
		.amdhsa_user_sgpr_queue_ptr 0
		.amdhsa_user_sgpr_kernarg_segment_ptr 1
		.amdhsa_user_sgpr_dispatch_id 0
		.amdhsa_user_sgpr_flat_scratch_init 0
		.amdhsa_user_sgpr_private_segment_size 0
		.amdhsa_wavefront_size32 1
		.amdhsa_uses_dynamic_stack 0
		.amdhsa_system_sgpr_private_segment_wavefront_offset 0
		.amdhsa_system_sgpr_workgroup_id_x 1
		.amdhsa_system_sgpr_workgroup_id_y 1
		.amdhsa_system_sgpr_workgroup_id_z 1
		.amdhsa_system_sgpr_workgroup_info 0
		.amdhsa_system_vgpr_workitem_id 0
		.amdhsa_next_free_vgpr 17
		.amdhsa_next_free_sgpr 31
		.amdhsa_reserve_vcc 1
		.amdhsa_reserve_flat_scratch 0
		.amdhsa_float_round_mode_32 0
		.amdhsa_float_round_mode_16_64 0
		.amdhsa_float_denorm_mode_32 3
		.amdhsa_float_denorm_mode_16_64 3
		.amdhsa_dx10_clamp 1
		.amdhsa_ieee_mode 1
		.amdhsa_fp16_overflow 0
		.amdhsa_workgroup_processor_mode 1
		.amdhsa_memory_ordered 1
		.amdhsa_forward_progress 1
		.amdhsa_shared_vgpr_count 0
		.amdhsa_exception_fp_ieee_invalid_op 0
		.amdhsa_exception_fp_denorm_src 0
		.amdhsa_exception_fp_ieee_div_zero 0
		.amdhsa_exception_fp_ieee_overflow 0
		.amdhsa_exception_fp_ieee_underflow 0
		.amdhsa_exception_fp_ieee_inexact 0
		.amdhsa_exception_int_div_zero 0
	.end_amdhsa_kernel
	.section	.text._ZL33flash_attn_stream_k_fixup_generalILi64ELi8ELi4EEvPfPK15HIP_vector_typeIfLj2EEiiiiS1_IjLj3EES5_S5_S5_,"axG",@progbits,_ZL33flash_attn_stream_k_fixup_generalILi64ELi8ELi4EEvPfPK15HIP_vector_typeIfLj2EEiiiiS1_IjLj3EES5_S5_S5_,comdat
.Lfunc_end23:
	.size	_ZL33flash_attn_stream_k_fixup_generalILi64ELi8ELi4EEvPfPK15HIP_vector_typeIfLj2EEiiiiS1_IjLj3EES5_S5_S5_, .Lfunc_end23-_ZL33flash_attn_stream_k_fixup_generalILi64ELi8ELi4EEvPfPK15HIP_vector_typeIfLj2EEiiiiS1_IjLj3EES5_S5_S5_
                                        ; -- End function
	.set _ZL33flash_attn_stream_k_fixup_generalILi64ELi8ELi4EEvPfPK15HIP_vector_typeIfLj2EEiiiiS1_IjLj3EES5_S5_S5_.num_vgpr, 17
	.set _ZL33flash_attn_stream_k_fixup_generalILi64ELi8ELi4EEvPfPK15HIP_vector_typeIfLj2EEiiiiS1_IjLj3EES5_S5_S5_.num_agpr, 0
	.set _ZL33flash_attn_stream_k_fixup_generalILi64ELi8ELi4EEvPfPK15HIP_vector_typeIfLj2EEiiiiS1_IjLj3EES5_S5_S5_.numbered_sgpr, 31
	.set _ZL33flash_attn_stream_k_fixup_generalILi64ELi8ELi4EEvPfPK15HIP_vector_typeIfLj2EEiiiiS1_IjLj3EES5_S5_S5_.num_named_barrier, 0
	.set _ZL33flash_attn_stream_k_fixup_generalILi64ELi8ELi4EEvPfPK15HIP_vector_typeIfLj2EEiiiiS1_IjLj3EES5_S5_S5_.private_seg_size, 0
	.set _ZL33flash_attn_stream_k_fixup_generalILi64ELi8ELi4EEvPfPK15HIP_vector_typeIfLj2EEiiiiS1_IjLj3EES5_S5_S5_.uses_vcc, 1
	.set _ZL33flash_attn_stream_k_fixup_generalILi64ELi8ELi4EEvPfPK15HIP_vector_typeIfLj2EEiiiiS1_IjLj3EES5_S5_S5_.uses_flat_scratch, 0
	.set _ZL33flash_attn_stream_k_fixup_generalILi64ELi8ELi4EEvPfPK15HIP_vector_typeIfLj2EEiiiiS1_IjLj3EES5_S5_S5_.has_dyn_sized_stack, 0
	.set _ZL33flash_attn_stream_k_fixup_generalILi64ELi8ELi4EEvPfPK15HIP_vector_typeIfLj2EEiiiiS1_IjLj3EES5_S5_S5_.has_recursion, 0
	.set _ZL33flash_attn_stream_k_fixup_generalILi64ELi8ELi4EEvPfPK15HIP_vector_typeIfLj2EEiiiiS1_IjLj3EES5_S5_S5_.has_indirect_call, 0
	.section	.AMDGPU.csdata,"",@progbits
; Kernel info:
; codeLenInByte = 2944
; TotalNumSgprs: 33
; NumVgprs: 17
; ScratchSize: 0
; MemoryBound: 0
; FloatMode: 240
; IeeeMode: 1
; LDSByteSize: 0 bytes/workgroup (compile time only)
; SGPRBlocks: 0
; VGPRBlocks: 2
; NumSGPRsForWavesPerEU: 33
; NumVGPRsForWavesPerEU: 17
; Occupancy: 16
; WaveLimiterHint : 0
; COMPUTE_PGM_RSRC2:SCRATCH_EN: 0
; COMPUTE_PGM_RSRC2:USER_SGPR: 6
; COMPUTE_PGM_RSRC2:TRAP_HANDLER: 0
; COMPUTE_PGM_RSRC2:TGID_X_EN: 1
; COMPUTE_PGM_RSRC2:TGID_Y_EN: 1
; COMPUTE_PGM_RSRC2:TGID_Z_EN: 1
; COMPUTE_PGM_RSRC2:TIDIG_COMP_CNT: 0
	.section	.text._ZL15flash_attn_tileILi64ELi64ELi4ELi4ELb0EEvPKcS1_S1_S1_S1_PKiPfP15HIP_vector_typeIfLj2EEffffjfiS5_IjLj3EEiiiiiiiiiiiliiliiiiil,"axG",@progbits,_ZL15flash_attn_tileILi64ELi64ELi4ELi4ELb0EEvPKcS1_S1_S1_S1_PKiPfP15HIP_vector_typeIfLj2EEffffjfiS5_IjLj3EEiiiiiiiiiiiliiliiiiil,comdat
	.globl	_ZL15flash_attn_tileILi64ELi64ELi4ELi4ELb0EEvPKcS1_S1_S1_S1_PKiPfP15HIP_vector_typeIfLj2EEffffjfiS5_IjLj3EEiiiiiiiiiiiliiliiiiil ; -- Begin function _ZL15flash_attn_tileILi64ELi64ELi4ELi4ELb0EEvPKcS1_S1_S1_S1_PKiPfP15HIP_vector_typeIfLj2EEffffjfiS5_IjLj3EEiiiiiiiiiiiliiliiiiil
	.p2align	8
	.type	_ZL15flash_attn_tileILi64ELi64ELi4ELi4ELb0EEvPKcS1_S1_S1_S1_PKiPfP15HIP_vector_typeIfLj2EEffffjfiS5_IjLj3EEiiiiiiiiiiiliiliiiiil,@function
_ZL15flash_attn_tileILi64ELi64ELi4ELi4ELb0EEvPKcS1_S1_S1_S1_PKiPfP15HIP_vector_typeIfLj2EEffffjfiS5_IjLj3EEiiiiiiiiiiiliiliiiiil: ; @_ZL15flash_attn_tileILi64ELi64ELi4ELi4ELb0EEvPKcS1_S1_S1_S1_PKiPfP15HIP_vector_typeIfLj2EEffffjfiS5_IjLj3EEiiiiiiiiiiiliiliiiiil
; %bb.0:
	s_clause 0x1
	s_load_dwordx4 s[0:3], s[4:5], 0x5c
	s_load_dwordx2 s[34:35], s[4:5], 0x80
	s_mov_b32 s28, s7
	s_mov_b64 s[36:37], 0
	s_waitcnt lgkmcnt(0)
	s_ashr_i32 s7, s3, 31
	s_lshr_b32 s7, s7, 30
	s_add_i32 s7, s3, s7
	s_ashr_i32 s7, s7, 2
	v_cvt_f32_u32_e32 v2, s7
	s_sub_i32 s10, 0, s7
	v_rcp_iflag_f32_e32 v2, v2
	v_mul_f32_e32 v2, 0x4f7ffffe, v2
	v_cvt_u32_f32_e32 v2, v2
	v_readfirstlane_b32 s9, v2
	s_mul_i32 s10, s10, s9
	s_mul_hi_u32 s10, s9, s10
	s_add_i32 s9, s9, s10
	s_mul_hi_u32 s9, s8, s9
	s_mul_i32 s10, s9, s7
	s_add_i32 s11, s9, 1
	s_sub_i32 s10, s8, s10
	s_sub_i32 s12, s10, s7
	s_cmp_ge_u32 s10, s7
	s_cselect_b32 s9, s11, s9
	s_cselect_b32 s10, s12, s10
	s_add_i32 s11, s9, 1
	s_cmp_ge_u32 s10, s7
	s_cselect_b32 s7, s11, s9
	s_abs_i32 s9, s35
	s_lshl_b32 s8, s8, 2
	v_cvt_f32_u32_e32 v2, s9
	s_sub_i32 s11, 0, s9
	s_mul_i32 s12, s7, s3
	s_abs_i32 s13, s3
	s_sub_i32 s30, s8, s12
	v_rcp_iflag_f32_e32 v2, v2
	v_mul_f32_e32 v2, 0x4f7ffffe, v2
	v_cvt_u32_f32_e32 v2, v2
	v_readfirstlane_b32 s10, v2
	s_mul_i32 s11, s11, s10
	s_mul_hi_u32 s11, s10, s11
	s_add_i32 s10, s10, s11
	s_mul_hi_u32 s8, s13, s10
	s_xor_b32 s10, s3, s35
	s_mul_i32 s11, s8, s9
	s_ashr_i32 s10, s10, 31
	s_sub_i32 s11, s13, s11
	s_add_i32 s12, s8, 1
	s_sub_i32 s13, s11, s9
	s_cmp_ge_u32 s11, s9
	s_cselect_b32 s8, s12, s8
	s_cselect_b32 s11, s13, s11
	s_add_i32 s12, s8, 1
	s_cmp_ge_u32 s11, s9
	s_cselect_b32 s8, s12, s8
	s_xor_b32 s8, s8, s10
	s_sub_i32 s31, s8, s10
	s_clause 0x1
	s_load_dwordx16 s[8:23], s[4:5], 0x0
	s_load_dwordx2 s[38:39], s[4:5], 0xb8
	s_abs_i32 s29, s31
	v_cvt_f32_u32_e32 v2, s29
	v_rcp_iflag_f32_e32 v2, v2
	v_mul_f32_e32 v2, 0x4f7ffffe, v2
	s_waitcnt lgkmcnt(0)
	s_cmp_eq_u64 s[14:15], 0
	v_cvt_u32_f32_e32 v2, v2
	v_readfirstlane_b32 s33, v2
	s_cbranch_scc1 .LBB24_2
; %bb.1:
	s_abs_i32 s26, s38
	s_abs_i32 s27, s7
	v_cvt_f32_u32_e32 v2, s26
	s_sub_i32 s25, 0, s26
	v_rcp_iflag_f32_e32 v2, v2
	v_mul_f32_e32 v2, 0x4f7ffffe, v2
	v_cvt_u32_f32_e32 v2, v2
	v_readfirstlane_b32 s24, v2
	s_mul_i32 s25, s25, s24
	s_mul_hi_u32 s25, s24, s25
	s_add_i32 s24, s24, s25
	s_mul_hi_u32 s35, s27, s24
	s_load_dwordx2 s[24:25], s[4:5], 0xc8
	s_mul_i32 s35, s35, s26
	s_sub_i32 s27, s27, s35
	s_ashr_i32 s35, s7, 31
	s_sub_i32 s36, s27, s26
	s_cmp_ge_u32 s27, s26
	s_cselect_b32 s27, s36, s27
	s_sub_i32 s36, s27, s26
	s_cmp_ge_u32 s27, s26
	s_cselect_b32 s26, s36, s27
	s_xor_b32 s26, s26, s35
	s_sub_i32 s26, s26, s35
	s_ashr_i32 s27, s26, 31
	s_waitcnt lgkmcnt(0)
	s_mul_hi_u32 s35, s24, s26
	s_mul_i32 s27, s24, s27
	s_mul_i32 s25, s25, s26
	s_add_i32 s27, s35, s27
	s_mul_i32 s24, s24, s26
	s_add_i32 s27, s27, s25
	s_add_u32 s36, s14, s24
	s_addc_u32 s37, s15, s27
.LBB24_2:
	v_lshl_add_u32 v17, s6, 2, v1
	s_load_dwordx4 s[24:27], s[4:5], 0x70
	v_lshl_add_u32 v55, v1, 9, 0x5800
	v_mul_hi_u32 v2, s0, v17
	v_add_nc_u32_e32 v2, v17, v2
	v_lshrrev_b32_e32 v2, s1, v2
	s_waitcnt lgkmcnt(0)
	s_mul_i32 s1, s7, s26
	s_mul_i32 s14, s30, s25
	v_mul_lo_u32 v2, v2, s2
	s_ashr_i32 s15, s1, 31
	s_add_u32 s1, s8, s1
	s_addc_u32 s8, s9, s15
	s_ashr_i32 s9, s14, 31
	s_add_u32 s14, s1, s14
	s_mov_b32 s0, s24
	s_addc_u32 s15, s8, s9
	v_sub_nc_u32_e32 v3, v17, v2
	s_ashr_i32 s1, s24, 31
	s_lshr_b64 s[8:9], s[0:1], 2
	s_lshr_b32 s0, s1, 2
	v_mad_u64_u32 v[4:5], null, s8, v3, 0
	s_ashr_i32 s1, s25, 31
	v_mov_b32_e32 v2, v5
	v_mad_u64_u32 v[5:6], null, s0, v3, v[2:3]
	v_lshlrev_b32_e32 v2, 3, v0
	s_mov_b32 s0, s25
	s_lshr_b64 s[8:9], s[0:1], 2
	s_and_b32 s0, s25, -4
	v_lshlrev_b64 v[4:5], 2, v[4:5]
	v_add_co_u32 v4, vcc_lo, s14, v4
	v_add_co_ci_u32_e64 v5, null, s15, v5, vcc_lo
	v_add_co_u32 v4, vcc_lo, v4, v2
	v_add_co_ci_u32_e64 v5, null, 0, v5, vcc_lo
	global_load_dwordx2 v[8:9], v[4:5], off
	v_mad_u64_u32 v[6:7], null, s8, 12, v[4:5]
	s_lshl_b64 s[8:9], s[8:9], 3
	s_cmp_eq_u64 s[18:19], 0
	s_waitcnt vmcnt(0)
	v_mad_u64_u32 v[10:11], null, s1, 12, v[7:8]
	v_add_co_u32 v11, vcc_lo, v4, s0
	v_add_co_ci_u32_e64 v12, null, s1, v5, vcc_lo
	v_add_co_u32 v4, vcc_lo, v4, s8
	v_add_co_ci_u32_e64 v5, null, s9, v5, vcc_lo
	v_mov_b32_e32 v7, v10
	s_clause 0x2
	global_load_dwordx2 v[10:11], v[11:12], off
	global_load_dwordx2 v[4:5], v[4:5], off
	;; [unrolled: 1-line block ×3, first 2 shown]
	s_load_dword s0, s[4:5], 0x40
	v_lshl_or_b32 v12, v0, 2, v55
	s_waitcnt lgkmcnt(0)
	v_fma_mixlo_f16 v9, s0, v9, 0
	v_fma_mixlo_f16 v8, s0, v8, 0
	v_lshlrev_b32_e32 v9, 16, v9
	v_or_b32_sdwa v8, v9, v8 dst_sel:DWORD dst_unused:UNUSED_PAD src0_sel:DWORD src1_sel:WORD_0
	s_waitcnt vmcnt(2)
	v_fma_mixlo_f16 v11, s0, v11, 0
	s_waitcnt vmcnt(1)
	v_fma_mixlo_f16 v5, s0, v5, 0
	;; [unrolled: 2-line block ×3, first 2 shown]
	v_fma_mixlo_f16 v10, s0, v10, 0
	v_fma_mixlo_f16 v4, s0, v4, 0
	v_lshlrev_b32_e32 v11, 16, v11
	v_lshlrev_b32_e32 v5, 16, v5
	v_fma_mixlo_f16 v6, s0, v6, 0
	v_lshlrev_b32_e32 v7, 16, v7
	v_or_b32_sdwa v9, v11, v10 dst_sel:DWORD dst_unused:UNUSED_PAD src0_sel:DWORD src1_sel:WORD_0
	v_or_b32_sdwa v4, v5, v4 dst_sel:DWORD dst_unused:UNUSED_PAD src0_sel:DWORD src1_sel:WORD_0
	;; [unrolled: 1-line block ×3, first 2 shown]
	ds_write2_b32 v12, v8, v9 offset1:32
	ds_write2_b32 v12, v4, v5 offset0:64 offset1:96
	s_waitcnt lgkmcnt(0)
	s_barrier
	buffer_gl0_inv
	s_cbranch_scc1 .LBB24_4
; %bb.3:
	s_load_dword s0, s[4:5], 0xd0
	s_mov_b32 s1, 0
	s_waitcnt lgkmcnt(0)
	s_mul_i32 s0, s0, s7
	s_add_i32 s0, s0, s6
	s_lshl_b64 s[0:1], s[0:1], 2
	s_add_u32 s0, s18, s0
	s_addc_u32 s1, s19, s1
	s_load_dword s34, s[0:1], 0x0
.LBB24_4:
	v_mbcnt_lo_u32_b32 v56, -1, 0
	s_lshl_b32 s6, s28, 7
	s_waitcnt lgkmcnt(0)
	s_cmp_lt_i32 s6, s34
	s_cbranch_scc1 .LBB24_7
; %bb.5:
	v_mbcnt_lo_u32_b32 v5, -1, 0
	v_mov_b32_e32 v57, 32
	v_xor_b32_e32 v64, 16, v5
	v_xor_b32_e32 v62, 8, v5
	;; [unrolled: 1-line block ×5, first 2 shown]
	s_cbranch_execz .LBB24_8
; %bb.6:
	v_mov_b32_e32 v103, 0
	v_mov_b32_e32 v72, 0
	;; [unrolled: 1-line block ×12, first 2 shown]
	s_branch .LBB24_11
.LBB24_7:
                                        ; implicit-def: $vgpr5
                                        ; implicit-def: $vgpr57
                                        ; implicit-def: $vgpr64
                                        ; implicit-def: $vgpr62
                                        ; implicit-def: $vgpr60
                                        ; implicit-def: $vgpr59
                                        ; implicit-def: $vgpr58
.LBB24_8:
	s_clause 0x1
	s_load_dwordx4 s[24:27], s[4:5], 0x98
	s_load_dwordx2 s[0:1], s[4:5], 0x8c
	s_sub_i32 s8, 0, s29
	s_ashr_i32 s38, s7, 31
	s_mul_i32 s8, s8, s33
	s_abs_i32 s18, s30
	s_mul_hi_u32 s8, s33, s8
	s_ashr_i32 s19, s30, 31
	s_add_i32 s33, s33, s8
	s_ashr_i32 s31, s31, 31
	s_mul_hi_u32 s33, s18, s33
	s_load_dwordx2 s[14:15], s[4:5], 0xa8
	s_ashr_i32 s35, s39, 1
	s_mul_i32 s39, s33, s29
	v_lshrrev_b32_e32 v4, 3, v0
	v_lshlrev_b32_e32 v61, 2, v0
	v_lshl_add_u32 v75, v1, 10, 0x4800
	v_mad_u64_u32 v[18:19], null, v3, s35, v[0:1]
	v_lshl_add_u32 v5, v1, 2, v4
	s_waitcnt lgkmcnt(0)
	s_ashr_i32 s8, s26, 2
	s_ashr_i32 s9, s0, 2
	s_mul_hi_u32 s0, s24, s7
	s_mul_i32 s26, s24, s38
	s_mul_i32 s25, s25, s7
	s_add_i32 s0, s0, s26
	s_mul_i32 s24, s24, s7
	s_add_i32 s0, s0, s25
	s_add_u32 s10, s10, s24
	s_addc_u32 s0, s11, s0
	s_sub_i32 s18, s18, s39
	s_xor_b32 s11, s19, s31
	s_add_i32 s19, s33, 1
	s_sub_i32 s24, s18, s29
	s_cmp_ge_u32 s18, s29
	s_mul_i32 s15, s15, s7
	s_cselect_b32 s19, s19, s33
	s_cselect_b32 s18, s24, s18
	s_add_i32 s24, s19, 1
	s_cmp_ge_u32 s18, s29
	v_mul_lo_u32 v4, s9, v5
	s_cselect_b32 s18, s24, s19
	s_mul_hi_u32 s19, s14, s7
	s_xor_b32 s18, s18, s11
	s_mul_i32 s24, s14, s38
	s_sub_i32 s18, s18, s11
	v_mul_lo_u32 v12, s8, v5
	s_mul_i32 s1, s18, s1
	s_mul_i32 s14, s14, s7
	s_ashr_i32 s11, s1, 31
	s_add_u32 s10, s10, s1
	s_addc_u32 s11, s0, s11
	s_add_i32 s0, s19, s24
	s_mul_i32 s18, s18, s27
	s_add_i32 s0, s0, s15
	s_add_u32 s1, s12, s14
	s_addc_u32 s0, s13, s0
	s_ashr_i32 s13, s18, 31
	s_add_u32 s12, s1, s18
	s_addc_u32 s13, s0, s13
	s_lshl_b32 s0, s9, 4
	s_lshl_b32 s1, s8, 4
	v_add_nc_u32_e32 v6, s0, v4
	v_add_nc_u32_e32 v37, s1, v12
	v_and_b32_e32 v16, 28, v61
	v_ashrrev_i32_e32 v13, 31, v12
	v_mov_b32_e32 v51, 0
	v_add_nc_u32_e32 v8, s0, v6
	v_add_nc_u32_e32 v39, s1, v37
	v_lshlrev_b32_e32 v7, 2, v16
	v_ashrrev_i32_e32 v38, 31, v37
	v_lshlrev_b64 v[35:36], 2, v[12:13]
	v_add_nc_u32_e32 v10, s0, v8
	v_add_nc_u32_e32 v41, s1, v39
	v_mad_u32_u24 v63, 0x90, v5, v7
	v_lshl_or_b32 v66, v5, 7, v7
	v_ashrrev_i32_e32 v5, 31, v4
	v_add_nc_u32_e32 v14, s0, v10
	v_add_nc_u32_e32 v43, s1, v41
	v_ashrrev_i32_e32 v7, 31, v6
	v_ashrrev_i32_e32 v9, 31, v8
	v_ashrrev_i32_e32 v11, 31, v10
	v_add_nc_u32_e32 v29, s0, v14
	v_add_nc_u32_e32 v45, s1, v43
	v_ashrrev_i32_e32 v15, 31, v14
	v_ashrrev_i32_e32 v40, 31, v39
	;; [unrolled: 5-line block ×4, first 2 shown]
	v_lshlrev_b64 v[19:20], 2, v[4:5]
	v_ashrrev_i32_e32 v34, 31, v33
	v_ashrrev_i32_e32 v50, 31, v49
	v_lshlrev_b64 v[21:22], 2, v[6:7]
	v_lshlrev_b64 v[23:24], 2, v[8:9]
	;; [unrolled: 1-line block ×14, first 2 shown]
	v_mul_u32_u24_e32 v65, 0x90, v0
	v_add_nc_u32_e32 v67, 0x900, v63
	v_add_nc_u32_e32 v68, 0x1200, v63
	;; [unrolled: 1-line block ×14, first 2 shown]
	v_mov_b32_e32 v1, 0xfeffffff
	v_lshlrev_b32_e32 v83, 2, v16
	v_mov_b32_e32 v57, 32
	v_xor_b32_e32 v64, 16, v56
	v_xor_b32_e32 v62, 8, v56
	;; [unrolled: 1-line block ×5, first 2 shown]
	v_add_nc_u32_e32 v84, v75, v2
	v_mov_b32_e32 v85, 0x10001
	v_add_nc_u32_e32 v86, 0x400, v61
	v_add_nc_u32_e32 v87, 0x800, v61
	;; [unrolled: 1-line block ×15, first 2 shown]
	v_mov_b32_e32 v101, 0
	v_mov_b32_e32 v102, 0
	;; [unrolled: 1-line block ×10, first 2 shown]
	s_add_u32 s0, s4, 0xd0
	s_addc_u32 s1, s5, 0
.LBB24_9:                               ; =>This Inner Loop Header: Depth=1
	s_mul_hi_i32 s15, s6, s9
	s_mul_i32 s14, s6, s9
	v_mov_b32_e32 v107, v104
	s_lshl_b64 s[14:15], s[14:15], 2
	v_mov_b32_e32 v104, v1
	s_add_u32 s14, s10, s14
	s_addc_u32 s15, s11, s15
	v_add_co_u32 v1, vcc_lo, s14, v19
	v_mov_b32_e32 v53, v106
	v_mov_b32_e32 v106, v105
	;; [unrolled: 1-line block ×3, first 2 shown]
	v_add_co_ci_u32_e64 v2, null, s15, v20, vcc_lo
	v_add_co_u32 v1, vcc_lo, v1, v83
	v_mov_b32_e32 v52, v4
	v_add_co_ci_u32_e64 v2, null, 0, v2, vcc_lo
	v_mov_b32_e32 v54, v3
	v_mov_b32_e32 v112, 0
	;; [unrolled: 1-line block ×3, first 2 shown]
	global_load_dwordx4 v[1:4], v[1:2], off
	v_mov_b32_e32 v109, 0
	v_mov_b32_e32 v108, 0
	;; [unrolled: 1-line block ×3, first 2 shown]
	s_waitcnt vmcnt(0)
	ds_write_b128 v63, v[1:4]
	v_add_co_u32 v1, vcc_lo, s14, v21
	v_add_co_ci_u32_e64 v2, null, s15, v22, vcc_lo
	v_add_co_u32 v1, vcc_lo, v1, v83
	v_add_co_ci_u32_e64 v2, null, 0, v2, vcc_lo
	global_load_dwordx4 v[1:4], v[1:2], off
	s_waitcnt vmcnt(0)
	ds_write_b128 v67, v[1:4]
	v_add_co_u32 v1, vcc_lo, s14, v23
	v_add_co_ci_u32_e64 v2, null, s15, v24, vcc_lo
	v_add_co_u32 v1, vcc_lo, v1, v83
	v_add_co_ci_u32_e64 v2, null, 0, v2, vcc_lo
	global_load_dwordx4 v[1:4], v[1:2], off
	;; [unrolled: 7-line block ×6, first 2 shown]
	s_waitcnt vmcnt(0)
	ds_write_b128 v73, v[1:4]
	v_add_co_u32 v1, vcc_lo, s14, v33
	v_add_co_ci_u32_e64 v2, null, s15, v34, vcc_lo
	s_mul_hi_i32 s15, s6, s8
	v_add_co_u32 v1, vcc_lo, v1, v83
	v_add_co_ci_u32_e64 v2, null, 0, v2, vcc_lo
	v_cmp_gt_i32_e32 vcc_lo, 32, v64
	s_mul_i32 s14, s6, s8
	global_load_dwordx4 v[1:4], v[1:2], off
	s_lshl_b64 s[14:15], s[14:15], 2
	s_add_u32 s14, s12, s14
	s_addc_u32 s15, s13, s15
	s_waitcnt vmcnt(0)
	ds_write_b128 v74, v[1:4]
	s_waitcnt lgkmcnt(0)
	s_barrier
	buffer_gl0_inv
	ds_read_b128 v[113:116], v65
	ds_read_b128 v[117:120], v65 offset:4608
	ds_read_b128 v[121:124], v65 offset:9216
	;; [unrolled: 1-line block ×3, first 2 shown]
	ds_read_b128 v[125:128], v55
	ds_read_b128 v[13:16], v55 offset:128
	ds_read_b128 v[9:12], v55 offset:256
	;; [unrolled: 1-line block ×3, first 2 shown]
	s_waitcnt lgkmcnt(3)
	;;#ASMSTART
	v_dot2_f32_f16 v112, v113, v125, v112
	;;#ASMEND
	;;#ASMSTART
	v_dot2_f32_f16 v112, v114, v126, v112
	;;#ASMEND
	;;#ASMSTART
	v_dot2_f32_f16 v112, v115, v127, v112
	;;#ASMEND
	;;#ASMSTART
	v_dot2_f32_f16 v112, v116, v128, v112
	;;#ASMEND
	s_waitcnt lgkmcnt(2)
	;;#ASMSTART
	v_dot2_f32_f16 v110, v113, v13, v110
	;;#ASMEND
	;;#ASMSTART
	v_dot2_f32_f16 v110, v114, v14, v110
	;;#ASMEND
	;;#ASMSTART
	v_dot2_f32_f16 v110, v115, v15, v110
	;;#ASMEND
	;;#ASMSTART
	v_dot2_f32_f16 v110, v116, v16, v110
	;;#ASMEND
	;; [unrolled: 13-line block ×4, first 2 shown]
	v_mov_b32_e32 v116, 0
	;;#ASMSTART
	v_dot2_f32_f16 v116, v117, v125, v116
	;;#ASMEND
	;;#ASMSTART
	v_dot2_f32_f16 v116, v118, v126, v116
	;;#ASMEND
	;;#ASMSTART
	v_dot2_f32_f16 v116, v119, v127, v116
	;;#ASMEND
	v_mov_b32_e32 v114, 0
	;;#ASMSTART
	v_dot2_f32_f16 v116, v120, v128, v116
	;;#ASMEND
	;;#ASMSTART
	v_dot2_f32_f16 v114, v117, v13, v114
	;;#ASMEND
	;; [unrolled: 3-line block ×4, first 2 shown]
	v_mov_b32_e32 v113, 0
	;;#ASMSTART
	v_dot2_f32_f16 v114, v120, v16, v114
	;;#ASMEND
	;;#ASMSTART
	v_dot2_f32_f16 v113, v117, v9, v113
	;;#ASMEND
	;; [unrolled: 3-line block ×8, first 2 shown]
	v_mov_b32_e32 v119, 0
	;;#ASMSTART
	v_dot2_f32_f16 v111, v120, v8, v111
	;;#ASMEND
	;;#ASMSTART
	v_dot2_f32_f16 v119, v121, v125, v119
	;;#ASMEND
	;;#ASMSTART
	v_dot2_f32_f16 v119, v122, v126, v119
	;;#ASMEND
	;;#ASMSTART
	v_dot2_f32_f16 v119, v123, v127, v119
	;;#ASMEND
	v_mov_b32_e32 v118, 0
	;;#ASMSTART
	v_dot2_f32_f16 v119, v124, v128, v119
	;;#ASMEND
	;;#ASMSTART
	v_dot2_f32_f16 v118, v121, v13, v118
	;;#ASMEND
	;;#ASMSTART
	v_dot2_f32_f16 v118, v122, v14, v118
	;;#ASMEND
	;;#ASMSTART
	v_dot2_f32_f16 v118, v123, v15, v118
	;;#ASMEND
	;; [unrolled: 13-line block ×8, first 2 shown]
	;;#ASMSTART
	v_dot2_f32_f16 v9, v4, v8, v9
	;;#ASMEND
	ds_read_b128 v[1:4], v65 offset:16
	ds_read_b128 v[5:8], v65 offset:4624
	;; [unrolled: 1-line block ×8, first 2 shown]
	s_waitcnt lgkmcnt(3)
	;;#ASMSTART
	v_dot2_f32_f16 v112, v1, v130, v112
	;;#ASMEND
	;;#ASMSTART
	v_dot2_f32_f16 v112, v2, v131, v112
	;;#ASMEND
	;;#ASMSTART
	v_dot2_f32_f16 v112, v3, v132, v112
	;;#ASMEND
	;;#ASMSTART
	v_dot2_f32_f16 v112, v4, v133, v112
	;;#ASMEND
	s_waitcnt lgkmcnt(2)
	;;#ASMSTART
	v_dot2_f32_f16 v110, v1, v134, v110
	;;#ASMEND
	;;#ASMSTART
	v_dot2_f32_f16 v110, v2, v135, v110
	;;#ASMEND
	;;#ASMSTART
	v_dot2_f32_f16 v110, v3, v136, v110
	;;#ASMEND
	;;#ASMSTART
	v_dot2_f32_f16 v110, v4, v137, v110
	;;#ASMEND
	;; [unrolled: 13-line block ×4, first 2 shown]
	;;#ASMSTART
	v_dot2_f32_f16 v116, v5, v130, v116
	;;#ASMEND
	;;#ASMSTART
	v_dot2_f32_f16 v116, v6, v131, v116
	;;#ASMEND
	;; [unrolled: 3-line block ×48, first 2 shown]
	ds_read_b128 v[1:4], v65 offset:32
	ds_read_b128 v[5:8], v65 offset:4640
	;; [unrolled: 1-line block ×8, first 2 shown]
	s_waitcnt lgkmcnt(3)
	;;#ASMSTART
	v_dot2_f32_f16 v112, v1, v130, v112
	;;#ASMEND
	;;#ASMSTART
	v_dot2_f32_f16 v112, v2, v131, v112
	;;#ASMEND
	;;#ASMSTART
	v_dot2_f32_f16 v112, v3, v132, v112
	;;#ASMEND
	;;#ASMSTART
	v_dot2_f32_f16 v112, v4, v133, v112
	;;#ASMEND
	s_waitcnt lgkmcnt(2)
	;;#ASMSTART
	v_dot2_f32_f16 v110, v1, v134, v110
	;;#ASMEND
	;;#ASMSTART
	v_dot2_f32_f16 v110, v2, v135, v110
	;;#ASMEND
	;;#ASMSTART
	v_dot2_f32_f16 v110, v3, v136, v110
	;;#ASMEND
	;;#ASMSTART
	v_dot2_f32_f16 v110, v4, v137, v110
	;;#ASMEND
	;; [unrolled: 13-line block ×4, first 2 shown]
	;;#ASMSTART
	v_dot2_f32_f16 v116, v5, v130, v116
	;;#ASMEND
	;;#ASMSTART
	v_dot2_f32_f16 v116, v6, v131, v116
	;;#ASMEND
	;; [unrolled: 3-line block ×48, first 2 shown]
	ds_read_b128 v[1:4], v65 offset:48
	ds_read_b128 v[5:8], v65 offset:4656
	;; [unrolled: 1-line block ×8, first 2 shown]
	s_waitcnt lgkmcnt(3)
	;;#ASMSTART
	v_dot2_f32_f16 v112, v1, v130, v112
	;;#ASMEND
	;;#ASMSTART
	v_dot2_f32_f16 v112, v2, v131, v112
	;;#ASMEND
	;;#ASMSTART
	v_dot2_f32_f16 v112, v3, v132, v112
	;;#ASMEND
	;;#ASMSTART
	v_dot2_f32_f16 v112, v4, v133, v112
	;;#ASMEND
	s_waitcnt lgkmcnt(2)
	;;#ASMSTART
	v_dot2_f32_f16 v110, v1, v134, v110
	;;#ASMEND
	;;#ASMSTART
	v_dot2_f32_f16 v110, v2, v135, v110
	;;#ASMEND
	;;#ASMSTART
	v_dot2_f32_f16 v110, v3, v136, v110
	;;#ASMEND
	;;#ASMSTART
	v_dot2_f32_f16 v110, v4, v137, v110
	;;#ASMEND
	;; [unrolled: 13-line block ×4, first 2 shown]
	;;#ASMSTART
	v_dot2_f32_f16 v116, v5, v130, v116
	;;#ASMEND
	;;#ASMSTART
	v_dot2_f32_f16 v116, v6, v131, v116
	;;#ASMEND
	;; [unrolled: 3-line block ×48, first 2 shown]
	ds_read_b128 v[1:4], v65 offset:64
	ds_read_b128 v[5:8], v65 offset:4672
	ds_read_b128 v[122:125], v65 offset:9280
	ds_read_b128 v[126:129], v65 offset:13888
	ds_read_b128 v[130:133], v55 offset:64
	ds_read_b128 v[134:137], v55 offset:192
	ds_read_b128 v[138:141], v55 offset:320
	ds_read_b128 v[142:145], v55 offset:448
	s_waitcnt lgkmcnt(3)
	;;#ASMSTART
	v_dot2_f32_f16 v112, v1, v130, v112
	;;#ASMEND
	;;#ASMSTART
	v_dot2_f32_f16 v112, v2, v131, v112
	;;#ASMEND
	;;#ASMSTART
	v_dot2_f32_f16 v112, v3, v132, v112
	;;#ASMEND
	;;#ASMSTART
	v_dot2_f32_f16 v112, v4, v133, v112
	;;#ASMEND
	s_waitcnt lgkmcnt(2)
	;;#ASMSTART
	v_dot2_f32_f16 v110, v1, v134, v110
	;;#ASMEND
	;;#ASMSTART
	v_dot2_f32_f16 v110, v2, v135, v110
	;;#ASMEND
	;;#ASMSTART
	v_dot2_f32_f16 v110, v3, v136, v110
	;;#ASMEND
	;;#ASMSTART
	v_dot2_f32_f16 v110, v4, v137, v110
	;;#ASMEND
	;; [unrolled: 13-line block ×4, first 2 shown]
	;;#ASMSTART
	v_dot2_f32_f16 v116, v5, v130, v116
	;;#ASMEND
	;;#ASMSTART
	v_dot2_f32_f16 v116, v6, v131, v116
	;;#ASMEND
	;; [unrolled: 3-line block ×48, first 2 shown]
	ds_read_b128 v[1:4], v65 offset:80
	ds_read_b128 v[5:8], v65 offset:4688
	;; [unrolled: 1-line block ×8, first 2 shown]
	s_waitcnt lgkmcnt(3)
	;;#ASMSTART
	v_dot2_f32_f16 v112, v1, v130, v112
	;;#ASMEND
	;;#ASMSTART
	v_dot2_f32_f16 v112, v2, v131, v112
	;;#ASMEND
	;;#ASMSTART
	v_dot2_f32_f16 v112, v3, v132, v112
	;;#ASMEND
	;;#ASMSTART
	v_dot2_f32_f16 v112, v4, v133, v112
	;;#ASMEND
	s_waitcnt lgkmcnt(2)
	;;#ASMSTART
	v_dot2_f32_f16 v110, v1, v134, v110
	;;#ASMEND
	;;#ASMSTART
	v_dot2_f32_f16 v110, v2, v135, v110
	;;#ASMEND
	;;#ASMSTART
	v_dot2_f32_f16 v110, v3, v136, v110
	;;#ASMEND
	;;#ASMSTART
	v_dot2_f32_f16 v110, v4, v137, v110
	;;#ASMEND
	;; [unrolled: 13-line block ×4, first 2 shown]
	;;#ASMSTART
	v_dot2_f32_f16 v116, v5, v130, v116
	;;#ASMEND
	;;#ASMSTART
	v_dot2_f32_f16 v116, v6, v131, v116
	;;#ASMEND
	;; [unrolled: 3-line block ×48, first 2 shown]
	ds_read_b128 v[1:4], v65 offset:96
	ds_read_b128 v[5:8], v65 offset:4704
	;; [unrolled: 1-line block ×8, first 2 shown]
	s_waitcnt lgkmcnt(3)
	;;#ASMSTART
	v_dot2_f32_f16 v112, v1, v130, v112
	;;#ASMEND
	;;#ASMSTART
	v_dot2_f32_f16 v112, v2, v131, v112
	;;#ASMEND
	;;#ASMSTART
	v_dot2_f32_f16 v112, v3, v132, v112
	;;#ASMEND
	;;#ASMSTART
	v_dot2_f32_f16 v112, v4, v133, v112
	;;#ASMEND
	s_waitcnt lgkmcnt(2)
	;;#ASMSTART
	v_dot2_f32_f16 v110, v1, v134, v110
	;;#ASMEND
	;;#ASMSTART
	v_dot2_f32_f16 v110, v2, v135, v110
	;;#ASMEND
	;;#ASMSTART
	v_dot2_f32_f16 v110, v3, v136, v110
	;;#ASMEND
	;;#ASMSTART
	v_dot2_f32_f16 v110, v4, v137, v110
	;;#ASMEND
	;; [unrolled: 13-line block ×4, first 2 shown]
	;;#ASMSTART
	v_dot2_f32_f16 v116, v5, v130, v116
	;;#ASMEND
	;;#ASMSTART
	v_dot2_f32_f16 v116, v6, v131, v116
	;;#ASMEND
	;; [unrolled: 3-line block ×48, first 2 shown]
	ds_read_b128 v[1:4], v65 offset:112
	ds_read_b128 v[5:8], v65 offset:4720
	;; [unrolled: 1-line block ×8, first 2 shown]
	s_waitcnt lgkmcnt(3)
	;;#ASMSTART
	v_dot2_f32_f16 v112, v1, v130, v112
	;;#ASMEND
	;;#ASMSTART
	v_dot2_f32_f16 v112, v2, v131, v112
	;;#ASMEND
	;;#ASMSTART
	v_dot2_f32_f16 v112, v3, v132, v112
	;;#ASMEND
	;;#ASMSTART
	v_dot2_f32_f16 v112, v4, v133, v112
	;;#ASMEND
	s_waitcnt lgkmcnt(2)
	;;#ASMSTART
	v_dot2_f32_f16 v110, v1, v134, v110
	;;#ASMEND
	;;#ASMSTART
	v_dot2_f32_f16 v110, v2, v135, v110
	;;#ASMEND
	;;#ASMSTART
	v_dot2_f32_f16 v110, v3, v136, v110
	;;#ASMEND
	;;#ASMSTART
	v_dot2_f32_f16 v110, v4, v137, v110
	;;#ASMEND
	;; [unrolled: 13-line block ×3, first 2 shown]
	s_waitcnt lgkmcnt(0)
	;;#ASMSTART
	v_dot2_f32_f16 v108, v1, v142, v108
	;;#ASMEND
	;;#ASMSTART
	v_dot2_f32_f16 v108, v2, v143, v108
	;;#ASMEND
	;; [unrolled: 3-line block ×3, first 2 shown]
	v_cndmask_b32_e32 v2, v56, v64, vcc_lo
	v_cmp_gt_i32_e32 vcc_lo, 32, v62
	;;#ASMSTART
	v_dot2_f32_f16 v108, v4, v145, v108
	;;#ASMEND
	;;#ASMSTART
	v_dot2_f32_f16 v116, v5, v130, v116
	;;#ASMEND
	;; [unrolled: 3-line block ×7, first 2 shown]
	v_lshlrev_b32_e32 v4, 2, v2
	v_cndmask_b32_e32 v2, v56, v62, vcc_lo
	v_cmp_gt_i32_e32 vcc_lo, 32, v60
	;;#ASMSTART
	v_dot2_f32_f16 v114, v7, v136, v114
	;;#ASMEND
	;;#ASMSTART
	v_dot2_f32_f16 v114, v8, v137, v114
	;;#ASMEND
	;; [unrolled: 3-line block ×7, first 2 shown]
	v_lshlrev_b32_e32 v5, 2, v2
	v_cndmask_b32_e32 v2, v56, v60, vcc_lo
	v_cmp_gt_i32_e32 vcc_lo, 32, v59
	;;#ASMSTART
	v_dot2_f32_f16 v111, v6, v143, v111
	;;#ASMEND
	;;#ASMSTART
	v_dot2_f32_f16 v111, v7, v144, v111
	;;#ASMEND
	;; [unrolled: 3-line block ×3, first 2 shown]
	v_lshlrev_b32_e32 v6, 2, v2
	v_cndmask_b32_e32 v2, v56, v59, vcc_lo
	v_cmp_gt_i32_e32 vcc_lo, 32, v58
	;;#ASMSTART
	v_dot2_f32_f16 v119, v122, v130, v119
	;;#ASMEND
	;;#ASMSTART
	v_dot2_f32_f16 v119, v123, v131, v119
	;;#ASMEND
	v_add_nc_u32_e32 v1, s6, v18
	v_lshlrev_b32_e32 v7, 2, v2
	v_cndmask_b32_e32 v2, v56, v58, vcc_lo
	;;#ASMSTART
	v_dot2_f32_f16 v119, v124, v132, v119
	;;#ASMEND
	;;#ASMSTART
	v_dot2_f32_f16 v119, v125, v133, v119
	;;#ASMEND
	;; [unrolled: 3-line block ×7, first 2 shown]
	v_lshlrev_b32_e32 v15, 2, v2
	v_ashrrev_i32_e32 v2, 31, v1
	;;#ASMSTART
	v_dot2_f32_f16 v117, v123, v139, v117
	;;#ASMEND
	;;#ASMSTART
	v_dot2_f32_f16 v117, v124, v140, v117
	;;#ASMEND
	;; [unrolled: 3-line block ×6, first 2 shown]
	v_lshlrev_b64 v[1:2], 1, v[1:2]
	;;#ASMSTART
	v_dot2_f32_f16 v115, v125, v145, v115
	;;#ASMEND
	;;#ASMSTART
	v_dot2_f32_f16 v121, v126, v130, v121
	;;#ASMEND
	;; [unrolled: 3-line block ×8, first 2 shown]
	v_add_co_u32 v1, vcc_lo, s36, v1
	;;#ASMSTART
	v_dot2_f32_f16 v120, v129, v137, v120
	;;#ASMEND
	;;#ASMSTART
	v_dot2_f32_f16 v13, v126, v138, v13
	;;#ASMEND
	;; [unrolled: 3-line block ×3, first 2 shown]
	v_add_co_ci_u32_e64 v2, null, s37, v2, vcc_lo
	;;#ASMSTART
	v_dot2_f32_f16 v13, v128, v140, v13
	;;#ASMEND
	;;#ASMSTART
	v_dot2_f32_f16 v13, v129, v141, v13
	;;#ASMEND
	;; [unrolled: 3-line block ×6, first 2 shown]
	s_clause 0x1
	global_load_ushort v3, v[1:2], off
	global_load_ushort v10, v[1:2], off offset:64
	s_waitcnt vmcnt(1)
	v_cvt_f32_f16_e32 v8, v3
	s_waitcnt vmcnt(0)
	v_cvt_f32_f16_e32 v10, v10
	v_add_f32_e32 v122, v112, v8
	v_add_f32_e32 v116, v116, v10
	;; [unrolled: 1-line block ×9, first 2 shown]
	v_max3_f32 v3, v104, v3, v11
	s_clause 0x1
	global_load_ushort v11, v[1:2], off offset:128
	global_load_ushort v1, v[1:2], off offset:192
	v_add_f32_e32 v8, 0x40051340, v14
	s_waitcnt vmcnt(0)
	s_barrier
	buffer_gl0_inv
	v_cvt_f32_f16_e32 v123, v11
	v_cvt_f32_f16_e32 v124, v1
	v_add_f32_e32 v119, v119, v123
	v_add_f32_e32 v121, v121, v124
	;; [unrolled: 1-line block ×8, first 2 shown]
	v_max3_f32 v1, v3, v11, v1
	v_add_f32_e32 v3, 0x40051340, v114
	v_add_f32_e32 v11, 0x40051340, v12
	;; [unrolled: 1-line block ×3, first 2 shown]
	ds_bpermute_b32 v2, v4, v1
	s_waitcnt lgkmcnt(0)
	v_max_f32_e32 v2, v2, v2
	v_max_f32_e32 v1, v1, v2
	ds_bpermute_b32 v2, v5, v1
	s_waitcnt lgkmcnt(0)
	v_max_f32_e32 v2, v2, v2
	v_max_f32_e32 v1, v1, v2
	;; [unrolled: 4-line block ×5, first 2 shown]
	v_add_f32_e32 v2, 0x40051340, v125
	v_max3_f32 v2, v105, v2, v3
	v_add_f32_e32 v3, 0x40051340, v118
	v_max3_f32 v2, v2, v3, v11
	v_add_f32_e32 v11, 0x40051340, v110
	ds_bpermute_b32 v3, v4, v2
	s_waitcnt lgkmcnt(0)
	v_max_f32_e32 v3, v3, v3
	v_max_f32_e32 v2, v2, v3
	ds_bpermute_b32 v3, v5, v2
	s_waitcnt lgkmcnt(0)
	v_max_f32_e32 v3, v3, v3
	v_max_f32_e32 v2, v2, v3
	;; [unrolled: 4-line block ×5, first 2 shown]
	v_add_f32_e32 v3, 0x40051340, v112
	v_sub_f32_e32 v12, v12, v2
	v_max3_f32 v3, v54, v3, v11
	v_add_f32_e32 v11, 0x40051340, v109
	v_max3_f32 v3, v3, v11, v13
	ds_bpermute_b32 v11, v4, v3
	s_waitcnt lgkmcnt(0)
	v_max_f32_e32 v11, v11, v11
	v_max_f32_e32 v3, v3, v11
	ds_bpermute_b32 v11, v5, v3
	s_waitcnt lgkmcnt(0)
	v_max_f32_e32 v11, v11, v11
	v_max_f32_e32 v3, v3, v11
	;; [unrolled: 4-line block ×5, first 2 shown]
	v_add_f32_e32 v11, v111, v10
	v_sub_f32_e32 v16, v16, v3
	v_add_f32_e32 v10, 0x40051340, v11
	v_max3_f32 v13, v52, v8, v10
	v_add_f32_e32 v10, v115, v123
	v_add_f32_e32 v8, v9, v124
	;; [unrolled: 1-line block ×4, first 2 shown]
	v_max3_f32 v9, v13, v108, v9
	v_sub_f32_e32 v13, v104, v1
	ds_bpermute_b32 v4, v4, v9
	s_waitcnt lgkmcnt(0)
	v_max_f32_e32 v4, v4, v4
	v_max_f32_e32 v4, v9, v4
	ds_bpermute_b32 v5, v5, v4
	s_waitcnt lgkmcnt(0)
	v_max_f32_e32 v5, v5, v5
	v_max_f32_e32 v4, v4, v5
	;; [unrolled: 4-line block ×5, first 2 shown]
	v_sub_f32_e32 v5, v122, v1
	v_sub_f32_e32 v14, v14, v4
	v_mul_f32_e32 v6, 0x3fb8aa3b, v5
	v_cmp_ngt_f32_e32 vcc_lo, 0xc2ce8ed0, v5
	v_sub_f32_e32 v11, v11, v4
	v_sub_f32_e32 v10, v10, v4
	;; [unrolled: 1-line block ×3, first 2 shown]
	v_fma_f32 v7, 0x3fb8aa3b, v5, -v6
	v_rndne_f32_e32 v9, v6
	v_sub_f32_e32 v52, v52, v4
	v_fmac_f32_e32 v7, 0x32a5705f, v5
	v_sub_f32_e32 v6, v6, v9
	v_add_f32_e32 v6, v6, v7
	v_cvt_i32_f32_e32 v7, v9
	v_exp_f32_e32 v6, v6
	v_ldexp_f32 v6, v6, v7
	v_cndmask_b32_e32 v6, 0, v6, vcc_lo
	v_cmp_nlt_f32_e32 vcc_lo, 0x42b17218, v5
	v_cndmask_b32_e32 v5, 0x7f800000, v6, vcc_lo
	v_sub_f32_e32 v6, v116, v1
	v_cvt_f16_f32_e32 v9, v5
	v_mul_f32_e32 v7, 0x3fb8aa3b, v6
	v_cmp_ngt_f32_e32 vcc_lo, 0xc2ce8ed0, v6
	v_fma_f32 v15, 0x3fb8aa3b, v6, -v7
	v_rndne_f32_e32 v104, v7
	v_fmac_f32_e32 v15, 0x32a5705f, v6
	v_sub_f32_e32 v7, v7, v104
	v_add_f32_e32 v7, v7, v15
	v_cvt_i32_f32_e32 v15, v104
	v_exp_f32_e32 v7, v7
	v_ldexp_f32 v7, v7, v15
	v_cndmask_b32_e32 v7, 0, v7, vcc_lo
	v_cmp_nlt_f32_e32 vcc_lo, 0x42b17218, v6
	v_cndmask_b32_e32 v6, 0x7f800000, v7, vcc_lo
	v_add_f32_e32 v5, v5, v6
	v_cvt_f16_f32_e32 v7, v6
	v_sub_f32_e32 v6, v119, v1
	v_mul_f32_e32 v15, 0x3fb8aa3b, v6
	v_cmp_ngt_f32_e32 vcc_lo, 0xc2ce8ed0, v6
	v_fma_f32 v104, 0x3fb8aa3b, v6, -v15
	v_rndne_f32_e32 v108, v15
	v_fmac_f32_e32 v104, 0x32a5705f, v6
	v_sub_f32_e32 v15, v15, v108
	v_add_f32_e32 v15, v15, v104
	v_cvt_i32_f32_e32 v104, v108
	v_exp_f32_e32 v15, v15
	v_ldexp_f32 v15, v15, v104
	v_cndmask_b32_e32 v15, 0, v15, vcc_lo
	v_cmp_nlt_f32_e32 vcc_lo, 0x42b17218, v6
	v_cndmask_b32_e32 v6, 0x7f800000, v15, vcc_lo
	v_sub_f32_e32 v15, v121, v1
	v_add_f32_e32 v5, v6, v5
	v_mul_f32_e32 v104, 0x3fb8aa3b, v15
	v_cmp_ngt_f32_e32 vcc_lo, 0xc2ce8ed0, v15
	v_cvt_f16_f32_e32 v6, v6
	v_fma_f32 v108, 0x3fb8aa3b, v15, -v104
	v_rndne_f32_e32 v111, v104
	v_fmac_f32_e32 v108, 0x32a5705f, v15
	v_sub_f32_e32 v104, v104, v111
	v_add_f32_e32 v104, v104, v108
	v_cvt_i32_f32_e32 v108, v111
	v_exp_f32_e32 v104, v104
	v_ldexp_f32 v104, v104, v108
	v_cndmask_b32_e32 v104, 0, v104, vcc_lo
	v_cmp_nlt_f32_e32 vcc_lo, 0x42b17218, v15
	v_cndmask_b32_e32 v15, 0x7f800000, v104, vcc_lo
	v_cmp_ngt_f32_e32 vcc_lo, 0xc2ce8ed0, v13
	v_add_f32_e32 v104, v15, v5
	v_cvt_f16_f32_e32 v5, v15
	v_mul_f32_e32 v15, 0x3fb8aa3b, v13
	v_fma_f32 v108, 0x3fb8aa3b, v13, -v15
	v_rndne_f32_e32 v111, v15
	v_fmac_f32_e32 v108, 0x32a5705f, v13
	v_sub_f32_e32 v15, v15, v111
	v_add_f32_e32 v15, v15, v108
	v_cvt_i32_f32_e32 v108, v111
	v_exp_f32_e32 v15, v15
	v_ldexp_f32 v15, v15, v108
	v_sub_f32_e32 v108, v105, v2
	v_cndmask_b32_e32 v15, 0, v15, vcc_lo
	v_cmp_nlt_f32_e32 vcc_lo, 0x42b17218, v13
	v_cndmask_b32_e32 v13, 0x7f800000, v15, vcc_lo
	v_fmac_f32_e32 v104, v107, v13
	v_cvt_f16_f32_e32 v13, v13
	v_mul_u32_u24_sdwa v107, v13, v85 dst_sel:DWORD dst_unused:UNUSED_PAD src0_sel:WORD_0 src1_sel:DWORD
	v_sub_f32_e32 v13, v125, v2
	v_mul_f32_e32 v15, 0x3fb8aa3b, v13
	v_cmp_ngt_f32_e32 vcc_lo, 0xc2ce8ed0, v13
	v_fma_f32 v105, 0x3fb8aa3b, v13, -v15
	v_rndne_f32_e32 v111, v15
	v_fmac_f32_e32 v105, 0x32a5705f, v13
	v_sub_f32_e32 v15, v15, v111
	v_add_f32_e32 v15, v15, v105
	v_cvt_i32_f32_e32 v105, v111
	v_exp_f32_e32 v15, v15
	v_ldexp_f32 v15, v15, v105
	v_cndmask_b32_e32 v15, 0, v15, vcc_lo
	v_cmp_nlt_f32_e32 vcc_lo, 0x42b17218, v13
	v_cndmask_b32_e32 v13, 0x7f800000, v15, vcc_lo
	v_sub_f32_e32 v15, v114, v2
	v_cvt_f16_f32_e32 v111, v13
	v_mul_f32_e32 v105, 0x3fb8aa3b, v15
	v_cmp_ngt_f32_e32 vcc_lo, 0xc2ce8ed0, v15
	v_pack_b32_f16 v9, v9, v111
	v_fma_f32 v113, 0x3fb8aa3b, v15, -v105
	v_rndne_f32_e32 v114, v105
	v_fmac_f32_e32 v113, 0x32a5705f, v15
	v_sub_f32_e32 v105, v105, v114
	v_add_f32_e32 v105, v105, v113
	v_cvt_i32_f32_e32 v113, v114
	v_exp_f32_e32 v105, v105
	v_ldexp_f32 v105, v105, v113
	v_cndmask_b32_e32 v105, 0, v105, vcc_lo
	v_cmp_nlt_f32_e32 vcc_lo, 0x42b17218, v15
	v_cndmask_b32_e32 v15, 0x7f800000, v105, vcc_lo
	v_sub_f32_e32 v105, v118, v2
	v_add_f32_e32 v13, v13, v15
	v_mul_f32_e32 v113, 0x3fb8aa3b, v105
	v_cmp_ngt_f32_e32 vcc_lo, 0xc2ce8ed0, v105
	v_cvt_f16_f32_e32 v15, v15
	v_fma_f32 v114, 0x3fb8aa3b, v105, -v113
	v_rndne_f32_e32 v115, v113
	v_pack_b32_f16 v7, v7, v15
	v_fmac_f32_e32 v114, 0x32a5705f, v105
	v_sub_f32_e32 v113, v113, v115
	v_add_f32_e32 v113, v113, v114
	v_cvt_i32_f32_e32 v114, v115
	v_exp_f32_e32 v113, v113
	v_ldexp_f32 v113, v113, v114
	v_cndmask_b32_e32 v113, 0, v113, vcc_lo
	v_cmp_nlt_f32_e32 vcc_lo, 0x42b17218, v105
	v_cndmask_b32_e32 v105, 0x7f800000, v113, vcc_lo
	v_cmp_ngt_f32_e32 vcc_lo, 0xc2ce8ed0, v12
	v_add_f32_e32 v113, v105, v13
	v_cvt_f16_f32_e32 v13, v105
	v_mul_f32_e32 v105, 0x3fb8aa3b, v12
	v_pack_b32_f16 v6, v6, v13
	v_fma_f32 v114, 0x3fb8aa3b, v12, -v105
	v_rndne_f32_e32 v115, v105
	v_fmac_f32_e32 v114, 0x32a5705f, v12
	v_sub_f32_e32 v105, v105, v115
	v_add_f32_e32 v105, v105, v114
	v_cvt_i32_f32_e32 v114, v115
	v_exp_f32_e32 v105, v105
	v_ldexp_f32 v105, v105, v114
	v_cndmask_b32_e32 v105, 0, v105, vcc_lo
	v_cmp_nlt_f32_e32 vcc_lo, 0x42b17218, v12
	v_cndmask_b32_e32 v12, 0x7f800000, v105, vcc_lo
	v_cmp_ngt_f32_e32 vcc_lo, 0xc2ce8ed0, v108
	v_add_f32_e32 v105, v12, v113
	v_mul_f32_e32 v113, 0x3fb8aa3b, v108
	v_cvt_f16_f32_e32 v12, v12
	v_fma_f32 v114, 0x3fb8aa3b, v108, -v113
	v_rndne_f32_e32 v115, v113
	v_fmac_f32_e32 v114, 0x32a5705f, v108
	v_sub_f32_e32 v113, v113, v115
	v_add_f32_e32 v113, v113, v114
	v_cvt_i32_f32_e32 v114, v115
	v_exp_f32_e32 v113, v113
	v_ldexp_f32 v113, v113, v114
	v_cndmask_b32_e32 v113, 0, v113, vcc_lo
	v_cmp_nlt_f32_e32 vcc_lo, 0x42b17218, v108
	v_cndmask_b32_e32 v108, 0x7f800000, v113, vcc_lo
	v_sub_f32_e32 v113, v54, v3
	v_sub_f32_e32 v54, v112, v3
	v_fmac_f32_e32 v105, v106, v108
	v_cvt_f16_f32_e32 v106, v108
	v_cmp_ngt_f32_e32 vcc_lo, 0xc2ce8ed0, v54
	v_mul_u32_u24_sdwa v108, v106, v85 dst_sel:DWORD dst_unused:UNUSED_PAD src0_sel:WORD_0 src1_sel:DWORD
	v_mul_f32_e32 v106, 0x3fb8aa3b, v54
	v_fma_f32 v112, 0x3fb8aa3b, v54, -v106
	v_rndne_f32_e32 v114, v106
	v_fmac_f32_e32 v112, 0x32a5705f, v54
	v_sub_f32_e32 v106, v106, v114
	v_add_f32_e32 v106, v106, v112
	v_cvt_i32_f32_e32 v112, v114
	v_exp_f32_e32 v106, v106
	v_ldexp_f32 v106, v106, v112
	v_cndmask_b32_e32 v106, 0, v106, vcc_lo
	v_cmp_nlt_f32_e32 vcc_lo, 0x42b17218, v54
	v_cndmask_b32_e32 v54, 0x7f800000, v106, vcc_lo
	v_sub_f32_e32 v106, v110, v3
	v_cvt_f16_f32_e32 v112, v54
	v_mul_f32_e32 v110, 0x3fb8aa3b, v106
	v_cmp_ngt_f32_e32 vcc_lo, 0xc2ce8ed0, v106
	v_fma_f32 v114, 0x3fb8aa3b, v106, -v110
	v_rndne_f32_e32 v115, v110
	v_fmac_f32_e32 v114, 0x32a5705f, v106
	v_sub_f32_e32 v110, v110, v115
	v_add_f32_e32 v110, v110, v114
	v_cvt_i32_f32_e32 v114, v115
	v_exp_f32_e32 v110, v110
	v_ldexp_f32 v110, v110, v114
	v_cndmask_b32_e32 v110, 0, v110, vcc_lo
	v_cmp_nlt_f32_e32 vcc_lo, 0x42b17218, v106
	v_cndmask_b32_e32 v106, 0x7f800000, v110, vcc_lo
	v_add_f32_e32 v54, v54, v106
	v_cvt_f16_f32_e32 v114, v106
	v_sub_f32_e32 v106, v109, v3
	v_mul_f32_e32 v109, 0x3fb8aa3b, v106
	v_cmp_ngt_f32_e32 vcc_lo, 0xc2ce8ed0, v106
	v_fma_f32 v110, 0x3fb8aa3b, v106, -v109
	v_rndne_f32_e32 v115, v109
	v_fmac_f32_e32 v110, 0x32a5705f, v106
	v_sub_f32_e32 v109, v109, v115
	v_add_f32_e32 v109, v109, v110
	v_cvt_i32_f32_e32 v110, v115
	v_exp_f32_e32 v109, v109
	v_ldexp_f32 v109, v109, v110
	v_cndmask_b32_e32 v109, 0, v109, vcc_lo
	v_cmp_nlt_f32_e32 vcc_lo, 0x42b17218, v106
	v_cndmask_b32_e32 v106, 0x7f800000, v109, vcc_lo
	v_cmp_ngt_f32_e32 vcc_lo, 0xc2ce8ed0, v16
	v_add_f32_e32 v109, v106, v54
	v_cvt_f16_f32_e32 v54, v106
	v_mul_f32_e32 v106, 0x3fb8aa3b, v16
	v_fma_f32 v110, 0x3fb8aa3b, v16, -v106
	v_rndne_f32_e32 v115, v106
	v_fmac_f32_e32 v110, 0x32a5705f, v16
	v_sub_f32_e32 v106, v106, v115
	v_add_f32_e32 v106, v106, v110
	v_cvt_i32_f32_e32 v110, v115
	v_exp_f32_e32 v106, v106
	v_ldexp_f32 v106, v106, v110
	v_cndmask_b32_e32 v106, 0, v106, vcc_lo
	v_cmp_nlt_f32_e32 vcc_lo, 0x42b17218, v16
	v_cndmask_b32_e32 v16, 0x7f800000, v106, vcc_lo
	v_cmp_ngt_f32_e32 vcc_lo, 0xc2ce8ed0, v113
	v_add_f32_e32 v106, v16, v109
	v_mul_f32_e32 v109, 0x3fb8aa3b, v113
	v_cvt_f16_f32_e32 v16, v16
	v_fma_f32 v110, 0x3fb8aa3b, v113, -v109
	v_rndne_f32_e32 v115, v109
	v_fmac_f32_e32 v110, 0x32a5705f, v113
	v_sub_f32_e32 v109, v109, v115
	v_add_f32_e32 v109, v109, v110
	v_cvt_i32_f32_e32 v110, v115
	v_exp_f32_e32 v109, v109
	v_ldexp_f32 v109, v109, v110
	v_cndmask_b32_e32 v109, 0, v109, vcc_lo
	v_cmp_nlt_f32_e32 vcc_lo, 0x42b17218, v113
	v_cndmask_b32_e32 v109, 0x7f800000, v109, vcc_lo
	v_cmp_ngt_f32_e32 vcc_lo, 0xc2ce8ed0, v14
	v_fmac_f32_e32 v106, v53, v109
	v_cvt_f16_f32_e32 v53, v109
	v_mul_u32_u24_sdwa v109, v53, v85 dst_sel:DWORD dst_unused:UNUSED_PAD src0_sel:WORD_0 src1_sel:DWORD
	v_mul_f32_e32 v53, 0x3fb8aa3b, v14
	v_fma_f32 v110, 0x3fb8aa3b, v14, -v53
	v_rndne_f32_e32 v113, v53
	v_fmac_f32_e32 v110, 0x32a5705f, v14
	v_sub_f32_e32 v53, v53, v113
	v_add_f32_e32 v53, v53, v110
	v_cvt_i32_f32_e32 v110, v113
	v_exp_f32_e32 v53, v53
	v_ldexp_f32 v53, v53, v110
	v_mul_f32_e32 v110, 0x3fb8aa3b, v11
	v_cndmask_b32_e32 v53, 0, v53, vcc_lo
	v_fma_f32 v113, 0x3fb8aa3b, v11, -v110
	v_rndne_f32_e32 v115, v110
	v_cmp_nlt_f32_e32 vcc_lo, 0x42b17218, v14
	v_fmac_f32_e32 v113, 0x32a5705f, v11
	v_sub_f32_e32 v110, v110, v115
	v_cndmask_b32_e32 v14, 0x7f800000, v53, vcc_lo
	v_cmp_ngt_f32_e32 vcc_lo, 0xc2ce8ed0, v11
	v_add_f32_e32 v110, v110, v113
	v_cvt_i32_f32_e32 v113, v115
	v_cvt_f16_f32_e32 v53, v14
	v_exp_f32_e32 v110, v110
	v_ldexp_f32 v110, v110, v113
	v_cndmask_b32_e32 v110, 0, v110, vcc_lo
	v_cmp_nlt_f32_e32 vcc_lo, 0x42b17218, v11
	v_cndmask_b32_e32 v11, 0x7f800000, v110, vcc_lo
	v_mul_f32_e32 v110, 0x3fb8aa3b, v10
	v_cmp_ngt_f32_e32 vcc_lo, 0xc2ce8ed0, v10
	v_add_f32_e32 v14, v14, v11
	v_fma_f32 v113, 0x3fb8aa3b, v10, -v110
	v_rndne_f32_e32 v115, v110
	v_cvt_f16_f32_e32 v11, v11
	v_fmac_f32_e32 v113, 0x32a5705f, v10
	v_sub_f32_e32 v110, v110, v115
	v_add_f32_e32 v110, v110, v113
	v_cvt_i32_f32_e32 v113, v115
	v_exp_f32_e32 v110, v110
	v_ldexp_f32 v110, v110, v113
	v_cndmask_b32_e32 v110, 0, v110, vcc_lo
	v_cmp_nlt_f32_e32 vcc_lo, 0x42b17218, v10
	v_cndmask_b32_e32 v10, 0x7f800000, v110, vcc_lo
	v_cmp_ngt_f32_e32 vcc_lo, 0xc2ce8ed0, v8
	v_add_f32_e32 v14, v10, v14
	v_cvt_f16_f32_e32 v113, v10
	v_mul_f32_e32 v10, 0x3fb8aa3b, v8
	v_fma_f32 v110, 0x3fb8aa3b, v8, -v10
	v_rndne_f32_e32 v115, v10
	v_fmac_f32_e32 v110, 0x32a5705f, v8
	v_sub_f32_e32 v10, v10, v115
	v_add_f32_e32 v10, v10, v110
	v_cvt_i32_f32_e32 v110, v115
	v_exp_f32_e32 v10, v10
	v_ldexp_f32 v10, v10, v110
	v_cndmask_b32_e32 v10, 0, v10, vcc_lo
	v_cmp_nlt_f32_e32 vcc_lo, 0x42b17218, v8
	v_cndmask_b32_e32 v8, 0x7f800000, v10, vcc_lo
	v_cmp_ngt_f32_e32 vcc_lo, 0xc2ce8ed0, v52
	v_add_f32_e32 v10, v8, v14
	v_cvt_f16_f32_e32 v14, v8
	v_mul_f32_e32 v8, 0x3fb8aa3b, v52
	v_fma_f32 v110, 0x3fb8aa3b, v52, -v8
	v_rndne_f32_e32 v115, v8
	v_fmac_f32_e32 v110, 0x32a5705f, v52
	v_sub_f32_e32 v8, v8, v115
	v_add_f32_e32 v8, v8, v110
	v_cvt_i32_f32_e32 v110, v115
	v_exp_f32_e32 v8, v8
	v_ldexp_f32 v8, v8, v110
	v_cndmask_b32_e32 v8, 0, v8, vcc_lo
	v_cmp_nlt_f32_e32 vcc_lo, 0x42b17218, v52
	v_mov_b32_e32 v52, v72
	v_mov_b32_e32 v72, v10
	v_pack_b32_f16 v10, v112, v53
	v_cndmask_b32_e32 v8, 0x7f800000, v8, vcc_lo
	v_fmac_f32_e32 v72, v52, v8
	v_cvt_f16_f32_e32 v8, v8
	v_mul_u32_u24_sdwa v8, v8, v85 dst_sel:DWORD dst_unused:UNUSED_PAD src0_sel:WORD_0 src1_sel:DWORD
	v_pk_mul_f16 v110, v51, v8
	v_pack_b32_f16 v8, v114, v11
	ds_write2_b64 v84, v[9:10], v[7:8] offset1:32
	v_pack_b32_f16 v7, v54, v113
	v_pack_b32_f16 v9, v16, v14
	;; [unrolled: 1-line block ×3, first 2 shown]
	v_add_co_u32 v5, vcc_lo, s14, v35
	ds_write2_b64 v84, v[6:7], v[8:9] offset0:64 offset1:96
	v_add_co_ci_u32_e64 v6, null, s15, v36, vcc_lo
	v_add_co_u32 v53, vcc_lo, v5, v83
	v_add_co_ci_u32_e64 v54, null, 0, v6, vcc_lo
	v_add_co_u32 v5, vcc_lo, s14, v37
	v_add_co_ci_u32_e64 v6, null, s15, v38, vcc_lo
	global_load_dwordx4 v[111:114], v[53:54], off
	v_add_co_u32 v51, vcc_lo, v5, v83
	v_add_co_ci_u32_e64 v52, null, 0, v6, vcc_lo
	v_add_co_u32 v5, vcc_lo, s14, v39
	v_add_co_ci_u32_e64 v6, null, s15, v40, vcc_lo
	global_load_dwordx4 v[51:54], v[51:52], off
	v_add_co_u32 v15, vcc_lo, v5, v83
	v_add_co_ci_u32_e64 v16, null, 0, v6, vcc_lo
	v_add_co_u32 v5, vcc_lo, s14, v41
	v_add_co_ci_u32_e64 v6, null, s15, v42, vcc_lo
	;; [unrolled: 2-line block ×11, first 2 shown]
	s_waitcnt vmcnt(1)
	ds_write_b128 v66, v[111:114]
	s_waitcnt vmcnt(0)
	ds_write_b128 v76, v[51:54]
	s_clause 0x1
	global_load_dwordx4 v[51:54], v[15:16], off
	global_load_dwordx4 v[13:16], v[13:14], off
	s_waitcnt vmcnt(1)
	ds_write_b128 v77, v[51:54]
	s_waitcnt vmcnt(0)
	ds_write_b128 v78, v[13:16]
	global_load_dwordx4 v[11:14], v[11:12], off
	s_waitcnt vmcnt(0)
	ds_write_b128 v79, v[11:14]
	global_load_dwordx4 v[9:12], v[9:10], off
	;; [unrolled: 3-line block ×4, first 2 shown]
	s_waitcnt vmcnt(0)
	ds_write_b128 v82, v[5:8]
	s_waitcnt lgkmcnt(0)
	s_barrier
	buffer_gl0_inv
	ds_read2_b32 v[111:112], v61 offset1:32
	ds_read_b128 v[5:8], v75
	ds_read_b128 v[9:12], v75 offset:16
	ds_read_b128 v[13:16], v75 offset:32
	;; [unrolled: 1-line block ×3, first 2 shown]
	s_waitcnt lgkmcnt(3)
	v_mul_u32_u24_sdwa v113, v5, v85 dst_sel:DWORD dst_unused:UNUSED_PAD src0_sel:WORD_0 src1_sel:DWORD
	v_mul_u32_u24_sdwa v5, v5, v85 dst_sel:DWORD dst_unused:UNUSED_PAD src0_sel:WORD_1 src1_sel:DWORD
	v_mul_u32_u24_sdwa v114, v6, v85 dst_sel:DWORD dst_unused:UNUSED_PAD src0_sel:WORD_0 src1_sel:DWORD
	v_mul_u32_u24_sdwa v6, v6, v85 dst_sel:DWORD dst_unused:UNUSED_PAD src0_sel:WORD_1 src1_sel:DWORD
	v_pk_mul_f16 v113, v111, v113
	v_pk_mul_f16 v5, v111, v5
	v_pk_fma_f16 v6, v111, v6, v110
	v_pk_fma_f16 v103, v103, v107, v113
	;; [unrolled: 1-line block ×3, first 2 shown]
	v_pk_mul_f16 v102, v111, v114
	v_mul_u32_u24_sdwa v107, v8, v85 dst_sel:DWORD dst_unused:UNUSED_PAD src0_sel:WORD_0 src1_sel:DWORD
	v_mul_u32_u24_sdwa v8, v8, v85 dst_sel:DWORD dst_unused:UNUSED_PAD src0_sel:WORD_1 src1_sel:DWORD
	v_pk_fma_f16 v101, v101, v109, v102
	v_mul_u32_u24_sdwa v102, v7, v85 dst_sel:DWORD dst_unused:UNUSED_PAD src0_sel:WORD_0 src1_sel:DWORD
	v_mul_u32_u24_sdwa v7, v7, v85 dst_sel:DWORD dst_unused:UNUSED_PAD src0_sel:WORD_1 src1_sel:DWORD
	v_pk_fma_f16 v8, v112, v8, v6
	v_pk_fma_f16 v101, v112, v107, v101
	;; [unrolled: 1-line block ×4, first 2 shown]
	ds_read2_b32 v[5:6], v61 offset0:64 offset1:96
	s_waitcnt lgkmcnt(3)
	v_mul_u32_u24_sdwa v103, v9, v85 dst_sel:DWORD dst_unused:UNUSED_PAD src0_sel:WORD_0 src1_sel:DWORD
	v_mul_u32_u24_sdwa v9, v9, v85 dst_sel:DWORD dst_unused:UNUSED_PAD src0_sel:WORD_1 src1_sel:DWORD
	v_mul_u32_u24_sdwa v107, v10, v85 dst_sel:DWORD dst_unused:UNUSED_PAD src0_sel:WORD_0 src1_sel:DWORD
	v_mul_u32_u24_sdwa v10, v10, v85 dst_sel:DWORD dst_unused:UNUSED_PAD src0_sel:WORD_1 src1_sel:DWORD
	s_waitcnt lgkmcnt(0)
	v_pk_fma_f16 v102, v5, v103, v102
	v_pk_fma_f16 v7, v5, v9, v7
	;; [unrolled: 1-line block ×4, first 2 shown]
	v_mul_u32_u24_sdwa v8, v11, v85 dst_sel:DWORD dst_unused:UNUSED_PAD src0_sel:WORD_0 src1_sel:DWORD
	v_mul_u32_u24_sdwa v10, v11, v85 dst_sel:DWORD dst_unused:UNUSED_PAD src0_sel:WORD_1 src1_sel:DWORD
	v_mul_u32_u24_sdwa v11, v12, v85 dst_sel:DWORD dst_unused:UNUSED_PAD src0_sel:WORD_0 src1_sel:DWORD
	v_mul_u32_u24_sdwa v12, v12, v85 dst_sel:DWORD dst_unused:UNUSED_PAD src0_sel:WORD_1 src1_sel:DWORD
	v_pk_fma_f16 v8, v6, v8, v102
	v_pk_fma_f16 v7, v6, v10, v7
	;; [unrolled: 1-line block ×4, first 2 shown]
	ds_read2_b32 v[5:6], v61 offset0:128 offset1:160
	v_mul_u32_u24_sdwa v11, v13, v85 dst_sel:DWORD dst_unused:UNUSED_PAD src0_sel:WORD_0 src1_sel:DWORD
	v_mul_u32_u24_sdwa v12, v13, v85 dst_sel:DWORD dst_unused:UNUSED_PAD src0_sel:WORD_1 src1_sel:DWORD
	v_mul_u32_u24_sdwa v13, v14, v85 dst_sel:DWORD dst_unused:UNUSED_PAD src0_sel:WORD_0 src1_sel:DWORD
	v_mul_u32_u24_sdwa v14, v14, v85 dst_sel:DWORD dst_unused:UNUSED_PAD src0_sel:WORD_1 src1_sel:DWORD
	s_waitcnt lgkmcnt(0)
	v_pk_fma_f16 v8, v5, v11, v8
	v_pk_fma_f16 v7, v5, v12, v7
	;; [unrolled: 1-line block ×4, first 2 shown]
	v_mul_u32_u24_sdwa v10, v15, v85 dst_sel:DWORD dst_unused:UNUSED_PAD src0_sel:WORD_0 src1_sel:DWORD
	v_mul_u32_u24_sdwa v11, v15, v85 dst_sel:DWORD dst_unused:UNUSED_PAD src0_sel:WORD_1 src1_sel:DWORD
	v_mul_u32_u24_sdwa v12, v16, v85 dst_sel:DWORD dst_unused:UNUSED_PAD src0_sel:WORD_0 src1_sel:DWORD
	v_mul_u32_u24_sdwa v13, v16, v85 dst_sel:DWORD dst_unused:UNUSED_PAD src0_sel:WORD_1 src1_sel:DWORD
	v_mul_u32_u24_sdwa v14, v52, v85 dst_sel:DWORD dst_unused:UNUSED_PAD src0_sel:WORD_1 src1_sel:DWORD
	v_pk_fma_f16 v8, v6, v10, v8
	v_pk_fma_f16 v7, v6, v11, v7
	;; [unrolled: 1-line block ×4, first 2 shown]
	ds_read2_b32 v[5:6], v61 offset0:192 offset1:224
	v_mul_u32_u24_sdwa v11, v51, v85 dst_sel:DWORD dst_unused:UNUSED_PAD src0_sel:WORD_0 src1_sel:DWORD
	v_mul_u32_u24_sdwa v12, v51, v85 dst_sel:DWORD dst_unused:UNUSED_PAD src0_sel:WORD_1 src1_sel:DWORD
	v_mul_u32_u24_sdwa v13, v52, v85 dst_sel:DWORD dst_unused:UNUSED_PAD src0_sel:WORD_0 src1_sel:DWORD
	s_waitcnt lgkmcnt(0)
	v_pk_fma_f16 v8, v5, v11, v8
	v_pk_fma_f16 v7, v5, v12, v7
	;; [unrolled: 1-line block ×4, first 2 shown]
	v_mul_u32_u24_sdwa v10, v53, v85 dst_sel:DWORD dst_unused:UNUSED_PAD src0_sel:WORD_0 src1_sel:DWORD
	v_mul_u32_u24_sdwa v11, v53, v85 dst_sel:DWORD dst_unused:UNUSED_PAD src0_sel:WORD_1 src1_sel:DWORD
	v_mul_u32_u24_sdwa v12, v54, v85 dst_sel:DWORD dst_unused:UNUSED_PAD src0_sel:WORD_0 src1_sel:DWORD
	v_mul_u32_u24_sdwa v13, v54, v85 dst_sel:DWORD dst_unused:UNUSED_PAD src0_sel:WORD_1 src1_sel:DWORD
	v_pk_fma_f16 v14, v6, v10, v8
	v_pk_fma_f16 v11, v6, v11, v7
	;; [unrolled: 1-line block ×4, first 2 shown]
	ds_read2_b32 v[9:10], v86 offset1:32
	ds_read_b128 v[5:8], v75 offset:64
	s_waitcnt lgkmcnt(0)
	v_mul_u32_u24_sdwa v15, v5, v85 dst_sel:DWORD dst_unused:UNUSED_PAD src0_sel:WORD_0 src1_sel:DWORD
	v_mul_u32_u24_sdwa v5, v5, v85 dst_sel:DWORD dst_unused:UNUSED_PAD src0_sel:WORD_1 src1_sel:DWORD
	v_mul_u32_u24_sdwa v16, v6, v85 dst_sel:DWORD dst_unused:UNUSED_PAD src0_sel:WORD_0 src1_sel:DWORD
	v_mul_u32_u24_sdwa v6, v6, v85 dst_sel:DWORD dst_unused:UNUSED_PAD src0_sel:WORD_1 src1_sel:DWORD
	v_pk_fma_f16 v14, v9, v15, v14
	v_pk_fma_f16 v5, v9, v5, v11
	v_pk_fma_f16 v11, v9, v16, v12
	v_pk_fma_f16 v6, v9, v6, v13
	v_mul_u32_u24_sdwa v9, v7, v85 dst_sel:DWORD dst_unused:UNUSED_PAD src0_sel:WORD_0 src1_sel:DWORD
	v_mul_u32_u24_sdwa v7, v7, v85 dst_sel:DWORD dst_unused:UNUSED_PAD src0_sel:WORD_1 src1_sel:DWORD
	v_mul_u32_u24_sdwa v12, v8, v85 dst_sel:DWORD dst_unused:UNUSED_PAD src0_sel:WORD_0 src1_sel:DWORD
	v_mul_u32_u24_sdwa v8, v8, v85 dst_sel:DWORD dst_unused:UNUSED_PAD src0_sel:WORD_1 src1_sel:DWORD
	v_pk_fma_f16 v13, v10, v9, v14
	v_pk_fma_f16 v14, v10, v7, v5
	v_pk_fma_f16 v11, v10, v12, v11
	v_pk_fma_f16 v12, v10, v8, v6
	ds_read2_b32 v[9:10], v86 offset0:64 offset1:96
	ds_read_b128 v[5:8], v75 offset:80
	s_waitcnt lgkmcnt(0)
	v_mul_u32_u24_sdwa v15, v5, v85 dst_sel:DWORD dst_unused:UNUSED_PAD src0_sel:WORD_0 src1_sel:DWORD
	v_mul_u32_u24_sdwa v5, v5, v85 dst_sel:DWORD dst_unused:UNUSED_PAD src0_sel:WORD_1 src1_sel:DWORD
	v_mul_u32_u24_sdwa v16, v6, v85 dst_sel:DWORD dst_unused:UNUSED_PAD src0_sel:WORD_0 src1_sel:DWORD
	v_mul_u32_u24_sdwa v6, v6, v85 dst_sel:DWORD dst_unused:UNUSED_PAD src0_sel:WORD_1 src1_sel:DWORD
	v_pk_fma_f16 v13, v9, v15, v13
	v_pk_fma_f16 v5, v9, v5, v14
	v_pk_fma_f16 v11, v9, v16, v11
	v_pk_fma_f16 v6, v9, v6, v12
	v_mul_u32_u24_sdwa v9, v7, v85 dst_sel:DWORD dst_unused:UNUSED_PAD src0_sel:WORD_0 src1_sel:DWORD
	v_mul_u32_u24_sdwa v7, v7, v85 dst_sel:DWORD dst_unused:UNUSED_PAD src0_sel:WORD_1 src1_sel:DWORD
	v_mul_u32_u24_sdwa v12, v8, v85 dst_sel:DWORD dst_unused:UNUSED_PAD src0_sel:WORD_0 src1_sel:DWORD
	v_mul_u32_u24_sdwa v8, v8, v85 dst_sel:DWORD dst_unused:UNUSED_PAD src0_sel:WORD_1 src1_sel:DWORD
	v_pk_fma_f16 v13, v10, v9, v13
	v_pk_fma_f16 v14, v10, v7, v5
	v_pk_fma_f16 v11, v10, v12, v11
	v_pk_fma_f16 v12, v10, v8, v6
	ds_read2_b32 v[9:10], v86 offset0:128 offset1:160
	;; [unrolled: 19-line block ×3, first 2 shown]
	ds_read_b128 v[5:8], v75 offset:112
	s_waitcnt lgkmcnt(0)
	v_mul_u32_u24_sdwa v15, v5, v85 dst_sel:DWORD dst_unused:UNUSED_PAD src0_sel:WORD_0 src1_sel:DWORD
	v_mul_u32_u24_sdwa v5, v5, v85 dst_sel:DWORD dst_unused:UNUSED_PAD src0_sel:WORD_1 src1_sel:DWORD
	v_mul_u32_u24_sdwa v16, v6, v85 dst_sel:DWORD dst_unused:UNUSED_PAD src0_sel:WORD_0 src1_sel:DWORD
	v_mul_u32_u24_sdwa v6, v6, v85 dst_sel:DWORD dst_unused:UNUSED_PAD src0_sel:WORD_1 src1_sel:DWORD
	v_pk_fma_f16 v13, v9, v15, v13
	v_pk_fma_f16 v5, v9, v5, v14
	;; [unrolled: 1-line block ×4, first 2 shown]
	v_mul_u32_u24_sdwa v9, v7, v85 dst_sel:DWORD dst_unused:UNUSED_PAD src0_sel:WORD_0 src1_sel:DWORD
	v_mul_u32_u24_sdwa v7, v7, v85 dst_sel:DWORD dst_unused:UNUSED_PAD src0_sel:WORD_1 src1_sel:DWORD
	v_mul_u32_u24_sdwa v12, v8, v85 dst_sel:DWORD dst_unused:UNUSED_PAD src0_sel:WORD_0 src1_sel:DWORD
	v_mul_u32_u24_sdwa v8, v8, v85 dst_sel:DWORD dst_unused:UNUSED_PAD src0_sel:WORD_1 src1_sel:DWORD
	v_pk_fma_f16 v13, v10, v9, v13
	v_pk_fma_f16 v14, v10, v7, v5
	;; [unrolled: 1-line block ×4, first 2 shown]
	ds_read2_b32 v[9:10], v87 offset1:32
	ds_read_b128 v[5:8], v75 offset:128
	s_waitcnt lgkmcnt(0)
	v_mul_u32_u24_sdwa v15, v5, v85 dst_sel:DWORD dst_unused:UNUSED_PAD src0_sel:WORD_0 src1_sel:DWORD
	v_mul_u32_u24_sdwa v5, v5, v85 dst_sel:DWORD dst_unused:UNUSED_PAD src0_sel:WORD_1 src1_sel:DWORD
	v_mul_u32_u24_sdwa v16, v6, v85 dst_sel:DWORD dst_unused:UNUSED_PAD src0_sel:WORD_0 src1_sel:DWORD
	v_mul_u32_u24_sdwa v6, v6, v85 dst_sel:DWORD dst_unused:UNUSED_PAD src0_sel:WORD_1 src1_sel:DWORD
	v_pk_fma_f16 v13, v9, v15, v13
	v_pk_fma_f16 v5, v9, v5, v14
	v_pk_fma_f16 v11, v9, v16, v11
	v_pk_fma_f16 v6, v9, v6, v12
	v_mul_u32_u24_sdwa v9, v7, v85 dst_sel:DWORD dst_unused:UNUSED_PAD src0_sel:WORD_0 src1_sel:DWORD
	v_mul_u32_u24_sdwa v7, v7, v85 dst_sel:DWORD dst_unused:UNUSED_PAD src0_sel:WORD_1 src1_sel:DWORD
	v_mul_u32_u24_sdwa v12, v8, v85 dst_sel:DWORD dst_unused:UNUSED_PAD src0_sel:WORD_0 src1_sel:DWORD
	v_mul_u32_u24_sdwa v8, v8, v85 dst_sel:DWORD dst_unused:UNUSED_PAD src0_sel:WORD_1 src1_sel:DWORD
	v_pk_fma_f16 v13, v10, v9, v13
	v_pk_fma_f16 v14, v10, v7, v5
	v_pk_fma_f16 v11, v10, v12, v11
	v_pk_fma_f16 v12, v10, v8, v6
	ds_read2_b32 v[9:10], v87 offset0:64 offset1:96
	ds_read_b128 v[5:8], v75 offset:144
	s_waitcnt lgkmcnt(0)
	v_mul_u32_u24_sdwa v15, v5, v85 dst_sel:DWORD dst_unused:UNUSED_PAD src0_sel:WORD_0 src1_sel:DWORD
	v_mul_u32_u24_sdwa v5, v5, v85 dst_sel:DWORD dst_unused:UNUSED_PAD src0_sel:WORD_1 src1_sel:DWORD
	v_mul_u32_u24_sdwa v16, v6, v85 dst_sel:DWORD dst_unused:UNUSED_PAD src0_sel:WORD_0 src1_sel:DWORD
	v_mul_u32_u24_sdwa v6, v6, v85 dst_sel:DWORD dst_unused:UNUSED_PAD src0_sel:WORD_1 src1_sel:DWORD
	v_pk_fma_f16 v13, v9, v15, v13
	v_pk_fma_f16 v5, v9, v5, v14
	v_pk_fma_f16 v11, v9, v16, v11
	v_pk_fma_f16 v6, v9, v6, v12
	v_mul_u32_u24_sdwa v9, v7, v85 dst_sel:DWORD dst_unused:UNUSED_PAD src0_sel:WORD_0 src1_sel:DWORD
	v_mul_u32_u24_sdwa v7, v7, v85 dst_sel:DWORD dst_unused:UNUSED_PAD src0_sel:WORD_1 src1_sel:DWORD
	v_mul_u32_u24_sdwa v12, v8, v85 dst_sel:DWORD dst_unused:UNUSED_PAD src0_sel:WORD_0 src1_sel:DWORD
	v_mul_u32_u24_sdwa v8, v8, v85 dst_sel:DWORD dst_unused:UNUSED_PAD src0_sel:WORD_1 src1_sel:DWORD
	v_pk_fma_f16 v13, v10, v9, v13
	v_pk_fma_f16 v14, v10, v7, v5
	v_pk_fma_f16 v11, v10, v12, v11
	v_pk_fma_f16 v12, v10, v8, v6
	ds_read2_b32 v[9:10], v87 offset0:128 offset1:160
	ds_read_b128 v[5:8], v75 offset:160
	s_waitcnt lgkmcnt(0)
	v_mul_u32_u24_sdwa v15, v5, v85 dst_sel:DWORD dst_unused:UNUSED_PAD src0_sel:WORD_0 src1_sel:DWORD
	v_mul_u32_u24_sdwa v5, v5, v85 dst_sel:DWORD dst_unused:UNUSED_PAD src0_sel:WORD_1 src1_sel:DWORD
	v_mul_u32_u24_sdwa v16, v6, v85 dst_sel:DWORD dst_unused:UNUSED_PAD src0_sel:WORD_0 src1_sel:DWORD
	v_mul_u32_u24_sdwa v6, v6, v85 dst_sel:DWORD dst_unused:UNUSED_PAD src0_sel:WORD_1 src1_sel:DWORD
	v_pk_fma_f16 v13, v9, v15, v13
	v_pk_fma_f16 v5, v9, v5, v14
	v_pk_fma_f16 v11, v9, v16, v11
	v_pk_fma_f16 v6, v9, v6, v12
	v_mul_u32_u24_sdwa v9, v7, v85 dst_sel:DWORD dst_unused:UNUSED_PAD src0_sel:WORD_0 src1_sel:DWORD
	v_mul_u32_u24_sdwa v7, v7, v85 dst_sel:DWORD dst_unused:UNUSED_PAD src0_sel:WORD_1 src1_sel:DWORD
	v_mul_u32_u24_sdwa v12, v8, v85 dst_sel:DWORD dst_unused:UNUSED_PAD src0_sel:WORD_0 src1_sel:DWORD
	v_mul_u32_u24_sdwa v8, v8, v85 dst_sel:DWORD dst_unused:UNUSED_PAD src0_sel:WORD_1 src1_sel:DWORD
	v_pk_fma_f16 v13, v10, v9, v13
	v_pk_fma_f16 v14, v10, v7, v5
	v_pk_fma_f16 v11, v10, v12, v11
	v_pk_fma_f16 v12, v10, v8, v6
	ds_read2_b32 v[9:10], v87 offset0:192 offset1:224
	ds_read_b128 v[5:8], v75 offset:176
	s_waitcnt lgkmcnt(0)
	v_mul_u32_u24_sdwa v15, v5, v85 dst_sel:DWORD dst_unused:UNUSED_PAD src0_sel:WORD_0 src1_sel:DWORD
	v_mul_u32_u24_sdwa v5, v5, v85 dst_sel:DWORD dst_unused:UNUSED_PAD src0_sel:WORD_1 src1_sel:DWORD
	v_mul_u32_u24_sdwa v16, v6, v85 dst_sel:DWORD dst_unused:UNUSED_PAD src0_sel:WORD_0 src1_sel:DWORD
	v_mul_u32_u24_sdwa v6, v6, v85 dst_sel:DWORD dst_unused:UNUSED_PAD src0_sel:WORD_1 src1_sel:DWORD
	v_pk_fma_f16 v13, v9, v15, v13
	v_pk_fma_f16 v5, v9, v5, v14
	v_pk_fma_f16 v11, v9, v16, v11
	v_pk_fma_f16 v6, v9, v6, v12
	v_mul_u32_u24_sdwa v9, v7, v85 dst_sel:DWORD dst_unused:UNUSED_PAD src0_sel:WORD_0 src1_sel:DWORD
	v_mul_u32_u24_sdwa v7, v7, v85 dst_sel:DWORD dst_unused:UNUSED_PAD src0_sel:WORD_1 src1_sel:DWORD
	v_mul_u32_u24_sdwa v12, v8, v85 dst_sel:DWORD dst_unused:UNUSED_PAD src0_sel:WORD_0 src1_sel:DWORD
	v_mul_u32_u24_sdwa v8, v8, v85 dst_sel:DWORD dst_unused:UNUSED_PAD src0_sel:WORD_1 src1_sel:DWORD
	v_pk_fma_f16 v13, v10, v9, v13
	v_pk_fma_f16 v14, v10, v7, v5
	;; [unrolled: 1-line block ×4, first 2 shown]
	ds_read2_b32 v[9:10], v88 offset1:32
	ds_read_b128 v[5:8], v75 offset:192
	s_waitcnt lgkmcnt(0)
	v_mul_u32_u24_sdwa v15, v5, v85 dst_sel:DWORD dst_unused:UNUSED_PAD src0_sel:WORD_0 src1_sel:DWORD
	v_mul_u32_u24_sdwa v5, v5, v85 dst_sel:DWORD dst_unused:UNUSED_PAD src0_sel:WORD_1 src1_sel:DWORD
	v_mul_u32_u24_sdwa v16, v6, v85 dst_sel:DWORD dst_unused:UNUSED_PAD src0_sel:WORD_0 src1_sel:DWORD
	v_mul_u32_u24_sdwa v6, v6, v85 dst_sel:DWORD dst_unused:UNUSED_PAD src0_sel:WORD_1 src1_sel:DWORD
	v_pk_fma_f16 v13, v9, v15, v13
	v_pk_fma_f16 v5, v9, v5, v14
	v_pk_fma_f16 v11, v9, v16, v11
	v_pk_fma_f16 v6, v9, v6, v12
	v_mul_u32_u24_sdwa v9, v7, v85 dst_sel:DWORD dst_unused:UNUSED_PAD src0_sel:WORD_0 src1_sel:DWORD
	v_mul_u32_u24_sdwa v7, v7, v85 dst_sel:DWORD dst_unused:UNUSED_PAD src0_sel:WORD_1 src1_sel:DWORD
	v_mul_u32_u24_sdwa v12, v8, v85 dst_sel:DWORD dst_unused:UNUSED_PAD src0_sel:WORD_0 src1_sel:DWORD
	v_mul_u32_u24_sdwa v8, v8, v85 dst_sel:DWORD dst_unused:UNUSED_PAD src0_sel:WORD_1 src1_sel:DWORD
	v_pk_fma_f16 v13, v10, v9, v13
	v_pk_fma_f16 v14, v10, v7, v5
	v_pk_fma_f16 v11, v10, v12, v11
	v_pk_fma_f16 v12, v10, v8, v6
	ds_read2_b32 v[9:10], v88 offset0:64 offset1:96
	ds_read_b128 v[5:8], v75 offset:208
	s_waitcnt lgkmcnt(0)
	v_mul_u32_u24_sdwa v15, v5, v85 dst_sel:DWORD dst_unused:UNUSED_PAD src0_sel:WORD_0 src1_sel:DWORD
	v_mul_u32_u24_sdwa v5, v5, v85 dst_sel:DWORD dst_unused:UNUSED_PAD src0_sel:WORD_1 src1_sel:DWORD
	v_mul_u32_u24_sdwa v16, v6, v85 dst_sel:DWORD dst_unused:UNUSED_PAD src0_sel:WORD_0 src1_sel:DWORD
	v_mul_u32_u24_sdwa v6, v6, v85 dst_sel:DWORD dst_unused:UNUSED_PAD src0_sel:WORD_1 src1_sel:DWORD
	v_pk_fma_f16 v13, v9, v15, v13
	v_pk_fma_f16 v5, v9, v5, v14
	v_pk_fma_f16 v11, v9, v16, v11
	v_pk_fma_f16 v6, v9, v6, v12
	v_mul_u32_u24_sdwa v9, v7, v85 dst_sel:DWORD dst_unused:UNUSED_PAD src0_sel:WORD_0 src1_sel:DWORD
	v_mul_u32_u24_sdwa v7, v7, v85 dst_sel:DWORD dst_unused:UNUSED_PAD src0_sel:WORD_1 src1_sel:DWORD
	v_mul_u32_u24_sdwa v12, v8, v85 dst_sel:DWORD dst_unused:UNUSED_PAD src0_sel:WORD_0 src1_sel:DWORD
	v_mul_u32_u24_sdwa v8, v8, v85 dst_sel:DWORD dst_unused:UNUSED_PAD src0_sel:WORD_1 src1_sel:DWORD
	v_pk_fma_f16 v13, v10, v9, v13
	v_pk_fma_f16 v14, v10, v7, v5
	v_pk_fma_f16 v11, v10, v12, v11
	v_pk_fma_f16 v12, v10, v8, v6
	ds_read2_b32 v[9:10], v88 offset0:128 offset1:160
	ds_read_b128 v[5:8], v75 offset:224
	s_waitcnt lgkmcnt(0)
	v_mul_u32_u24_sdwa v15, v5, v85 dst_sel:DWORD dst_unused:UNUSED_PAD src0_sel:WORD_0 src1_sel:DWORD
	v_mul_u32_u24_sdwa v5, v5, v85 dst_sel:DWORD dst_unused:UNUSED_PAD src0_sel:WORD_1 src1_sel:DWORD
	v_mul_u32_u24_sdwa v16, v6, v85 dst_sel:DWORD dst_unused:UNUSED_PAD src0_sel:WORD_0 src1_sel:DWORD
	v_mul_u32_u24_sdwa v6, v6, v85 dst_sel:DWORD dst_unused:UNUSED_PAD src0_sel:WORD_1 src1_sel:DWORD
	v_pk_fma_f16 v13, v9, v15, v13
	v_pk_fma_f16 v5, v9, v5, v14
	v_pk_fma_f16 v11, v9, v16, v11
	v_pk_fma_f16 v6, v9, v6, v12
	v_mul_u32_u24_sdwa v9, v7, v85 dst_sel:DWORD dst_unused:UNUSED_PAD src0_sel:WORD_0 src1_sel:DWORD
	v_mul_u32_u24_sdwa v7, v7, v85 dst_sel:DWORD dst_unused:UNUSED_PAD src0_sel:WORD_1 src1_sel:DWORD
	v_mul_u32_u24_sdwa v12, v8, v85 dst_sel:DWORD dst_unused:UNUSED_PAD src0_sel:WORD_0 src1_sel:DWORD
	v_mul_u32_u24_sdwa v8, v8, v85 dst_sel:DWORD dst_unused:UNUSED_PAD src0_sel:WORD_1 src1_sel:DWORD
	v_pk_fma_f16 v13, v10, v9, v13
	v_pk_fma_f16 v14, v10, v7, v5
	v_pk_fma_f16 v11, v10, v12, v11
	v_pk_fma_f16 v12, v10, v8, v6
	ds_read2_b32 v[9:10], v88 offset0:192 offset1:224
	ds_read_b128 v[5:8], v75 offset:240
	s_waitcnt lgkmcnt(0)
	v_mul_u32_u24_sdwa v15, v5, v85 dst_sel:DWORD dst_unused:UNUSED_PAD src0_sel:WORD_0 src1_sel:DWORD
	v_mul_u32_u24_sdwa v5, v5, v85 dst_sel:DWORD dst_unused:UNUSED_PAD src0_sel:WORD_1 src1_sel:DWORD
	v_mul_u32_u24_sdwa v16, v6, v85 dst_sel:DWORD dst_unused:UNUSED_PAD src0_sel:WORD_0 src1_sel:DWORD
	v_mul_u32_u24_sdwa v6, v6, v85 dst_sel:DWORD dst_unused:UNUSED_PAD src0_sel:WORD_1 src1_sel:DWORD
	v_pk_fma_f16 v13, v9, v15, v13
	v_pk_fma_f16 v5, v9, v5, v14
	;; [unrolled: 1-line block ×4, first 2 shown]
	v_mul_u32_u24_sdwa v9, v7, v85 dst_sel:DWORD dst_unused:UNUSED_PAD src0_sel:WORD_0 src1_sel:DWORD
	v_mul_u32_u24_sdwa v7, v7, v85 dst_sel:DWORD dst_unused:UNUSED_PAD src0_sel:WORD_1 src1_sel:DWORD
	v_mul_u32_u24_sdwa v12, v8, v85 dst_sel:DWORD dst_unused:UNUSED_PAD src0_sel:WORD_0 src1_sel:DWORD
	v_mul_u32_u24_sdwa v8, v8, v85 dst_sel:DWORD dst_unused:UNUSED_PAD src0_sel:WORD_1 src1_sel:DWORD
	v_pk_fma_f16 v13, v10, v9, v13
	v_pk_fma_f16 v14, v10, v7, v5
	;; [unrolled: 1-line block ×4, first 2 shown]
	ds_read2_b32 v[9:10], v89 offset1:32
	ds_read_b128 v[5:8], v75 offset:256
	s_waitcnt lgkmcnt(0)
	v_mul_u32_u24_sdwa v15, v5, v85 dst_sel:DWORD dst_unused:UNUSED_PAD src0_sel:WORD_0 src1_sel:DWORD
	v_mul_u32_u24_sdwa v5, v5, v85 dst_sel:DWORD dst_unused:UNUSED_PAD src0_sel:WORD_1 src1_sel:DWORD
	v_mul_u32_u24_sdwa v16, v6, v85 dst_sel:DWORD dst_unused:UNUSED_PAD src0_sel:WORD_0 src1_sel:DWORD
	v_mul_u32_u24_sdwa v6, v6, v85 dst_sel:DWORD dst_unused:UNUSED_PAD src0_sel:WORD_1 src1_sel:DWORD
	v_pk_fma_f16 v13, v9, v15, v13
	v_pk_fma_f16 v5, v9, v5, v14
	v_pk_fma_f16 v11, v9, v16, v11
	v_pk_fma_f16 v6, v9, v6, v12
	v_mul_u32_u24_sdwa v9, v7, v85 dst_sel:DWORD dst_unused:UNUSED_PAD src0_sel:WORD_0 src1_sel:DWORD
	v_mul_u32_u24_sdwa v7, v7, v85 dst_sel:DWORD dst_unused:UNUSED_PAD src0_sel:WORD_1 src1_sel:DWORD
	v_mul_u32_u24_sdwa v12, v8, v85 dst_sel:DWORD dst_unused:UNUSED_PAD src0_sel:WORD_0 src1_sel:DWORD
	v_mul_u32_u24_sdwa v8, v8, v85 dst_sel:DWORD dst_unused:UNUSED_PAD src0_sel:WORD_1 src1_sel:DWORD
	v_pk_fma_f16 v13, v10, v9, v13
	v_pk_fma_f16 v14, v10, v7, v5
	v_pk_fma_f16 v11, v10, v12, v11
	v_pk_fma_f16 v12, v10, v8, v6
	ds_read2_b32 v[9:10], v89 offset0:64 offset1:96
	ds_read_b128 v[5:8], v75 offset:272
	s_waitcnt lgkmcnt(0)
	v_mul_u32_u24_sdwa v15, v5, v85 dst_sel:DWORD dst_unused:UNUSED_PAD src0_sel:WORD_0 src1_sel:DWORD
	v_mul_u32_u24_sdwa v5, v5, v85 dst_sel:DWORD dst_unused:UNUSED_PAD src0_sel:WORD_1 src1_sel:DWORD
	v_mul_u32_u24_sdwa v16, v6, v85 dst_sel:DWORD dst_unused:UNUSED_PAD src0_sel:WORD_0 src1_sel:DWORD
	v_mul_u32_u24_sdwa v6, v6, v85 dst_sel:DWORD dst_unused:UNUSED_PAD src0_sel:WORD_1 src1_sel:DWORD
	v_pk_fma_f16 v13, v9, v15, v13
	v_pk_fma_f16 v5, v9, v5, v14
	v_pk_fma_f16 v11, v9, v16, v11
	v_pk_fma_f16 v6, v9, v6, v12
	v_mul_u32_u24_sdwa v9, v7, v85 dst_sel:DWORD dst_unused:UNUSED_PAD src0_sel:WORD_0 src1_sel:DWORD
	v_mul_u32_u24_sdwa v7, v7, v85 dst_sel:DWORD dst_unused:UNUSED_PAD src0_sel:WORD_1 src1_sel:DWORD
	v_mul_u32_u24_sdwa v12, v8, v85 dst_sel:DWORD dst_unused:UNUSED_PAD src0_sel:WORD_0 src1_sel:DWORD
	v_mul_u32_u24_sdwa v8, v8, v85 dst_sel:DWORD dst_unused:UNUSED_PAD src0_sel:WORD_1 src1_sel:DWORD
	v_pk_fma_f16 v13, v10, v9, v13
	v_pk_fma_f16 v14, v10, v7, v5
	v_pk_fma_f16 v11, v10, v12, v11
	v_pk_fma_f16 v12, v10, v8, v6
	ds_read2_b32 v[9:10], v89 offset0:128 offset1:160
	;; [unrolled: 19-line block ×3, first 2 shown]
	ds_read_b128 v[5:8], v75 offset:304
	s_waitcnt lgkmcnt(0)
	v_mul_u32_u24_sdwa v15, v5, v85 dst_sel:DWORD dst_unused:UNUSED_PAD src0_sel:WORD_0 src1_sel:DWORD
	v_mul_u32_u24_sdwa v5, v5, v85 dst_sel:DWORD dst_unused:UNUSED_PAD src0_sel:WORD_1 src1_sel:DWORD
	v_mul_u32_u24_sdwa v16, v6, v85 dst_sel:DWORD dst_unused:UNUSED_PAD src0_sel:WORD_0 src1_sel:DWORD
	v_mul_u32_u24_sdwa v6, v6, v85 dst_sel:DWORD dst_unused:UNUSED_PAD src0_sel:WORD_1 src1_sel:DWORD
	v_pk_fma_f16 v13, v9, v15, v13
	v_pk_fma_f16 v5, v9, v5, v14
	v_pk_fma_f16 v11, v9, v16, v11
	v_pk_fma_f16 v6, v9, v6, v12
	v_mul_u32_u24_sdwa v9, v7, v85 dst_sel:DWORD dst_unused:UNUSED_PAD src0_sel:WORD_0 src1_sel:DWORD
	v_mul_u32_u24_sdwa v7, v7, v85 dst_sel:DWORD dst_unused:UNUSED_PAD src0_sel:WORD_1 src1_sel:DWORD
	v_mul_u32_u24_sdwa v12, v8, v85 dst_sel:DWORD dst_unused:UNUSED_PAD src0_sel:WORD_0 src1_sel:DWORD
	v_mul_u32_u24_sdwa v8, v8, v85 dst_sel:DWORD dst_unused:UNUSED_PAD src0_sel:WORD_1 src1_sel:DWORD
	v_pk_fma_f16 v13, v10, v9, v13
	v_pk_fma_f16 v14, v10, v7, v5
	;; [unrolled: 1-line block ×4, first 2 shown]
	ds_read2_b32 v[9:10], v90 offset1:32
	ds_read_b128 v[5:8], v75 offset:320
	s_waitcnt lgkmcnt(0)
	v_mul_u32_u24_sdwa v15, v5, v85 dst_sel:DWORD dst_unused:UNUSED_PAD src0_sel:WORD_0 src1_sel:DWORD
	v_mul_u32_u24_sdwa v5, v5, v85 dst_sel:DWORD dst_unused:UNUSED_PAD src0_sel:WORD_1 src1_sel:DWORD
	v_mul_u32_u24_sdwa v16, v6, v85 dst_sel:DWORD dst_unused:UNUSED_PAD src0_sel:WORD_0 src1_sel:DWORD
	v_mul_u32_u24_sdwa v6, v6, v85 dst_sel:DWORD dst_unused:UNUSED_PAD src0_sel:WORD_1 src1_sel:DWORD
	v_pk_fma_f16 v13, v9, v15, v13
	v_pk_fma_f16 v5, v9, v5, v14
	v_pk_fma_f16 v11, v9, v16, v11
	v_pk_fma_f16 v6, v9, v6, v12
	v_mul_u32_u24_sdwa v9, v7, v85 dst_sel:DWORD dst_unused:UNUSED_PAD src0_sel:WORD_0 src1_sel:DWORD
	v_mul_u32_u24_sdwa v7, v7, v85 dst_sel:DWORD dst_unused:UNUSED_PAD src0_sel:WORD_1 src1_sel:DWORD
	v_mul_u32_u24_sdwa v12, v8, v85 dst_sel:DWORD dst_unused:UNUSED_PAD src0_sel:WORD_0 src1_sel:DWORD
	v_mul_u32_u24_sdwa v8, v8, v85 dst_sel:DWORD dst_unused:UNUSED_PAD src0_sel:WORD_1 src1_sel:DWORD
	v_pk_fma_f16 v13, v10, v9, v13
	v_pk_fma_f16 v14, v10, v7, v5
	v_pk_fma_f16 v11, v10, v12, v11
	v_pk_fma_f16 v12, v10, v8, v6
	ds_read2_b32 v[9:10], v90 offset0:64 offset1:96
	ds_read_b128 v[5:8], v75 offset:336
	s_waitcnt lgkmcnt(0)
	v_mul_u32_u24_sdwa v15, v5, v85 dst_sel:DWORD dst_unused:UNUSED_PAD src0_sel:WORD_0 src1_sel:DWORD
	v_mul_u32_u24_sdwa v5, v5, v85 dst_sel:DWORD dst_unused:UNUSED_PAD src0_sel:WORD_1 src1_sel:DWORD
	v_mul_u32_u24_sdwa v16, v6, v85 dst_sel:DWORD dst_unused:UNUSED_PAD src0_sel:WORD_0 src1_sel:DWORD
	v_mul_u32_u24_sdwa v6, v6, v85 dst_sel:DWORD dst_unused:UNUSED_PAD src0_sel:WORD_1 src1_sel:DWORD
	v_pk_fma_f16 v13, v9, v15, v13
	v_pk_fma_f16 v5, v9, v5, v14
	v_pk_fma_f16 v11, v9, v16, v11
	v_pk_fma_f16 v6, v9, v6, v12
	v_mul_u32_u24_sdwa v9, v7, v85 dst_sel:DWORD dst_unused:UNUSED_PAD src0_sel:WORD_0 src1_sel:DWORD
	v_mul_u32_u24_sdwa v7, v7, v85 dst_sel:DWORD dst_unused:UNUSED_PAD src0_sel:WORD_1 src1_sel:DWORD
	v_mul_u32_u24_sdwa v12, v8, v85 dst_sel:DWORD dst_unused:UNUSED_PAD src0_sel:WORD_0 src1_sel:DWORD
	v_mul_u32_u24_sdwa v8, v8, v85 dst_sel:DWORD dst_unused:UNUSED_PAD src0_sel:WORD_1 src1_sel:DWORD
	v_pk_fma_f16 v13, v10, v9, v13
	v_pk_fma_f16 v14, v10, v7, v5
	v_pk_fma_f16 v11, v10, v12, v11
	v_pk_fma_f16 v12, v10, v8, v6
	ds_read2_b32 v[9:10], v90 offset0:128 offset1:160
	;; [unrolled: 19-line block ×3, first 2 shown]
	ds_read_b128 v[5:8], v75 offset:368
	s_waitcnt lgkmcnt(0)
	v_mul_u32_u24_sdwa v15, v5, v85 dst_sel:DWORD dst_unused:UNUSED_PAD src0_sel:WORD_0 src1_sel:DWORD
	v_mul_u32_u24_sdwa v5, v5, v85 dst_sel:DWORD dst_unused:UNUSED_PAD src0_sel:WORD_1 src1_sel:DWORD
	v_mul_u32_u24_sdwa v16, v6, v85 dst_sel:DWORD dst_unused:UNUSED_PAD src0_sel:WORD_0 src1_sel:DWORD
	v_mul_u32_u24_sdwa v6, v6, v85 dst_sel:DWORD dst_unused:UNUSED_PAD src0_sel:WORD_1 src1_sel:DWORD
	v_pk_fma_f16 v13, v9, v15, v13
	v_pk_fma_f16 v5, v9, v5, v14
	;; [unrolled: 1-line block ×4, first 2 shown]
	v_mul_u32_u24_sdwa v9, v7, v85 dst_sel:DWORD dst_unused:UNUSED_PAD src0_sel:WORD_0 src1_sel:DWORD
	v_mul_u32_u24_sdwa v7, v7, v85 dst_sel:DWORD dst_unused:UNUSED_PAD src0_sel:WORD_1 src1_sel:DWORD
	v_mul_u32_u24_sdwa v12, v8, v85 dst_sel:DWORD dst_unused:UNUSED_PAD src0_sel:WORD_0 src1_sel:DWORD
	v_mul_u32_u24_sdwa v8, v8, v85 dst_sel:DWORD dst_unused:UNUSED_PAD src0_sel:WORD_1 src1_sel:DWORD
	v_pk_fma_f16 v13, v10, v9, v13
	v_pk_fma_f16 v14, v10, v7, v5
	;; [unrolled: 1-line block ×4, first 2 shown]
	ds_read2_b32 v[9:10], v91 offset1:32
	ds_read_b128 v[5:8], v75 offset:384
	s_waitcnt lgkmcnt(0)
	v_mul_u32_u24_sdwa v15, v5, v85 dst_sel:DWORD dst_unused:UNUSED_PAD src0_sel:WORD_0 src1_sel:DWORD
	v_mul_u32_u24_sdwa v5, v5, v85 dst_sel:DWORD dst_unused:UNUSED_PAD src0_sel:WORD_1 src1_sel:DWORD
	v_mul_u32_u24_sdwa v16, v6, v85 dst_sel:DWORD dst_unused:UNUSED_PAD src0_sel:WORD_0 src1_sel:DWORD
	v_mul_u32_u24_sdwa v6, v6, v85 dst_sel:DWORD dst_unused:UNUSED_PAD src0_sel:WORD_1 src1_sel:DWORD
	v_pk_fma_f16 v13, v9, v15, v13
	v_pk_fma_f16 v5, v9, v5, v14
	v_pk_fma_f16 v11, v9, v16, v11
	v_pk_fma_f16 v6, v9, v6, v12
	v_mul_u32_u24_sdwa v9, v7, v85 dst_sel:DWORD dst_unused:UNUSED_PAD src0_sel:WORD_0 src1_sel:DWORD
	v_mul_u32_u24_sdwa v7, v7, v85 dst_sel:DWORD dst_unused:UNUSED_PAD src0_sel:WORD_1 src1_sel:DWORD
	v_mul_u32_u24_sdwa v12, v8, v85 dst_sel:DWORD dst_unused:UNUSED_PAD src0_sel:WORD_0 src1_sel:DWORD
	v_mul_u32_u24_sdwa v8, v8, v85 dst_sel:DWORD dst_unused:UNUSED_PAD src0_sel:WORD_1 src1_sel:DWORD
	v_pk_fma_f16 v13, v10, v9, v13
	v_pk_fma_f16 v14, v10, v7, v5
	v_pk_fma_f16 v11, v10, v12, v11
	v_pk_fma_f16 v12, v10, v8, v6
	ds_read2_b32 v[9:10], v91 offset0:64 offset1:96
	ds_read_b128 v[5:8], v75 offset:400
	s_waitcnt lgkmcnt(0)
	v_mul_u32_u24_sdwa v15, v5, v85 dst_sel:DWORD dst_unused:UNUSED_PAD src0_sel:WORD_0 src1_sel:DWORD
	v_mul_u32_u24_sdwa v5, v5, v85 dst_sel:DWORD dst_unused:UNUSED_PAD src0_sel:WORD_1 src1_sel:DWORD
	v_mul_u32_u24_sdwa v16, v6, v85 dst_sel:DWORD dst_unused:UNUSED_PAD src0_sel:WORD_0 src1_sel:DWORD
	v_mul_u32_u24_sdwa v6, v6, v85 dst_sel:DWORD dst_unused:UNUSED_PAD src0_sel:WORD_1 src1_sel:DWORD
	v_pk_fma_f16 v13, v9, v15, v13
	v_pk_fma_f16 v5, v9, v5, v14
	v_pk_fma_f16 v11, v9, v16, v11
	v_pk_fma_f16 v6, v9, v6, v12
	v_mul_u32_u24_sdwa v9, v7, v85 dst_sel:DWORD dst_unused:UNUSED_PAD src0_sel:WORD_0 src1_sel:DWORD
	v_mul_u32_u24_sdwa v7, v7, v85 dst_sel:DWORD dst_unused:UNUSED_PAD src0_sel:WORD_1 src1_sel:DWORD
	v_mul_u32_u24_sdwa v12, v8, v85 dst_sel:DWORD dst_unused:UNUSED_PAD src0_sel:WORD_0 src1_sel:DWORD
	v_mul_u32_u24_sdwa v8, v8, v85 dst_sel:DWORD dst_unused:UNUSED_PAD src0_sel:WORD_1 src1_sel:DWORD
	v_pk_fma_f16 v13, v10, v9, v13
	v_pk_fma_f16 v14, v10, v7, v5
	v_pk_fma_f16 v11, v10, v12, v11
	v_pk_fma_f16 v12, v10, v8, v6
	ds_read2_b32 v[9:10], v91 offset0:128 offset1:160
	;; [unrolled: 19-line block ×3, first 2 shown]
	ds_read_b128 v[5:8], v75 offset:432
	s_waitcnt lgkmcnt(0)
	v_mul_u32_u24_sdwa v15, v5, v85 dst_sel:DWORD dst_unused:UNUSED_PAD src0_sel:WORD_0 src1_sel:DWORD
	v_mul_u32_u24_sdwa v5, v5, v85 dst_sel:DWORD dst_unused:UNUSED_PAD src0_sel:WORD_1 src1_sel:DWORD
	v_mul_u32_u24_sdwa v16, v6, v85 dst_sel:DWORD dst_unused:UNUSED_PAD src0_sel:WORD_0 src1_sel:DWORD
	v_mul_u32_u24_sdwa v6, v6, v85 dst_sel:DWORD dst_unused:UNUSED_PAD src0_sel:WORD_1 src1_sel:DWORD
	v_pk_fma_f16 v13, v9, v15, v13
	v_pk_fma_f16 v5, v9, v5, v14
	;; [unrolled: 1-line block ×4, first 2 shown]
	v_mul_u32_u24_sdwa v9, v7, v85 dst_sel:DWORD dst_unused:UNUSED_PAD src0_sel:WORD_0 src1_sel:DWORD
	v_mul_u32_u24_sdwa v7, v7, v85 dst_sel:DWORD dst_unused:UNUSED_PAD src0_sel:WORD_1 src1_sel:DWORD
	v_mul_u32_u24_sdwa v12, v8, v85 dst_sel:DWORD dst_unused:UNUSED_PAD src0_sel:WORD_0 src1_sel:DWORD
	v_mul_u32_u24_sdwa v8, v8, v85 dst_sel:DWORD dst_unused:UNUSED_PAD src0_sel:WORD_1 src1_sel:DWORD
	v_pk_fma_f16 v13, v10, v9, v13
	v_pk_fma_f16 v14, v10, v7, v5
	;; [unrolled: 1-line block ×4, first 2 shown]
	ds_read2_b32 v[9:10], v92 offset1:32
	ds_read_b128 v[5:8], v75 offset:448
	s_waitcnt lgkmcnt(0)
	v_mul_u32_u24_sdwa v15, v5, v85 dst_sel:DWORD dst_unused:UNUSED_PAD src0_sel:WORD_0 src1_sel:DWORD
	v_mul_u32_u24_sdwa v5, v5, v85 dst_sel:DWORD dst_unused:UNUSED_PAD src0_sel:WORD_1 src1_sel:DWORD
	v_mul_u32_u24_sdwa v16, v6, v85 dst_sel:DWORD dst_unused:UNUSED_PAD src0_sel:WORD_0 src1_sel:DWORD
	v_mul_u32_u24_sdwa v6, v6, v85 dst_sel:DWORD dst_unused:UNUSED_PAD src0_sel:WORD_1 src1_sel:DWORD
	v_pk_fma_f16 v13, v9, v15, v13
	v_pk_fma_f16 v5, v9, v5, v14
	v_pk_fma_f16 v11, v9, v16, v11
	v_pk_fma_f16 v6, v9, v6, v12
	v_mul_u32_u24_sdwa v9, v7, v85 dst_sel:DWORD dst_unused:UNUSED_PAD src0_sel:WORD_0 src1_sel:DWORD
	v_mul_u32_u24_sdwa v7, v7, v85 dst_sel:DWORD dst_unused:UNUSED_PAD src0_sel:WORD_1 src1_sel:DWORD
	v_mul_u32_u24_sdwa v12, v8, v85 dst_sel:DWORD dst_unused:UNUSED_PAD src0_sel:WORD_0 src1_sel:DWORD
	v_mul_u32_u24_sdwa v8, v8, v85 dst_sel:DWORD dst_unused:UNUSED_PAD src0_sel:WORD_1 src1_sel:DWORD
	v_pk_fma_f16 v13, v10, v9, v13
	v_pk_fma_f16 v14, v10, v7, v5
	v_pk_fma_f16 v11, v10, v12, v11
	v_pk_fma_f16 v12, v10, v8, v6
	ds_read2_b32 v[9:10], v92 offset0:64 offset1:96
	ds_read_b128 v[5:8], v75 offset:464
	s_waitcnt lgkmcnt(0)
	v_mul_u32_u24_sdwa v15, v5, v85 dst_sel:DWORD dst_unused:UNUSED_PAD src0_sel:WORD_0 src1_sel:DWORD
	v_mul_u32_u24_sdwa v5, v5, v85 dst_sel:DWORD dst_unused:UNUSED_PAD src0_sel:WORD_1 src1_sel:DWORD
	v_mul_u32_u24_sdwa v16, v6, v85 dst_sel:DWORD dst_unused:UNUSED_PAD src0_sel:WORD_0 src1_sel:DWORD
	v_mul_u32_u24_sdwa v6, v6, v85 dst_sel:DWORD dst_unused:UNUSED_PAD src0_sel:WORD_1 src1_sel:DWORD
	v_pk_fma_f16 v13, v9, v15, v13
	v_pk_fma_f16 v5, v9, v5, v14
	v_pk_fma_f16 v11, v9, v16, v11
	v_pk_fma_f16 v6, v9, v6, v12
	v_mul_u32_u24_sdwa v9, v7, v85 dst_sel:DWORD dst_unused:UNUSED_PAD src0_sel:WORD_0 src1_sel:DWORD
	v_mul_u32_u24_sdwa v7, v7, v85 dst_sel:DWORD dst_unused:UNUSED_PAD src0_sel:WORD_1 src1_sel:DWORD
	v_mul_u32_u24_sdwa v12, v8, v85 dst_sel:DWORD dst_unused:UNUSED_PAD src0_sel:WORD_0 src1_sel:DWORD
	v_mul_u32_u24_sdwa v8, v8, v85 dst_sel:DWORD dst_unused:UNUSED_PAD src0_sel:WORD_1 src1_sel:DWORD
	v_pk_fma_f16 v13, v10, v9, v13
	v_pk_fma_f16 v14, v10, v7, v5
	v_pk_fma_f16 v11, v10, v12, v11
	v_pk_fma_f16 v12, v10, v8, v6
	ds_read2_b32 v[9:10], v92 offset0:128 offset1:160
	;; [unrolled: 19-line block ×3, first 2 shown]
	ds_read_b128 v[5:8], v75 offset:496
	s_waitcnt lgkmcnt(0)
	v_mul_u32_u24_sdwa v15, v5, v85 dst_sel:DWORD dst_unused:UNUSED_PAD src0_sel:WORD_0 src1_sel:DWORD
	v_mul_u32_u24_sdwa v5, v5, v85 dst_sel:DWORD dst_unused:UNUSED_PAD src0_sel:WORD_1 src1_sel:DWORD
	v_mul_u32_u24_sdwa v16, v6, v85 dst_sel:DWORD dst_unused:UNUSED_PAD src0_sel:WORD_0 src1_sel:DWORD
	v_mul_u32_u24_sdwa v6, v6, v85 dst_sel:DWORD dst_unused:UNUSED_PAD src0_sel:WORD_1 src1_sel:DWORD
	v_pk_fma_f16 v13, v9, v15, v13
	v_pk_fma_f16 v5, v9, v5, v14
	;; [unrolled: 1-line block ×4, first 2 shown]
	v_mul_u32_u24_sdwa v9, v7, v85 dst_sel:DWORD dst_unused:UNUSED_PAD src0_sel:WORD_0 src1_sel:DWORD
	v_mul_u32_u24_sdwa v7, v7, v85 dst_sel:DWORD dst_unused:UNUSED_PAD src0_sel:WORD_1 src1_sel:DWORD
	v_mul_u32_u24_sdwa v12, v8, v85 dst_sel:DWORD dst_unused:UNUSED_PAD src0_sel:WORD_0 src1_sel:DWORD
	v_mul_u32_u24_sdwa v8, v8, v85 dst_sel:DWORD dst_unused:UNUSED_PAD src0_sel:WORD_1 src1_sel:DWORD
	v_pk_fma_f16 v13, v10, v9, v13
	v_pk_fma_f16 v14, v10, v7, v5
	v_pk_fma_f16 v11, v10, v12, v11
	v_pk_fma_f16 v12, v10, v8, v6
	ds_read2_b32 v[9:10], v93 offset1:32
	ds_read_b128 v[5:8], v75 offset:512
	s_waitcnt lgkmcnt(0)
	v_mul_u32_u24_sdwa v15, v5, v85 dst_sel:DWORD dst_unused:UNUSED_PAD src0_sel:WORD_0 src1_sel:DWORD
	v_mul_u32_u24_sdwa v5, v5, v85 dst_sel:DWORD dst_unused:UNUSED_PAD src0_sel:WORD_1 src1_sel:DWORD
	v_mul_u32_u24_sdwa v16, v6, v85 dst_sel:DWORD dst_unused:UNUSED_PAD src0_sel:WORD_0 src1_sel:DWORD
	v_mul_u32_u24_sdwa v6, v6, v85 dst_sel:DWORD dst_unused:UNUSED_PAD src0_sel:WORD_1 src1_sel:DWORD
	v_pk_fma_f16 v13, v9, v15, v13
	v_pk_fma_f16 v5, v9, v5, v14
	v_pk_fma_f16 v11, v9, v16, v11
	v_pk_fma_f16 v6, v9, v6, v12
	v_mul_u32_u24_sdwa v9, v7, v85 dst_sel:DWORD dst_unused:UNUSED_PAD src0_sel:WORD_0 src1_sel:DWORD
	v_mul_u32_u24_sdwa v7, v7, v85 dst_sel:DWORD dst_unused:UNUSED_PAD src0_sel:WORD_1 src1_sel:DWORD
	v_mul_u32_u24_sdwa v12, v8, v85 dst_sel:DWORD dst_unused:UNUSED_PAD src0_sel:WORD_0 src1_sel:DWORD
	v_mul_u32_u24_sdwa v8, v8, v85 dst_sel:DWORD dst_unused:UNUSED_PAD src0_sel:WORD_1 src1_sel:DWORD
	v_pk_fma_f16 v13, v10, v9, v13
	v_pk_fma_f16 v14, v10, v7, v5
	v_pk_fma_f16 v11, v10, v12, v11
	v_pk_fma_f16 v12, v10, v8, v6
	ds_read2_b32 v[9:10], v93 offset0:64 offset1:96
	ds_read_b128 v[5:8], v75 offset:528
	s_waitcnt lgkmcnt(0)
	v_mul_u32_u24_sdwa v15, v5, v85 dst_sel:DWORD dst_unused:UNUSED_PAD src0_sel:WORD_0 src1_sel:DWORD
	v_mul_u32_u24_sdwa v5, v5, v85 dst_sel:DWORD dst_unused:UNUSED_PAD src0_sel:WORD_1 src1_sel:DWORD
	v_mul_u32_u24_sdwa v16, v6, v85 dst_sel:DWORD dst_unused:UNUSED_PAD src0_sel:WORD_0 src1_sel:DWORD
	v_mul_u32_u24_sdwa v6, v6, v85 dst_sel:DWORD dst_unused:UNUSED_PAD src0_sel:WORD_1 src1_sel:DWORD
	v_pk_fma_f16 v13, v9, v15, v13
	v_pk_fma_f16 v5, v9, v5, v14
	v_pk_fma_f16 v11, v9, v16, v11
	v_pk_fma_f16 v6, v9, v6, v12
	v_mul_u32_u24_sdwa v9, v7, v85 dst_sel:DWORD dst_unused:UNUSED_PAD src0_sel:WORD_0 src1_sel:DWORD
	v_mul_u32_u24_sdwa v7, v7, v85 dst_sel:DWORD dst_unused:UNUSED_PAD src0_sel:WORD_1 src1_sel:DWORD
	v_mul_u32_u24_sdwa v12, v8, v85 dst_sel:DWORD dst_unused:UNUSED_PAD src0_sel:WORD_0 src1_sel:DWORD
	v_mul_u32_u24_sdwa v8, v8, v85 dst_sel:DWORD dst_unused:UNUSED_PAD src0_sel:WORD_1 src1_sel:DWORD
	v_pk_fma_f16 v13, v10, v9, v13
	v_pk_fma_f16 v14, v10, v7, v5
	v_pk_fma_f16 v11, v10, v12, v11
	v_pk_fma_f16 v12, v10, v8, v6
	ds_read2_b32 v[9:10], v93 offset0:128 offset1:160
	;; [unrolled: 19-line block ×3, first 2 shown]
	ds_read_b128 v[5:8], v75 offset:560
	s_waitcnt lgkmcnt(0)
	v_mul_u32_u24_sdwa v15, v5, v85 dst_sel:DWORD dst_unused:UNUSED_PAD src0_sel:WORD_0 src1_sel:DWORD
	v_mul_u32_u24_sdwa v5, v5, v85 dst_sel:DWORD dst_unused:UNUSED_PAD src0_sel:WORD_1 src1_sel:DWORD
	v_mul_u32_u24_sdwa v16, v6, v85 dst_sel:DWORD dst_unused:UNUSED_PAD src0_sel:WORD_0 src1_sel:DWORD
	v_mul_u32_u24_sdwa v6, v6, v85 dst_sel:DWORD dst_unused:UNUSED_PAD src0_sel:WORD_1 src1_sel:DWORD
	v_pk_fma_f16 v13, v9, v15, v13
	v_pk_fma_f16 v5, v9, v5, v14
	;; [unrolled: 1-line block ×4, first 2 shown]
	v_mul_u32_u24_sdwa v9, v7, v85 dst_sel:DWORD dst_unused:UNUSED_PAD src0_sel:WORD_0 src1_sel:DWORD
	v_mul_u32_u24_sdwa v7, v7, v85 dst_sel:DWORD dst_unused:UNUSED_PAD src0_sel:WORD_1 src1_sel:DWORD
	v_mul_u32_u24_sdwa v12, v8, v85 dst_sel:DWORD dst_unused:UNUSED_PAD src0_sel:WORD_0 src1_sel:DWORD
	v_mul_u32_u24_sdwa v8, v8, v85 dst_sel:DWORD dst_unused:UNUSED_PAD src0_sel:WORD_1 src1_sel:DWORD
	v_pk_fma_f16 v13, v10, v9, v13
	v_pk_fma_f16 v14, v10, v7, v5
	;; [unrolled: 1-line block ×4, first 2 shown]
	ds_read2_b32 v[9:10], v94 offset1:32
	ds_read_b128 v[5:8], v75 offset:576
	s_waitcnt lgkmcnt(0)
	v_mul_u32_u24_sdwa v15, v5, v85 dst_sel:DWORD dst_unused:UNUSED_PAD src0_sel:WORD_0 src1_sel:DWORD
	v_mul_u32_u24_sdwa v5, v5, v85 dst_sel:DWORD dst_unused:UNUSED_PAD src0_sel:WORD_1 src1_sel:DWORD
	v_mul_u32_u24_sdwa v16, v6, v85 dst_sel:DWORD dst_unused:UNUSED_PAD src0_sel:WORD_0 src1_sel:DWORD
	v_mul_u32_u24_sdwa v6, v6, v85 dst_sel:DWORD dst_unused:UNUSED_PAD src0_sel:WORD_1 src1_sel:DWORD
	v_pk_fma_f16 v13, v9, v15, v13
	v_pk_fma_f16 v5, v9, v5, v14
	v_pk_fma_f16 v11, v9, v16, v11
	v_pk_fma_f16 v6, v9, v6, v12
	v_mul_u32_u24_sdwa v9, v7, v85 dst_sel:DWORD dst_unused:UNUSED_PAD src0_sel:WORD_0 src1_sel:DWORD
	v_mul_u32_u24_sdwa v7, v7, v85 dst_sel:DWORD dst_unused:UNUSED_PAD src0_sel:WORD_1 src1_sel:DWORD
	v_mul_u32_u24_sdwa v12, v8, v85 dst_sel:DWORD dst_unused:UNUSED_PAD src0_sel:WORD_0 src1_sel:DWORD
	v_mul_u32_u24_sdwa v8, v8, v85 dst_sel:DWORD dst_unused:UNUSED_PAD src0_sel:WORD_1 src1_sel:DWORD
	v_pk_fma_f16 v13, v10, v9, v13
	v_pk_fma_f16 v14, v10, v7, v5
	v_pk_fma_f16 v11, v10, v12, v11
	v_pk_fma_f16 v12, v10, v8, v6
	ds_read2_b32 v[9:10], v94 offset0:64 offset1:96
	ds_read_b128 v[5:8], v75 offset:592
	s_waitcnt lgkmcnt(0)
	v_mul_u32_u24_sdwa v15, v5, v85 dst_sel:DWORD dst_unused:UNUSED_PAD src0_sel:WORD_0 src1_sel:DWORD
	v_mul_u32_u24_sdwa v5, v5, v85 dst_sel:DWORD dst_unused:UNUSED_PAD src0_sel:WORD_1 src1_sel:DWORD
	v_mul_u32_u24_sdwa v16, v6, v85 dst_sel:DWORD dst_unused:UNUSED_PAD src0_sel:WORD_0 src1_sel:DWORD
	v_mul_u32_u24_sdwa v6, v6, v85 dst_sel:DWORD dst_unused:UNUSED_PAD src0_sel:WORD_1 src1_sel:DWORD
	v_pk_fma_f16 v13, v9, v15, v13
	v_pk_fma_f16 v5, v9, v5, v14
	v_pk_fma_f16 v11, v9, v16, v11
	v_pk_fma_f16 v6, v9, v6, v12
	v_mul_u32_u24_sdwa v9, v7, v85 dst_sel:DWORD dst_unused:UNUSED_PAD src0_sel:WORD_0 src1_sel:DWORD
	v_mul_u32_u24_sdwa v7, v7, v85 dst_sel:DWORD dst_unused:UNUSED_PAD src0_sel:WORD_1 src1_sel:DWORD
	v_mul_u32_u24_sdwa v12, v8, v85 dst_sel:DWORD dst_unused:UNUSED_PAD src0_sel:WORD_0 src1_sel:DWORD
	v_mul_u32_u24_sdwa v8, v8, v85 dst_sel:DWORD dst_unused:UNUSED_PAD src0_sel:WORD_1 src1_sel:DWORD
	v_pk_fma_f16 v13, v10, v9, v13
	v_pk_fma_f16 v14, v10, v7, v5
	v_pk_fma_f16 v11, v10, v12, v11
	v_pk_fma_f16 v12, v10, v8, v6
	ds_read2_b32 v[9:10], v94 offset0:128 offset1:160
	;; [unrolled: 19-line block ×3, first 2 shown]
	ds_read_b128 v[5:8], v75 offset:624
	s_waitcnt lgkmcnt(0)
	v_mul_u32_u24_sdwa v15, v5, v85 dst_sel:DWORD dst_unused:UNUSED_PAD src0_sel:WORD_0 src1_sel:DWORD
	v_mul_u32_u24_sdwa v5, v5, v85 dst_sel:DWORD dst_unused:UNUSED_PAD src0_sel:WORD_1 src1_sel:DWORD
	v_mul_u32_u24_sdwa v16, v6, v85 dst_sel:DWORD dst_unused:UNUSED_PAD src0_sel:WORD_0 src1_sel:DWORD
	v_mul_u32_u24_sdwa v6, v6, v85 dst_sel:DWORD dst_unused:UNUSED_PAD src0_sel:WORD_1 src1_sel:DWORD
	v_pk_fma_f16 v13, v9, v15, v13
	v_pk_fma_f16 v5, v9, v5, v14
	v_pk_fma_f16 v11, v9, v16, v11
	v_pk_fma_f16 v6, v9, v6, v12
	v_mul_u32_u24_sdwa v9, v7, v85 dst_sel:DWORD dst_unused:UNUSED_PAD src0_sel:WORD_0 src1_sel:DWORD
	v_mul_u32_u24_sdwa v7, v7, v85 dst_sel:DWORD dst_unused:UNUSED_PAD src0_sel:WORD_1 src1_sel:DWORD
	v_mul_u32_u24_sdwa v12, v8, v85 dst_sel:DWORD dst_unused:UNUSED_PAD src0_sel:WORD_0 src1_sel:DWORD
	v_mul_u32_u24_sdwa v8, v8, v85 dst_sel:DWORD dst_unused:UNUSED_PAD src0_sel:WORD_1 src1_sel:DWORD
	v_pk_fma_f16 v13, v10, v9, v13
	v_pk_fma_f16 v14, v10, v7, v5
	;; [unrolled: 1-line block ×4, first 2 shown]
	ds_read2_b32 v[9:10], v95 offset1:32
	ds_read_b128 v[5:8], v75 offset:640
	s_waitcnt lgkmcnt(0)
	v_mul_u32_u24_sdwa v15, v5, v85 dst_sel:DWORD dst_unused:UNUSED_PAD src0_sel:WORD_0 src1_sel:DWORD
	v_mul_u32_u24_sdwa v5, v5, v85 dst_sel:DWORD dst_unused:UNUSED_PAD src0_sel:WORD_1 src1_sel:DWORD
	v_mul_u32_u24_sdwa v16, v6, v85 dst_sel:DWORD dst_unused:UNUSED_PAD src0_sel:WORD_0 src1_sel:DWORD
	v_mul_u32_u24_sdwa v6, v6, v85 dst_sel:DWORD dst_unused:UNUSED_PAD src0_sel:WORD_1 src1_sel:DWORD
	v_pk_fma_f16 v13, v9, v15, v13
	v_pk_fma_f16 v5, v9, v5, v14
	v_pk_fma_f16 v11, v9, v16, v11
	v_pk_fma_f16 v6, v9, v6, v12
	v_mul_u32_u24_sdwa v9, v7, v85 dst_sel:DWORD dst_unused:UNUSED_PAD src0_sel:WORD_0 src1_sel:DWORD
	v_mul_u32_u24_sdwa v7, v7, v85 dst_sel:DWORD dst_unused:UNUSED_PAD src0_sel:WORD_1 src1_sel:DWORD
	v_mul_u32_u24_sdwa v12, v8, v85 dst_sel:DWORD dst_unused:UNUSED_PAD src0_sel:WORD_0 src1_sel:DWORD
	v_mul_u32_u24_sdwa v8, v8, v85 dst_sel:DWORD dst_unused:UNUSED_PAD src0_sel:WORD_1 src1_sel:DWORD
	v_pk_fma_f16 v13, v10, v9, v13
	v_pk_fma_f16 v14, v10, v7, v5
	v_pk_fma_f16 v11, v10, v12, v11
	v_pk_fma_f16 v12, v10, v8, v6
	ds_read2_b32 v[9:10], v95 offset0:64 offset1:96
	ds_read_b128 v[5:8], v75 offset:656
	s_waitcnt lgkmcnt(0)
	v_mul_u32_u24_sdwa v15, v5, v85 dst_sel:DWORD dst_unused:UNUSED_PAD src0_sel:WORD_0 src1_sel:DWORD
	v_mul_u32_u24_sdwa v5, v5, v85 dst_sel:DWORD dst_unused:UNUSED_PAD src0_sel:WORD_1 src1_sel:DWORD
	v_mul_u32_u24_sdwa v16, v6, v85 dst_sel:DWORD dst_unused:UNUSED_PAD src0_sel:WORD_0 src1_sel:DWORD
	v_mul_u32_u24_sdwa v6, v6, v85 dst_sel:DWORD dst_unused:UNUSED_PAD src0_sel:WORD_1 src1_sel:DWORD
	v_pk_fma_f16 v13, v9, v15, v13
	v_pk_fma_f16 v5, v9, v5, v14
	v_pk_fma_f16 v11, v9, v16, v11
	v_pk_fma_f16 v6, v9, v6, v12
	v_mul_u32_u24_sdwa v9, v7, v85 dst_sel:DWORD dst_unused:UNUSED_PAD src0_sel:WORD_0 src1_sel:DWORD
	v_mul_u32_u24_sdwa v7, v7, v85 dst_sel:DWORD dst_unused:UNUSED_PAD src0_sel:WORD_1 src1_sel:DWORD
	v_mul_u32_u24_sdwa v12, v8, v85 dst_sel:DWORD dst_unused:UNUSED_PAD src0_sel:WORD_0 src1_sel:DWORD
	v_mul_u32_u24_sdwa v8, v8, v85 dst_sel:DWORD dst_unused:UNUSED_PAD src0_sel:WORD_1 src1_sel:DWORD
	v_pk_fma_f16 v13, v10, v9, v13
	v_pk_fma_f16 v14, v10, v7, v5
	v_pk_fma_f16 v11, v10, v12, v11
	v_pk_fma_f16 v12, v10, v8, v6
	ds_read2_b32 v[9:10], v95 offset0:128 offset1:160
	ds_read_b128 v[5:8], v75 offset:672
	s_waitcnt lgkmcnt(0)
	v_mul_u32_u24_sdwa v15, v5, v85 dst_sel:DWORD dst_unused:UNUSED_PAD src0_sel:WORD_0 src1_sel:DWORD
	v_mul_u32_u24_sdwa v5, v5, v85 dst_sel:DWORD dst_unused:UNUSED_PAD src0_sel:WORD_1 src1_sel:DWORD
	v_mul_u32_u24_sdwa v16, v6, v85 dst_sel:DWORD dst_unused:UNUSED_PAD src0_sel:WORD_0 src1_sel:DWORD
	v_mul_u32_u24_sdwa v6, v6, v85 dst_sel:DWORD dst_unused:UNUSED_PAD src0_sel:WORD_1 src1_sel:DWORD
	v_pk_fma_f16 v13, v9, v15, v13
	v_pk_fma_f16 v5, v9, v5, v14
	v_pk_fma_f16 v11, v9, v16, v11
	v_pk_fma_f16 v6, v9, v6, v12
	v_mul_u32_u24_sdwa v9, v7, v85 dst_sel:DWORD dst_unused:UNUSED_PAD src0_sel:WORD_0 src1_sel:DWORD
	v_mul_u32_u24_sdwa v7, v7, v85 dst_sel:DWORD dst_unused:UNUSED_PAD src0_sel:WORD_1 src1_sel:DWORD
	v_mul_u32_u24_sdwa v12, v8, v85 dst_sel:DWORD dst_unused:UNUSED_PAD src0_sel:WORD_0 src1_sel:DWORD
	v_mul_u32_u24_sdwa v8, v8, v85 dst_sel:DWORD dst_unused:UNUSED_PAD src0_sel:WORD_1 src1_sel:DWORD
	v_pk_fma_f16 v13, v10, v9, v13
	v_pk_fma_f16 v14, v10, v7, v5
	v_pk_fma_f16 v11, v10, v12, v11
	v_pk_fma_f16 v12, v10, v8, v6
	ds_read2_b32 v[9:10], v95 offset0:192 offset1:224
	ds_read_b128 v[5:8], v75 offset:688
	s_waitcnt lgkmcnt(0)
	v_mul_u32_u24_sdwa v15, v5, v85 dst_sel:DWORD dst_unused:UNUSED_PAD src0_sel:WORD_0 src1_sel:DWORD
	v_mul_u32_u24_sdwa v5, v5, v85 dst_sel:DWORD dst_unused:UNUSED_PAD src0_sel:WORD_1 src1_sel:DWORD
	v_mul_u32_u24_sdwa v16, v6, v85 dst_sel:DWORD dst_unused:UNUSED_PAD src0_sel:WORD_0 src1_sel:DWORD
	v_mul_u32_u24_sdwa v6, v6, v85 dst_sel:DWORD dst_unused:UNUSED_PAD src0_sel:WORD_1 src1_sel:DWORD
	v_pk_fma_f16 v13, v9, v15, v13
	v_pk_fma_f16 v5, v9, v5, v14
	;; [unrolled: 1-line block ×4, first 2 shown]
	v_mul_u32_u24_sdwa v9, v7, v85 dst_sel:DWORD dst_unused:UNUSED_PAD src0_sel:WORD_0 src1_sel:DWORD
	v_mul_u32_u24_sdwa v7, v7, v85 dst_sel:DWORD dst_unused:UNUSED_PAD src0_sel:WORD_1 src1_sel:DWORD
	v_mul_u32_u24_sdwa v12, v8, v85 dst_sel:DWORD dst_unused:UNUSED_PAD src0_sel:WORD_0 src1_sel:DWORD
	v_mul_u32_u24_sdwa v8, v8, v85 dst_sel:DWORD dst_unused:UNUSED_PAD src0_sel:WORD_1 src1_sel:DWORD
	v_pk_fma_f16 v13, v10, v9, v13
	v_pk_fma_f16 v14, v10, v7, v5
	;; [unrolled: 1-line block ×4, first 2 shown]
	ds_read2_b32 v[9:10], v96 offset1:32
	ds_read_b128 v[5:8], v75 offset:704
	s_waitcnt lgkmcnt(0)
	v_mul_u32_u24_sdwa v15, v5, v85 dst_sel:DWORD dst_unused:UNUSED_PAD src0_sel:WORD_0 src1_sel:DWORD
	v_mul_u32_u24_sdwa v5, v5, v85 dst_sel:DWORD dst_unused:UNUSED_PAD src0_sel:WORD_1 src1_sel:DWORD
	v_mul_u32_u24_sdwa v16, v6, v85 dst_sel:DWORD dst_unused:UNUSED_PAD src0_sel:WORD_0 src1_sel:DWORD
	v_mul_u32_u24_sdwa v6, v6, v85 dst_sel:DWORD dst_unused:UNUSED_PAD src0_sel:WORD_1 src1_sel:DWORD
	v_pk_fma_f16 v13, v9, v15, v13
	v_pk_fma_f16 v5, v9, v5, v14
	v_pk_fma_f16 v11, v9, v16, v11
	v_pk_fma_f16 v6, v9, v6, v12
	v_mul_u32_u24_sdwa v9, v7, v85 dst_sel:DWORD dst_unused:UNUSED_PAD src0_sel:WORD_0 src1_sel:DWORD
	v_mul_u32_u24_sdwa v7, v7, v85 dst_sel:DWORD dst_unused:UNUSED_PAD src0_sel:WORD_1 src1_sel:DWORD
	v_mul_u32_u24_sdwa v12, v8, v85 dst_sel:DWORD dst_unused:UNUSED_PAD src0_sel:WORD_0 src1_sel:DWORD
	v_mul_u32_u24_sdwa v8, v8, v85 dst_sel:DWORD dst_unused:UNUSED_PAD src0_sel:WORD_1 src1_sel:DWORD
	v_pk_fma_f16 v13, v10, v9, v13
	v_pk_fma_f16 v14, v10, v7, v5
	v_pk_fma_f16 v11, v10, v12, v11
	v_pk_fma_f16 v12, v10, v8, v6
	ds_read2_b32 v[9:10], v96 offset0:64 offset1:96
	ds_read_b128 v[5:8], v75 offset:720
	s_waitcnt lgkmcnt(0)
	v_mul_u32_u24_sdwa v15, v5, v85 dst_sel:DWORD dst_unused:UNUSED_PAD src0_sel:WORD_0 src1_sel:DWORD
	v_mul_u32_u24_sdwa v5, v5, v85 dst_sel:DWORD dst_unused:UNUSED_PAD src0_sel:WORD_1 src1_sel:DWORD
	v_mul_u32_u24_sdwa v16, v6, v85 dst_sel:DWORD dst_unused:UNUSED_PAD src0_sel:WORD_0 src1_sel:DWORD
	v_mul_u32_u24_sdwa v6, v6, v85 dst_sel:DWORD dst_unused:UNUSED_PAD src0_sel:WORD_1 src1_sel:DWORD
	v_pk_fma_f16 v13, v9, v15, v13
	v_pk_fma_f16 v5, v9, v5, v14
	v_pk_fma_f16 v11, v9, v16, v11
	v_pk_fma_f16 v6, v9, v6, v12
	v_mul_u32_u24_sdwa v9, v7, v85 dst_sel:DWORD dst_unused:UNUSED_PAD src0_sel:WORD_0 src1_sel:DWORD
	v_mul_u32_u24_sdwa v7, v7, v85 dst_sel:DWORD dst_unused:UNUSED_PAD src0_sel:WORD_1 src1_sel:DWORD
	v_mul_u32_u24_sdwa v12, v8, v85 dst_sel:DWORD dst_unused:UNUSED_PAD src0_sel:WORD_0 src1_sel:DWORD
	v_mul_u32_u24_sdwa v8, v8, v85 dst_sel:DWORD dst_unused:UNUSED_PAD src0_sel:WORD_1 src1_sel:DWORD
	v_pk_fma_f16 v13, v10, v9, v13
	v_pk_fma_f16 v14, v10, v7, v5
	v_pk_fma_f16 v11, v10, v12, v11
	v_pk_fma_f16 v12, v10, v8, v6
	ds_read2_b32 v[9:10], v96 offset0:128 offset1:160
	;; [unrolled: 19-line block ×3, first 2 shown]
	ds_read_b128 v[5:8], v75 offset:752
	s_waitcnt lgkmcnt(0)
	v_mul_u32_u24_sdwa v15, v5, v85 dst_sel:DWORD dst_unused:UNUSED_PAD src0_sel:WORD_0 src1_sel:DWORD
	v_mul_u32_u24_sdwa v5, v5, v85 dst_sel:DWORD dst_unused:UNUSED_PAD src0_sel:WORD_1 src1_sel:DWORD
	v_mul_u32_u24_sdwa v16, v6, v85 dst_sel:DWORD dst_unused:UNUSED_PAD src0_sel:WORD_0 src1_sel:DWORD
	v_mul_u32_u24_sdwa v6, v6, v85 dst_sel:DWORD dst_unused:UNUSED_PAD src0_sel:WORD_1 src1_sel:DWORD
	v_pk_fma_f16 v13, v9, v15, v13
	v_pk_fma_f16 v5, v9, v5, v14
	;; [unrolled: 1-line block ×4, first 2 shown]
	v_mul_u32_u24_sdwa v9, v7, v85 dst_sel:DWORD dst_unused:UNUSED_PAD src0_sel:WORD_0 src1_sel:DWORD
	v_mul_u32_u24_sdwa v7, v7, v85 dst_sel:DWORD dst_unused:UNUSED_PAD src0_sel:WORD_1 src1_sel:DWORD
	v_mul_u32_u24_sdwa v12, v8, v85 dst_sel:DWORD dst_unused:UNUSED_PAD src0_sel:WORD_0 src1_sel:DWORD
	v_mul_u32_u24_sdwa v8, v8, v85 dst_sel:DWORD dst_unused:UNUSED_PAD src0_sel:WORD_1 src1_sel:DWORD
	v_pk_fma_f16 v13, v10, v9, v13
	v_pk_fma_f16 v14, v10, v7, v5
	;; [unrolled: 1-line block ×4, first 2 shown]
	ds_read2_b32 v[9:10], v97 offset1:32
	ds_read_b128 v[5:8], v75 offset:768
	s_waitcnt lgkmcnt(0)
	v_mul_u32_u24_sdwa v15, v5, v85 dst_sel:DWORD dst_unused:UNUSED_PAD src0_sel:WORD_0 src1_sel:DWORD
	v_mul_u32_u24_sdwa v5, v5, v85 dst_sel:DWORD dst_unused:UNUSED_PAD src0_sel:WORD_1 src1_sel:DWORD
	v_mul_u32_u24_sdwa v16, v6, v85 dst_sel:DWORD dst_unused:UNUSED_PAD src0_sel:WORD_0 src1_sel:DWORD
	v_mul_u32_u24_sdwa v6, v6, v85 dst_sel:DWORD dst_unused:UNUSED_PAD src0_sel:WORD_1 src1_sel:DWORD
	v_pk_fma_f16 v13, v9, v15, v13
	v_pk_fma_f16 v5, v9, v5, v14
	v_pk_fma_f16 v11, v9, v16, v11
	v_pk_fma_f16 v6, v9, v6, v12
	v_mul_u32_u24_sdwa v9, v7, v85 dst_sel:DWORD dst_unused:UNUSED_PAD src0_sel:WORD_0 src1_sel:DWORD
	v_mul_u32_u24_sdwa v7, v7, v85 dst_sel:DWORD dst_unused:UNUSED_PAD src0_sel:WORD_1 src1_sel:DWORD
	v_mul_u32_u24_sdwa v12, v8, v85 dst_sel:DWORD dst_unused:UNUSED_PAD src0_sel:WORD_0 src1_sel:DWORD
	v_mul_u32_u24_sdwa v8, v8, v85 dst_sel:DWORD dst_unused:UNUSED_PAD src0_sel:WORD_1 src1_sel:DWORD
	v_pk_fma_f16 v13, v10, v9, v13
	v_pk_fma_f16 v14, v10, v7, v5
	v_pk_fma_f16 v11, v10, v12, v11
	v_pk_fma_f16 v12, v10, v8, v6
	ds_read2_b32 v[9:10], v97 offset0:64 offset1:96
	ds_read_b128 v[5:8], v75 offset:784
	s_waitcnt lgkmcnt(0)
	v_mul_u32_u24_sdwa v15, v5, v85 dst_sel:DWORD dst_unused:UNUSED_PAD src0_sel:WORD_0 src1_sel:DWORD
	v_mul_u32_u24_sdwa v5, v5, v85 dst_sel:DWORD dst_unused:UNUSED_PAD src0_sel:WORD_1 src1_sel:DWORD
	v_mul_u32_u24_sdwa v16, v6, v85 dst_sel:DWORD dst_unused:UNUSED_PAD src0_sel:WORD_0 src1_sel:DWORD
	v_mul_u32_u24_sdwa v6, v6, v85 dst_sel:DWORD dst_unused:UNUSED_PAD src0_sel:WORD_1 src1_sel:DWORD
	v_pk_fma_f16 v13, v9, v15, v13
	v_pk_fma_f16 v5, v9, v5, v14
	v_pk_fma_f16 v11, v9, v16, v11
	v_pk_fma_f16 v6, v9, v6, v12
	v_mul_u32_u24_sdwa v9, v7, v85 dst_sel:DWORD dst_unused:UNUSED_PAD src0_sel:WORD_0 src1_sel:DWORD
	v_mul_u32_u24_sdwa v7, v7, v85 dst_sel:DWORD dst_unused:UNUSED_PAD src0_sel:WORD_1 src1_sel:DWORD
	v_mul_u32_u24_sdwa v12, v8, v85 dst_sel:DWORD dst_unused:UNUSED_PAD src0_sel:WORD_0 src1_sel:DWORD
	v_mul_u32_u24_sdwa v8, v8, v85 dst_sel:DWORD dst_unused:UNUSED_PAD src0_sel:WORD_1 src1_sel:DWORD
	v_pk_fma_f16 v13, v10, v9, v13
	v_pk_fma_f16 v14, v10, v7, v5
	v_pk_fma_f16 v11, v10, v12, v11
	v_pk_fma_f16 v12, v10, v8, v6
	ds_read2_b32 v[9:10], v97 offset0:128 offset1:160
	;; [unrolled: 19-line block ×3, first 2 shown]
	ds_read_b128 v[5:8], v75 offset:816
	s_waitcnt lgkmcnt(0)
	v_mul_u32_u24_sdwa v15, v5, v85 dst_sel:DWORD dst_unused:UNUSED_PAD src0_sel:WORD_0 src1_sel:DWORD
	v_mul_u32_u24_sdwa v5, v5, v85 dst_sel:DWORD dst_unused:UNUSED_PAD src0_sel:WORD_1 src1_sel:DWORD
	v_mul_u32_u24_sdwa v16, v6, v85 dst_sel:DWORD dst_unused:UNUSED_PAD src0_sel:WORD_0 src1_sel:DWORD
	v_mul_u32_u24_sdwa v6, v6, v85 dst_sel:DWORD dst_unused:UNUSED_PAD src0_sel:WORD_1 src1_sel:DWORD
	v_pk_fma_f16 v13, v9, v15, v13
	v_pk_fma_f16 v5, v9, v5, v14
	;; [unrolled: 1-line block ×4, first 2 shown]
	v_mul_u32_u24_sdwa v9, v7, v85 dst_sel:DWORD dst_unused:UNUSED_PAD src0_sel:WORD_0 src1_sel:DWORD
	v_mul_u32_u24_sdwa v7, v7, v85 dst_sel:DWORD dst_unused:UNUSED_PAD src0_sel:WORD_1 src1_sel:DWORD
	v_mul_u32_u24_sdwa v12, v8, v85 dst_sel:DWORD dst_unused:UNUSED_PAD src0_sel:WORD_0 src1_sel:DWORD
	v_mul_u32_u24_sdwa v8, v8, v85 dst_sel:DWORD dst_unused:UNUSED_PAD src0_sel:WORD_1 src1_sel:DWORD
	v_pk_fma_f16 v13, v10, v9, v13
	v_pk_fma_f16 v14, v10, v7, v5
	;; [unrolled: 1-line block ×4, first 2 shown]
	ds_read2_b32 v[9:10], v98 offset1:32
	ds_read_b128 v[5:8], v75 offset:832
	s_waitcnt lgkmcnt(0)
	v_mul_u32_u24_sdwa v15, v5, v85 dst_sel:DWORD dst_unused:UNUSED_PAD src0_sel:WORD_0 src1_sel:DWORD
	v_mul_u32_u24_sdwa v5, v5, v85 dst_sel:DWORD dst_unused:UNUSED_PAD src0_sel:WORD_1 src1_sel:DWORD
	v_mul_u32_u24_sdwa v16, v6, v85 dst_sel:DWORD dst_unused:UNUSED_PAD src0_sel:WORD_0 src1_sel:DWORD
	v_mul_u32_u24_sdwa v6, v6, v85 dst_sel:DWORD dst_unused:UNUSED_PAD src0_sel:WORD_1 src1_sel:DWORD
	v_pk_fma_f16 v13, v9, v15, v13
	v_pk_fma_f16 v5, v9, v5, v14
	v_pk_fma_f16 v11, v9, v16, v11
	v_pk_fma_f16 v6, v9, v6, v12
	v_mul_u32_u24_sdwa v9, v7, v85 dst_sel:DWORD dst_unused:UNUSED_PAD src0_sel:WORD_0 src1_sel:DWORD
	v_mul_u32_u24_sdwa v7, v7, v85 dst_sel:DWORD dst_unused:UNUSED_PAD src0_sel:WORD_1 src1_sel:DWORD
	v_mul_u32_u24_sdwa v12, v8, v85 dst_sel:DWORD dst_unused:UNUSED_PAD src0_sel:WORD_0 src1_sel:DWORD
	v_mul_u32_u24_sdwa v8, v8, v85 dst_sel:DWORD dst_unused:UNUSED_PAD src0_sel:WORD_1 src1_sel:DWORD
	v_pk_fma_f16 v13, v10, v9, v13
	v_pk_fma_f16 v14, v10, v7, v5
	v_pk_fma_f16 v11, v10, v12, v11
	v_pk_fma_f16 v12, v10, v8, v6
	ds_read2_b32 v[9:10], v98 offset0:64 offset1:96
	ds_read_b128 v[5:8], v75 offset:848
	s_waitcnt lgkmcnt(0)
	v_mul_u32_u24_sdwa v15, v5, v85 dst_sel:DWORD dst_unused:UNUSED_PAD src0_sel:WORD_0 src1_sel:DWORD
	v_mul_u32_u24_sdwa v5, v5, v85 dst_sel:DWORD dst_unused:UNUSED_PAD src0_sel:WORD_1 src1_sel:DWORD
	v_mul_u32_u24_sdwa v16, v6, v85 dst_sel:DWORD dst_unused:UNUSED_PAD src0_sel:WORD_0 src1_sel:DWORD
	v_mul_u32_u24_sdwa v6, v6, v85 dst_sel:DWORD dst_unused:UNUSED_PAD src0_sel:WORD_1 src1_sel:DWORD
	v_pk_fma_f16 v13, v9, v15, v13
	v_pk_fma_f16 v5, v9, v5, v14
	v_pk_fma_f16 v11, v9, v16, v11
	v_pk_fma_f16 v6, v9, v6, v12
	v_mul_u32_u24_sdwa v9, v7, v85 dst_sel:DWORD dst_unused:UNUSED_PAD src0_sel:WORD_0 src1_sel:DWORD
	v_mul_u32_u24_sdwa v7, v7, v85 dst_sel:DWORD dst_unused:UNUSED_PAD src0_sel:WORD_1 src1_sel:DWORD
	v_mul_u32_u24_sdwa v12, v8, v85 dst_sel:DWORD dst_unused:UNUSED_PAD src0_sel:WORD_0 src1_sel:DWORD
	v_mul_u32_u24_sdwa v8, v8, v85 dst_sel:DWORD dst_unused:UNUSED_PAD src0_sel:WORD_1 src1_sel:DWORD
	v_pk_fma_f16 v13, v10, v9, v13
	v_pk_fma_f16 v14, v10, v7, v5
	v_pk_fma_f16 v11, v10, v12, v11
	v_pk_fma_f16 v12, v10, v8, v6
	ds_read2_b32 v[9:10], v98 offset0:128 offset1:160
	;; [unrolled: 19-line block ×3, first 2 shown]
	ds_read_b128 v[5:8], v75 offset:880
	s_waitcnt lgkmcnt(0)
	v_mul_u32_u24_sdwa v15, v5, v85 dst_sel:DWORD dst_unused:UNUSED_PAD src0_sel:WORD_0 src1_sel:DWORD
	v_mul_u32_u24_sdwa v5, v5, v85 dst_sel:DWORD dst_unused:UNUSED_PAD src0_sel:WORD_1 src1_sel:DWORD
	v_mul_u32_u24_sdwa v16, v6, v85 dst_sel:DWORD dst_unused:UNUSED_PAD src0_sel:WORD_0 src1_sel:DWORD
	v_mul_u32_u24_sdwa v6, v6, v85 dst_sel:DWORD dst_unused:UNUSED_PAD src0_sel:WORD_1 src1_sel:DWORD
	v_pk_fma_f16 v13, v9, v15, v13
	v_pk_fma_f16 v5, v9, v5, v14
	v_pk_fma_f16 v11, v9, v16, v11
	v_pk_fma_f16 v6, v9, v6, v12
	v_mul_u32_u24_sdwa v9, v7, v85 dst_sel:DWORD dst_unused:UNUSED_PAD src0_sel:WORD_0 src1_sel:DWORD
	v_mul_u32_u24_sdwa v7, v7, v85 dst_sel:DWORD dst_unused:UNUSED_PAD src0_sel:WORD_1 src1_sel:DWORD
	v_mul_u32_u24_sdwa v12, v8, v85 dst_sel:DWORD dst_unused:UNUSED_PAD src0_sel:WORD_0 src1_sel:DWORD
	v_mul_u32_u24_sdwa v8, v8, v85 dst_sel:DWORD dst_unused:UNUSED_PAD src0_sel:WORD_1 src1_sel:DWORD
	v_pk_fma_f16 v13, v10, v9, v13
	v_pk_fma_f16 v14, v10, v7, v5
	;; [unrolled: 1-line block ×4, first 2 shown]
	ds_read2_b32 v[9:10], v99 offset1:32
	ds_read_b128 v[5:8], v75 offset:896
	s_waitcnt lgkmcnt(0)
	v_mul_u32_u24_sdwa v15, v5, v85 dst_sel:DWORD dst_unused:UNUSED_PAD src0_sel:WORD_0 src1_sel:DWORD
	v_mul_u32_u24_sdwa v5, v5, v85 dst_sel:DWORD dst_unused:UNUSED_PAD src0_sel:WORD_1 src1_sel:DWORD
	v_mul_u32_u24_sdwa v16, v6, v85 dst_sel:DWORD dst_unused:UNUSED_PAD src0_sel:WORD_0 src1_sel:DWORD
	v_mul_u32_u24_sdwa v6, v6, v85 dst_sel:DWORD dst_unused:UNUSED_PAD src0_sel:WORD_1 src1_sel:DWORD
	v_pk_fma_f16 v13, v9, v15, v13
	v_pk_fma_f16 v5, v9, v5, v14
	v_pk_fma_f16 v11, v9, v16, v11
	v_pk_fma_f16 v6, v9, v6, v12
	v_mul_u32_u24_sdwa v9, v7, v85 dst_sel:DWORD dst_unused:UNUSED_PAD src0_sel:WORD_0 src1_sel:DWORD
	v_mul_u32_u24_sdwa v7, v7, v85 dst_sel:DWORD dst_unused:UNUSED_PAD src0_sel:WORD_1 src1_sel:DWORD
	v_mul_u32_u24_sdwa v12, v8, v85 dst_sel:DWORD dst_unused:UNUSED_PAD src0_sel:WORD_0 src1_sel:DWORD
	v_mul_u32_u24_sdwa v8, v8, v85 dst_sel:DWORD dst_unused:UNUSED_PAD src0_sel:WORD_1 src1_sel:DWORD
	v_pk_fma_f16 v13, v10, v9, v13
	v_pk_fma_f16 v14, v10, v7, v5
	v_pk_fma_f16 v11, v10, v12, v11
	v_pk_fma_f16 v12, v10, v8, v6
	ds_read2_b32 v[9:10], v99 offset0:64 offset1:96
	ds_read_b128 v[5:8], v75 offset:912
	s_waitcnt lgkmcnt(0)
	v_mul_u32_u24_sdwa v15, v5, v85 dst_sel:DWORD dst_unused:UNUSED_PAD src0_sel:WORD_0 src1_sel:DWORD
	v_mul_u32_u24_sdwa v5, v5, v85 dst_sel:DWORD dst_unused:UNUSED_PAD src0_sel:WORD_1 src1_sel:DWORD
	v_mul_u32_u24_sdwa v16, v6, v85 dst_sel:DWORD dst_unused:UNUSED_PAD src0_sel:WORD_0 src1_sel:DWORD
	v_mul_u32_u24_sdwa v6, v6, v85 dst_sel:DWORD dst_unused:UNUSED_PAD src0_sel:WORD_1 src1_sel:DWORD
	v_pk_fma_f16 v13, v9, v15, v13
	v_pk_fma_f16 v5, v9, v5, v14
	v_pk_fma_f16 v11, v9, v16, v11
	v_pk_fma_f16 v6, v9, v6, v12
	v_mul_u32_u24_sdwa v9, v7, v85 dst_sel:DWORD dst_unused:UNUSED_PAD src0_sel:WORD_0 src1_sel:DWORD
	v_mul_u32_u24_sdwa v7, v7, v85 dst_sel:DWORD dst_unused:UNUSED_PAD src0_sel:WORD_1 src1_sel:DWORD
	v_mul_u32_u24_sdwa v12, v8, v85 dst_sel:DWORD dst_unused:UNUSED_PAD src0_sel:WORD_0 src1_sel:DWORD
	v_mul_u32_u24_sdwa v8, v8, v85 dst_sel:DWORD dst_unused:UNUSED_PAD src0_sel:WORD_1 src1_sel:DWORD
	v_pk_fma_f16 v13, v10, v9, v13
	v_pk_fma_f16 v14, v10, v7, v5
	v_pk_fma_f16 v11, v10, v12, v11
	v_pk_fma_f16 v12, v10, v8, v6
	ds_read2_b32 v[9:10], v99 offset0:128 offset1:160
	;; [unrolled: 19-line block ×3, first 2 shown]
	ds_read_b128 v[5:8], v75 offset:944
	s_waitcnt lgkmcnt(0)
	v_mul_u32_u24_sdwa v15, v5, v85 dst_sel:DWORD dst_unused:UNUSED_PAD src0_sel:WORD_0 src1_sel:DWORD
	v_mul_u32_u24_sdwa v5, v5, v85 dst_sel:DWORD dst_unused:UNUSED_PAD src0_sel:WORD_1 src1_sel:DWORD
	v_mul_u32_u24_sdwa v16, v6, v85 dst_sel:DWORD dst_unused:UNUSED_PAD src0_sel:WORD_0 src1_sel:DWORD
	v_mul_u32_u24_sdwa v6, v6, v85 dst_sel:DWORD dst_unused:UNUSED_PAD src0_sel:WORD_1 src1_sel:DWORD
	v_pk_fma_f16 v13, v9, v15, v13
	v_pk_fma_f16 v5, v9, v5, v14
	;; [unrolled: 1-line block ×4, first 2 shown]
	v_mul_u32_u24_sdwa v9, v7, v85 dst_sel:DWORD dst_unused:UNUSED_PAD src0_sel:WORD_0 src1_sel:DWORD
	v_mul_u32_u24_sdwa v7, v7, v85 dst_sel:DWORD dst_unused:UNUSED_PAD src0_sel:WORD_1 src1_sel:DWORD
	v_mul_u32_u24_sdwa v12, v8, v85 dst_sel:DWORD dst_unused:UNUSED_PAD src0_sel:WORD_0 src1_sel:DWORD
	v_mul_u32_u24_sdwa v8, v8, v85 dst_sel:DWORD dst_unused:UNUSED_PAD src0_sel:WORD_1 src1_sel:DWORD
	v_pk_fma_f16 v13, v10, v9, v13
	v_pk_fma_f16 v14, v10, v7, v5
	;; [unrolled: 1-line block ×4, first 2 shown]
	ds_read2_b32 v[9:10], v100 offset1:32
	ds_read_b128 v[5:8], v75 offset:960
	s_waitcnt lgkmcnt(0)
	v_mul_u32_u24_sdwa v15, v5, v85 dst_sel:DWORD dst_unused:UNUSED_PAD src0_sel:WORD_0 src1_sel:DWORD
	v_mul_u32_u24_sdwa v5, v5, v85 dst_sel:DWORD dst_unused:UNUSED_PAD src0_sel:WORD_1 src1_sel:DWORD
	v_mul_u32_u24_sdwa v16, v6, v85 dst_sel:DWORD dst_unused:UNUSED_PAD src0_sel:WORD_0 src1_sel:DWORD
	v_mul_u32_u24_sdwa v6, v6, v85 dst_sel:DWORD dst_unused:UNUSED_PAD src0_sel:WORD_1 src1_sel:DWORD
	v_pk_fma_f16 v13, v9, v15, v13
	v_pk_fma_f16 v5, v9, v5, v14
	v_pk_fma_f16 v11, v9, v16, v11
	v_pk_fma_f16 v6, v9, v6, v12
	v_mul_u32_u24_sdwa v9, v7, v85 dst_sel:DWORD dst_unused:UNUSED_PAD src0_sel:WORD_0 src1_sel:DWORD
	v_mul_u32_u24_sdwa v7, v7, v85 dst_sel:DWORD dst_unused:UNUSED_PAD src0_sel:WORD_1 src1_sel:DWORD
	v_mul_u32_u24_sdwa v12, v8, v85 dst_sel:DWORD dst_unused:UNUSED_PAD src0_sel:WORD_0 src1_sel:DWORD
	v_mul_u32_u24_sdwa v8, v8, v85 dst_sel:DWORD dst_unused:UNUSED_PAD src0_sel:WORD_1 src1_sel:DWORD
	v_pk_fma_f16 v13, v10, v9, v13
	v_pk_fma_f16 v14, v10, v7, v5
	v_pk_fma_f16 v11, v10, v12, v11
	v_pk_fma_f16 v12, v10, v8, v6
	ds_read2_b32 v[9:10], v100 offset0:64 offset1:96
	ds_read_b128 v[5:8], v75 offset:976
	s_waitcnt lgkmcnt(0)
	v_mul_u32_u24_sdwa v15, v5, v85 dst_sel:DWORD dst_unused:UNUSED_PAD src0_sel:WORD_0 src1_sel:DWORD
	v_mul_u32_u24_sdwa v5, v5, v85 dst_sel:DWORD dst_unused:UNUSED_PAD src0_sel:WORD_1 src1_sel:DWORD
	v_mul_u32_u24_sdwa v16, v6, v85 dst_sel:DWORD dst_unused:UNUSED_PAD src0_sel:WORD_0 src1_sel:DWORD
	v_mul_u32_u24_sdwa v6, v6, v85 dst_sel:DWORD dst_unused:UNUSED_PAD src0_sel:WORD_1 src1_sel:DWORD
	v_pk_fma_f16 v13, v9, v15, v13
	v_pk_fma_f16 v5, v9, v5, v14
	v_pk_fma_f16 v11, v9, v16, v11
	v_pk_fma_f16 v6, v9, v6, v12
	v_mul_u32_u24_sdwa v9, v7, v85 dst_sel:DWORD dst_unused:UNUSED_PAD src0_sel:WORD_0 src1_sel:DWORD
	v_mul_u32_u24_sdwa v12, v7, v85 dst_sel:DWORD dst_unused:UNUSED_PAD src0_sel:WORD_1 src1_sel:DWORD
	v_mul_u32_u24_sdwa v14, v8, v85 dst_sel:DWORD dst_unused:UNUSED_PAD src0_sel:WORD_0 src1_sel:DWORD
	v_mul_u32_u24_sdwa v15, v8, v85 dst_sel:DWORD dst_unused:UNUSED_PAD src0_sel:WORD_1 src1_sel:DWORD
	v_pk_fma_f16 v7, v10, v9, v13
	v_pk_fma_f16 v8, v10, v12, v5
	v_pk_fma_f16 v9, v10, v14, v11
	v_pk_fma_f16 v10, v10, v15, v6
	ds_read2_b32 v[5:6], v100 offset0:128 offset1:160
	;; [unrolled: 19-line block ×3, first 2 shown]
	ds_read_b128 v[7:10], v75 offset:1008
	s_waitcnt lgkmcnt(0)
	s_barrier
	buffer_gl0_inv
	s_load_dword s14, s[0:1], 0x4
	v_mul_u32_u24_sdwa v15, v7, v85 dst_sel:DWORD dst_unused:UNUSED_PAD src0_sel:WORD_0 src1_sel:DWORD
	v_mul_u32_u24_sdwa v7, v7, v85 dst_sel:DWORD dst_unused:UNUSED_PAD src0_sel:WORD_1 src1_sel:DWORD
	v_mul_u32_u24_sdwa v16, v8, v85 dst_sel:DWORD dst_unused:UNUSED_PAD src0_sel:WORD_0 src1_sel:DWORD
	v_mul_u32_u24_sdwa v8, v8, v85 dst_sel:DWORD dst_unused:UNUSED_PAD src0_sel:WORD_1 src1_sel:DWORD
	s_waitcnt lgkmcnt(0)
	s_lshl_b32 s14, s14, 7
	v_pk_fma_f16 v14, v5, v15, v14
	v_pk_fma_f16 v11, v5, v7, v11
	;; [unrolled: 1-line block ×4, first 2 shown]
	v_mul_u32_u24_sdwa v8, v9, v85 dst_sel:DWORD dst_unused:UNUSED_PAD src0_sel:WORD_0 src1_sel:DWORD
	v_mul_u32_u24_sdwa v9, v9, v85 dst_sel:DWORD dst_unused:UNUSED_PAD src0_sel:WORD_1 src1_sel:DWORD
	v_mul_u32_u24_sdwa v13, v10, v85 dst_sel:DWORD dst_unused:UNUSED_PAD src0_sel:WORD_0 src1_sel:DWORD
	v_mul_u32_u24_sdwa v7, v10, v85 dst_sel:DWORD dst_unused:UNUSED_PAD src0_sel:WORD_1 src1_sel:DWORD
	s_add_i32 s6, s14, s6
	v_pk_fma_f16 v103, v6, v8, v14
	v_pk_fma_f16 v102, v6, v9, v11
	;; [unrolled: 1-line block ×4, first 2 shown]
	s_cmp_ge_i32 s6, s34
	s_cbranch_scc0 .LBB24_9
; %bb.10:
	v_mov_b32_e32 v5, v56
.LBB24_11:
	v_lshlrev_b32_e32 v15, 1, v0
	v_cmp_lt_i32_e32 vcc_lo, v64, v57
	s_cmp_lg_u64 s[16:17], 0
	s_cselect_b32 s0, -1, 0
	s_cmp_eq_u32 s28, 0
	v_cndmask_b32_e32 v6, v5, v64, vcc_lo
	v_cmp_lt_i32_e32 vcc_lo, v62, v57
	s_cselect_b32 s1, -1, 0
	s_and_b32 s0, s1, s0
	v_lshlrev_b32_e32 v6, 2, v6
	v_cndmask_b32_e32 v10, v5, v62, vcc_lo
	v_cmp_lt_i32_e32 vcc_lo, v60, v57
	ds_bpermute_b32 v7, v6, v104
	ds_bpermute_b32 v8, v6, v105
	;; [unrolled: 1-line block ×4, first 2 shown]
	v_lshlrev_b32_e32 v10, 2, v10
	v_cndmask_b32_e32 v14, v5, v60, vcc_lo
	v_cmp_lt_i32_e32 vcc_lo, v59, v57
	v_lshlrev_b32_e32 v14, 2, v14
	s_waitcnt lgkmcnt(3)
	v_add_f32_e32 v7, v104, v7
	s_waitcnt lgkmcnt(2)
	v_add_f32_e32 v8, v105, v8
	s_waitcnt lgkmcnt(1)
	v_add_f32_e32 v9, v106, v9
	s_waitcnt lgkmcnt(0)
	v_add_f32_e32 v6, v72, v6
	ds_bpermute_b32 v11, v10, v7
	ds_bpermute_b32 v12, v10, v8
	;; [unrolled: 1-line block ×4, first 2 shown]
	s_waitcnt lgkmcnt(3)
	v_add_f32_e32 v7, v7, v11
	s_waitcnt lgkmcnt(2)
	v_add_f32_e32 v8, v8, v12
	;; [unrolled: 2-line block ×4, first 2 shown]
	ds_bpermute_b32 v10, v14, v7
	ds_bpermute_b32 v11, v14, v8
	;; [unrolled: 1-line block ×4, first 2 shown]
	v_cndmask_b32_e32 v14, v5, v59, vcc_lo
	v_cmp_lt_i32_e32 vcc_lo, v58, v57
	v_lshlrev_b32_e32 v14, 2, v14
	v_cndmask_b32_e32 v5, v5, v58, vcc_lo
	s_and_b32 vcc_lo, exec_lo, s0
	v_lshlrev_b32_e32 v5, 2, v5
	s_waitcnt lgkmcnt(3)
	v_add_f32_e32 v7, v7, v10
	s_waitcnt lgkmcnt(2)
	v_add_f32_e32 v8, v8, v11
	;; [unrolled: 2-line block ×4, first 2 shown]
	ds_bpermute_b32 v10, v14, v7
	ds_bpermute_b32 v11, v14, v8
	;; [unrolled: 1-line block ×4, first 2 shown]
	s_waitcnt lgkmcnt(3)
	v_add_f32_e32 v7, v7, v10
	s_waitcnt lgkmcnt(2)
	v_add_f32_e32 v8, v8, v11
	;; [unrolled: 2-line block ×4, first 2 shown]
	ds_bpermute_b32 v6, v5, v7
	ds_bpermute_b32 v11, v5, v8
	;; [unrolled: 1-line block ×4, first 2 shown]
	s_waitcnt lgkmcnt(3)
	v_add_f32_e32 v5, v7, v6
	s_waitcnt lgkmcnt(2)
	v_add_f32_e32 v6, v8, v11
	;; [unrolled: 2-line block ×4, first 2 shown]
	s_cbranch_vccz .LBB24_13
; %bb.12:
	s_ashr_i32 s31, s30, 31
	v_mov_b32_e32 v9, 0
	s_lshl_b64 s[0:1], s[30:31], 2
	v_max_f32_e32 v13, v1, v1
	s_add_u32 s0, s16, s0
	s_addc_u32 s1, s17, s1
	v_max_f32_e32 v14, v2, v2
	global_load_dwordx4 v[9:12], v9, s[0:1]
	v_max_f32_e32 v16, v3, v3
	v_max_f32_e32 v21, v4, v4
	s_waitcnt vmcnt(0)
	v_max_f32_e32 v18, v9, v9
	v_max_f32_e32 v19, v10, v10
	;; [unrolled: 1-line block ×8, first 2 shown]
	v_mov_b32_e32 v13, 0x10001
	v_sub_f32_e32 v14, v1, v18
	v_sub_f32_e32 v16, v2, v19
	;; [unrolled: 1-line block ×4, first 2 shown]
	v_mov_b32_e32 v1, v18
	v_sub_f32_e32 v9, v9, v18
	v_mov_b32_e32 v2, v19
	v_mov_b32_e32 v3, v20
	;; [unrolled: 1-line block ×3, first 2 shown]
	v_mul_f32_e32 v18, 0x3fb8aa3b, v14
	v_sub_f32_e32 v10, v10, v19
	v_mul_f32_e32 v19, 0x3fb8aa3b, v9
	v_sub_f32_e32 v11, v11, v20
	v_mul_f32_e32 v20, 0x3fb8aa3b, v16
	v_fma_f32 v28, 0x3fb8aa3b, v14, -v18
	v_rndne_f32_e32 v29, v18
	v_fma_f32 v30, 0x3fb8aa3b, v9, -v19
	v_rndne_f32_e32 v31, v19
	v_sub_f32_e32 v12, v12, v21
	v_fmac_f32_e32 v28, 0x32a5705f, v14
	v_sub_f32_e32 v18, v18, v29
	v_mul_f32_e32 v21, 0x3fb8aa3b, v10
	v_fma_f32 v32, 0x3fb8aa3b, v16, -v20
	v_rndne_f32_e32 v33, v20
	v_fmac_f32_e32 v30, 0x32a5705f, v9
	v_sub_f32_e32 v19, v19, v31
	v_add_f32_e32 v18, v18, v28
	v_mul_f32_e32 v24, 0x3fb8aa3b, v22
	v_fma_f32 v34, 0x3fb8aa3b, v10, -v21
	v_rndne_f32_e32 v35, v21
	v_fmac_f32_e32 v32, 0x32a5705f, v16
	v_sub_f32_e32 v20, v20, v33
	v_add_f32_e32 v19, v19, v30
	v_exp_f32_e32 v18, v18
	v_mul_f32_e32 v25, 0x3fb8aa3b, v11
	v_fma_f32 v36, 0x3fb8aa3b, v22, -v24
	v_rndne_f32_e32 v37, v24
	v_cvt_i32_f32_e32 v29, v29
	v_fmac_f32_e32 v34, 0x32a5705f, v10
	v_sub_f32_e32 v21, v21, v35
	v_add_f32_e32 v20, v20, v32
	v_exp_f32_e32 v19, v19
	v_mul_f32_e32 v26, 0x3fb8aa3b, v23
	v_fma_f32 v38, 0x3fb8aa3b, v11, -v25
	v_rndne_f32_e32 v39, v25
	v_cvt_i32_f32_e32 v31, v31
	v_fmac_f32_e32 v36, 0x32a5705f, v22
	v_sub_f32_e32 v24, v24, v37
	v_add_f32_e32 v21, v21, v34
	v_exp_f32_e32 v20, v20
	v_ldexp_f32 v18, v18, v29
	v_cmp_ngt_f32_e32 vcc_lo, 0xc2ce8ed0, v14
	v_mul_f32_e32 v27, 0x3fb8aa3b, v12
	v_fma_f32 v40, 0x3fb8aa3b, v23, -v26
	v_rndne_f32_e32 v41, v26
	v_cvt_i32_f32_e32 v33, v33
	v_fmac_f32_e32 v38, 0x32a5705f, v11
	v_sub_f32_e32 v25, v25, v39
	v_add_f32_e32 v24, v24, v36
	v_exp_f32_e32 v21, v21
	v_ldexp_f32 v19, v19, v31
	v_cndmask_b32_e32 v18, 0, v18, vcc_lo
	v_cmp_ngt_f32_e32 vcc_lo, 0xc2ce8ed0, v9
	v_fma_f32 v42, 0x3fb8aa3b, v12, -v27
	v_rndne_f32_e32 v43, v27
	v_cvt_i32_f32_e32 v35, v35
	v_fmac_f32_e32 v40, 0x32a5705f, v23
	v_sub_f32_e32 v26, v26, v41
	v_add_f32_e32 v25, v25, v38
	v_exp_f32_e32 v24, v24
	v_ldexp_f32 v20, v20, v33
	v_cndmask_b32_e32 v19, 0, v19, vcc_lo
	v_cmp_ngt_f32_e32 vcc_lo, 0xc2ce8ed0, v16
	v_cvt_i32_f32_e32 v37, v37
	v_fmac_f32_e32 v42, 0x32a5705f, v12
	v_sub_f32_e32 v27, v27, v43
	v_add_f32_e32 v26, v26, v40
	v_exp_f32_e32 v25, v25
	v_ldexp_f32 v21, v21, v35
	v_cndmask_b32_e32 v20, 0, v20, vcc_lo
	v_cmp_ngt_f32_e32 vcc_lo, 0xc2ce8ed0, v10
	v_cvt_i32_f32_e32 v39, v39
	v_add_f32_e32 v27, v27, v42
	v_exp_f32_e32 v26, v26
	v_ldexp_f32 v24, v24, v37
	v_cndmask_b32_e32 v21, 0, v21, vcc_lo
	v_cmp_ngt_f32_e32 vcc_lo, 0xc2ce8ed0, v22
	v_exp_f32_e32 v27, v27
	v_cvt_i32_f32_e32 v28, v41
	v_ldexp_f32 v25, v25, v39
	v_cvt_i32_f32_e32 v30, v43
	v_cndmask_b32_e32 v24, 0, v24, vcc_lo
	v_cmp_ngt_f32_e32 vcc_lo, 0xc2ce8ed0, v11
	v_ldexp_f32 v26, v26, v28
	v_cndmask_b32_e32 v25, 0, v25, vcc_lo
	v_cmp_ngt_f32_e32 vcc_lo, 0xc2ce8ed0, v23
	v_ldexp_f32 v27, v27, v30
	v_cndmask_b32_e32 v26, 0, v26, vcc_lo
	v_cmp_ngt_f32_e32 vcc_lo, 0xc2ce8ed0, v12
	v_cndmask_b32_e32 v27, 0, v27, vcc_lo
	v_cmp_nlt_f32_e32 vcc_lo, 0x42b17218, v14
	v_cndmask_b32_e32 v14, 0x7f800000, v18, vcc_lo
	v_cmp_nlt_f32_e32 vcc_lo, 0x42b17218, v9
	;; [unrolled: 2-line block ×3, first 2 shown]
	v_fmac_f32_e32 v9, v5, v14
	v_cndmask_b32_e32 v16, 0x7f800000, v20, vcc_lo
	v_cmp_nlt_f32_e32 vcc_lo, 0x42b17218, v10
	v_cvt_f16_f32_e32 v5, v14
	v_cndmask_b32_e32 v10, 0x7f800000, v21, vcc_lo
	v_cmp_nlt_f32_e32 vcc_lo, 0x42b17218, v22
	v_fmac_f32_e32 v10, v6, v16
	v_cndmask_b32_e32 v18, 0x7f800000, v24, vcc_lo
	v_cmp_nlt_f32_e32 vcc_lo, 0x42b17218, v11
	v_cvt_f16_f32_e32 v6, v16
	v_cndmask_b32_e32 v11, 0x7f800000, v25, vcc_lo
	v_cmp_nlt_f32_e32 vcc_lo, 0x42b17218, v23
	v_mul_u32_u24_sdwa v16, v6, v13 dst_sel:DWORD dst_unused:UNUSED_PAD src0_sel:WORD_0 src1_sel:DWORD
	v_mov_b32_e32 v6, v10
	v_fmac_f32_e32 v11, v7, v18
	v_cndmask_b32_e32 v19, 0x7f800000, v26, vcc_lo
	v_cmp_nlt_f32_e32 vcc_lo, 0x42b17218, v12
	v_cvt_f16_f32_e32 v7, v18
	v_pk_mul_f16 v102, v102, v16
	v_cvt_f16_f32_e32 v14, v19
	v_cndmask_b32_e32 v12, 0x7f800000, v27, vcc_lo
	v_mul_u32_u24_sdwa v18, v7, v13 dst_sel:DWORD dst_unused:UNUSED_PAD src0_sel:WORD_0 src1_sel:DWORD
	v_mov_b32_e32 v7, v11
	v_fmac_f32_e32 v12, v8, v19
	v_mul_u32_u24_sdwa v8, v5, v13 dst_sel:DWORD dst_unused:UNUSED_PAD src0_sel:WORD_0 src1_sel:DWORD
	v_mul_u32_u24_sdwa v13, v14, v13 dst_sel:DWORD dst_unused:UNUSED_PAD src0_sel:WORD_0 src1_sel:DWORD
	v_mov_b32_e32 v5, v9
	v_pk_mul_f16 v101, v101, v18
	v_pk_mul_f16 v103, v103, v8
	;; [unrolled: 1-line block ×3, first 2 shown]
	v_mov_b32_e32 v8, v12
	s_mov_b32 s0, exec_lo
	v_cmpx_gt_i32_e64 s2, v17
	s_cbranch_execnz .LBB24_14
	s_branch .LBB24_30
.LBB24_13:
	v_mov_b32_e32 v12, v8
	v_mov_b32_e32 v11, v7
	;; [unrolled: 1-line block ×4, first 2 shown]
	s_mov_b32 s0, exec_lo
	v_cmpx_gt_i32_e64 s2, v17
	s_cbranch_execz .LBB24_30
.LBB24_14:
	s_load_dword s1, s[4:5], 0xd4
	v_mov_b32_e32 v16, 1.0
	s_waitcnt lgkmcnt(0)
	s_cmp_lg_u32 s1, 1
	s_cselect_b32 s5, -1, 0
	s_cmp_eq_u32 s1, 1
	s_cselect_b32 s4, -1, 0
	s_and_b32 vcc_lo, exec_lo, s5
	s_cbranch_vccnz .LBB24_16
; %bb.15:
	v_div_scale_f32 v13, null, v5, v5, 1.0
	v_rcp_f32_e32 v14, v13
	v_fma_f32 v16, -v13, v14, 1.0
	v_fmac_f32_e32 v14, v16, v14
	v_div_scale_f32 v16, vcc_lo, 1.0, v5, 1.0
	v_mul_f32_e32 v18, v16, v14
	v_fma_f32 v19, -v13, v18, v16
	v_fmac_f32_e32 v18, v19, v14
	v_fma_f32 v13, -v13, v18, v16
	v_div_fmas_f32 v13, v13, v14, v18
	v_div_fixup_f32 v16, v13, v5, 1.0
.LBB24_16:
	v_mad_u64_u32 v[13:14], null, s7, s2, v[17:18]
	v_mov_b32_e32 v18, 0
	v_cvt_f32_f16_e32 v5, v103
	v_cmp_eq_u32_e32 vcc_lo, 0, v0
	v_mul_f32_e32 v19, v16, v5
	v_mad_u64_u32 v[13:14], null, v13, s3, s[30:31]
	v_mad_u64_u32 v[13:14], null, s1, v13, s[28:29]
	v_cvt_f32_f16_sdwa v14, v103 dst_sel:DWORD dst_unused:UNUSED_PAD src0_sel:WORD_1
	v_mul_f32_e32 v20, v16, v14
	v_lshl_add_u32 v17, v13, 6, v15
	v_lshlrev_b64 v[17:18], 2, v[17:18]
	v_add_co_u32 v16, s0, s20, v17
	v_add_co_ci_u32_e64 v17, null, s21, v18, s0
	s_and_b32 s0, vcc_lo, s5
	global_store_dwordx2 v[16:17], v[19:20], off
	s_and_saveexec_b32 s2, s0
	s_cbranch_execz .LBB24_18
; %bb.17:
	v_ashrrev_i32_e32 v14, 31, v13
	v_mov_b32_e32 v0, v1
	v_mov_b32_e32 v1, v9
	v_lshlrev_b64 v[16:17], 3, v[13:14]
	v_add_co_u32 v16, vcc_lo, s22, v16
	v_add_co_ci_u32_e64 v17, null, s23, v17, vcc_lo
	global_store_dwordx2 v[16:17], v[0:1], off
.LBB24_18:
	s_or_b32 exec_lo, exec_lo, s2
	v_cndmask_b32_e64 v5, 0, 1, s4
	v_mov_b32_e32 v1, 1.0
	s_andn2_b32 vcc_lo, exec_lo, s4
	s_cbranch_vccnz .LBB24_20
; %bb.19:
	v_div_scale_f32 v0, null, v6, v6, 1.0
	v_rcp_f32_e32 v1, v0
	v_fma_f32 v9, -v0, v1, 1.0
	v_fmac_f32_e32 v1, v9, v1
	v_div_scale_f32 v9, vcc_lo, 1.0, v6, 1.0
	v_mul_f32_e32 v14, v9, v1
	v_fma_f32 v16, -v0, v14, v9
	v_fmac_f32_e32 v14, v16, v1
	v_fma_f32 v0, -v0, v14, v9
	v_div_fmas_f32 v0, v0, v1, v14
	v_div_fixup_f32 v1, v0, v6, 1.0
.LBB24_20:
	v_add_nc_u32_e32 v0, s1, v13
	v_mov_b32_e32 v14, 0
	v_cvt_f32_f16_e32 v6, v102
	v_cvt_f32_f16_sdwa v9, v102 dst_sel:DWORD dst_unused:UNUSED_PAD src0_sel:WORD_1
	v_lshl_add_u32 v13, v0, 6, v15
	v_mul_f32_e32 v16, v1, v6
	v_mul_f32_e32 v17, v1, v9
	v_lshlrev_b64 v[13:14], 2, v[13:14]
	v_add_co_u32 v13, vcc_lo, s20, v13
	v_add_co_ci_u32_e64 v14, null, s21, v14, vcc_lo
	global_store_dwordx2 v[13:14], v[16:17], off
	s_and_saveexec_b32 s2, s0
	s_cbranch_execz .LBB24_22
; %bb.21:
	v_ashrrev_i32_e32 v1, 31, v0
	v_mov_b32_e32 v9, v2
	v_lshlrev_b64 v[13:14], 3, v[0:1]
	v_add_co_u32 v13, vcc_lo, s22, v13
	v_add_co_ci_u32_e64 v14, null, s23, v14, vcc_lo
	global_store_dwordx2 v[13:14], v[9:10], off
.LBB24_22:
	s_or_b32 exec_lo, exec_lo, s2
	v_cmp_ne_u32_e32 vcc_lo, 1, v5
	v_mov_b32_e32 v1, 1.0
	s_cbranch_vccnz .LBB24_24
; %bb.23:
	v_div_scale_f32 v1, null, v7, v7, 1.0
	v_rcp_f32_e32 v2, v1
	v_fma_f32 v6, -v1, v2, 1.0
	v_fmac_f32_e32 v2, v6, v2
	v_div_scale_f32 v6, vcc_lo, 1.0, v7, 1.0
	v_mul_f32_e32 v9, v6, v2
	v_fma_f32 v10, -v1, v9, v6
	v_fmac_f32_e32 v9, v10, v2
	v_fma_f32 v1, -v1, v9, v6
	v_div_fmas_f32 v1, v1, v2, v9
	v_div_fixup_f32 v1, v1, v7, 1.0
.LBB24_24:
	v_add_nc_u32_e32 v0, s1, v0
	v_mov_b32_e32 v7, 0
	v_cvt_f32_f16_e32 v2, v101
	v_cvt_f32_f16_sdwa v10, v101 dst_sel:DWORD dst_unused:UNUSED_PAD src0_sel:WORD_1
	v_lshl_add_u32 v6, v0, 6, v15
	v_mul_f32_e32 v9, v1, v2
	v_mul_f32_e32 v10, v1, v10
	v_lshlrev_b64 v[6:7], 2, v[6:7]
	v_add_co_u32 v1, vcc_lo, s20, v6
	v_add_co_ci_u32_e64 v2, null, s21, v7, vcc_lo
	global_store_dwordx2 v[1:2], v[9:10], off
	s_and_saveexec_b32 s2, s0
	s_cbranch_execz .LBB24_26
; %bb.25:
	v_ashrrev_i32_e32 v1, 31, v0
	v_mov_b32_e32 v10, v3
	v_lshlrev_b64 v[1:2], 3, v[0:1]
	v_add_co_u32 v1, vcc_lo, s22, v1
	v_add_co_ci_u32_e64 v2, null, s23, v2, vcc_lo
	global_store_dwordx2 v[1:2], v[10:11], off
.LBB24_26:
	s_or_b32 exec_lo, exec_lo, s2
	v_cmp_ne_u32_e32 vcc_lo, 1, v5
	v_mov_b32_e32 v1, 1.0
	s_cbranch_vccnz .LBB24_28
; %bb.27:
	v_div_scale_f32 v1, null, v8, v8, 1.0
	v_rcp_f32_e32 v2, v1
	v_fma_f32 v3, -v1, v2, 1.0
	v_fmac_f32_e32 v2, v3, v2
	v_div_scale_f32 v3, vcc_lo, 1.0, v8, 1.0
	v_mul_f32_e32 v5, v3, v2
	v_fma_f32 v6, -v1, v5, v3
	v_fmac_f32_e32 v5, v6, v2
	v_fma_f32 v1, -v1, v5, v3
	v_div_fmas_f32 v1, v1, v2, v5
	v_div_fixup_f32 v1, v1, v8, 1.0
.LBB24_28:
	v_add_nc_u32_e32 v0, s1, v0
	v_mov_b32_e32 v3, 0
	v_cvt_f32_f16_e32 v5, v51
	v_cvt_f32_f16_sdwa v6, v51 dst_sel:DWORD dst_unused:UNUSED_PAD src0_sel:WORD_1
	v_lshl_add_u32 v2, v0, 6, v15
	v_mul_f32_e32 v5, v1, v5
	v_mul_f32_e32 v6, v1, v6
	v_lshlrev_b64 v[2:3], 2, v[2:3]
	v_add_co_u32 v1, vcc_lo, s20, v2
	v_add_co_ci_u32_e64 v2, null, s21, v3, vcc_lo
	global_store_dwordx2 v[1:2], v[5:6], off
	s_and_b32 exec_lo, exec_lo, s0
	s_cbranch_execz .LBB24_30
; %bb.29:
	v_ashrrev_i32_e32 v1, 31, v0
	v_mov_b32_e32 v11, v4
	v_lshlrev_b64 v[0:1], 3, v[0:1]
	v_add_co_u32 v0, vcc_lo, s22, v0
	v_add_co_ci_u32_e64 v1, null, s23, v1, vcc_lo
	global_store_dwordx2 v[0:1], v[11:12], off
	s_endpgm
.LBB24_30:
	s_endpgm
	.section	.rodata,"a",@progbits
	.p2align	6, 0x0
	.amdhsa_kernel _ZL15flash_attn_tileILi64ELi64ELi4ELi4ELb0EEvPKcS1_S1_S1_S1_PKiPfP15HIP_vector_typeIfLj2EEffffjfiS5_IjLj3EEiiiiiiiiiiiliiliiiiil
		.amdhsa_group_segment_fixed_size 24576
		.amdhsa_private_segment_fixed_size 0
		.amdhsa_kernarg_size 464
		.amdhsa_user_sgpr_count 6
		.amdhsa_user_sgpr_private_segment_buffer 1
		.amdhsa_user_sgpr_dispatch_ptr 0
		.amdhsa_user_sgpr_queue_ptr 0
		.amdhsa_user_sgpr_kernarg_segment_ptr 1
		.amdhsa_user_sgpr_dispatch_id 0
		.amdhsa_user_sgpr_flat_scratch_init 0
		.amdhsa_user_sgpr_private_segment_size 0
		.amdhsa_wavefront_size32 1
		.amdhsa_uses_dynamic_stack 0
		.amdhsa_system_sgpr_private_segment_wavefront_offset 0
		.amdhsa_system_sgpr_workgroup_id_x 1
		.amdhsa_system_sgpr_workgroup_id_y 1
		.amdhsa_system_sgpr_workgroup_id_z 1
		.amdhsa_system_sgpr_workgroup_info 0
		.amdhsa_system_vgpr_workitem_id 1
		.amdhsa_next_free_vgpr 161
		.amdhsa_next_free_sgpr 40
		.amdhsa_reserve_vcc 1
		.amdhsa_reserve_flat_scratch 0
		.amdhsa_float_round_mode_32 0
		.amdhsa_float_round_mode_16_64 0
		.amdhsa_float_denorm_mode_32 3
		.amdhsa_float_denorm_mode_16_64 3
		.amdhsa_dx10_clamp 1
		.amdhsa_ieee_mode 1
		.amdhsa_fp16_overflow 0
		.amdhsa_workgroup_processor_mode 1
		.amdhsa_memory_ordered 1
		.amdhsa_forward_progress 1
		.amdhsa_shared_vgpr_count 0
		.amdhsa_exception_fp_ieee_invalid_op 0
		.amdhsa_exception_fp_denorm_src 0
		.amdhsa_exception_fp_ieee_div_zero 0
		.amdhsa_exception_fp_ieee_overflow 0
		.amdhsa_exception_fp_ieee_underflow 0
		.amdhsa_exception_fp_ieee_inexact 0
		.amdhsa_exception_int_div_zero 0
	.end_amdhsa_kernel
	.section	.text._ZL15flash_attn_tileILi64ELi64ELi4ELi4ELb0EEvPKcS1_S1_S1_S1_PKiPfP15HIP_vector_typeIfLj2EEffffjfiS5_IjLj3EEiiiiiiiiiiiliiliiiiil,"axG",@progbits,_ZL15flash_attn_tileILi64ELi64ELi4ELi4ELb0EEvPKcS1_S1_S1_S1_PKiPfP15HIP_vector_typeIfLj2EEffffjfiS5_IjLj3EEiiiiiiiiiiiliiliiiiil,comdat
.Lfunc_end24:
	.size	_ZL15flash_attn_tileILi64ELi64ELi4ELi4ELb0EEvPKcS1_S1_S1_S1_PKiPfP15HIP_vector_typeIfLj2EEffffjfiS5_IjLj3EEiiiiiiiiiiiliiliiiiil, .Lfunc_end24-_ZL15flash_attn_tileILi64ELi64ELi4ELi4ELb0EEvPKcS1_S1_S1_S1_PKiPfP15HIP_vector_typeIfLj2EEffffjfiS5_IjLj3EEiiiiiiiiiiiliiliiiiil
                                        ; -- End function
	.set _ZL15flash_attn_tileILi64ELi64ELi4ELi4ELb0EEvPKcS1_S1_S1_S1_PKiPfP15HIP_vector_typeIfLj2EEffffjfiS5_IjLj3EEiiiiiiiiiiiliiliiiiil.num_vgpr, 146
	.set _ZL15flash_attn_tileILi64ELi64ELi4ELi4ELb0EEvPKcS1_S1_S1_S1_PKiPfP15HIP_vector_typeIfLj2EEffffjfiS5_IjLj3EEiiiiiiiiiiiliiliiiiil.num_agpr, 0
	.set _ZL15flash_attn_tileILi64ELi64ELi4ELi4ELb0EEvPKcS1_S1_S1_S1_PKiPfP15HIP_vector_typeIfLj2EEffffjfiS5_IjLj3EEiiiiiiiiiiiliiliiiiil.numbered_sgpr, 40
	.set _ZL15flash_attn_tileILi64ELi64ELi4ELi4ELb0EEvPKcS1_S1_S1_S1_PKiPfP15HIP_vector_typeIfLj2EEffffjfiS5_IjLj3EEiiiiiiiiiiiliiliiiiil.num_named_barrier, 0
	.set _ZL15flash_attn_tileILi64ELi64ELi4ELi4ELb0EEvPKcS1_S1_S1_S1_PKiPfP15HIP_vector_typeIfLj2EEffffjfiS5_IjLj3EEiiiiiiiiiiiliiliiiiil.private_seg_size, 0
	.set _ZL15flash_attn_tileILi64ELi64ELi4ELi4ELb0EEvPKcS1_S1_S1_S1_PKiPfP15HIP_vector_typeIfLj2EEffffjfiS5_IjLj3EEiiiiiiiiiiiliiliiiiil.uses_vcc, 1
	.set _ZL15flash_attn_tileILi64ELi64ELi4ELi4ELb0EEvPKcS1_S1_S1_S1_PKiPfP15HIP_vector_typeIfLj2EEffffjfiS5_IjLj3EEiiiiiiiiiiiliiliiiiil.uses_flat_scratch, 0
	.set _ZL15flash_attn_tileILi64ELi64ELi4ELi4ELb0EEvPKcS1_S1_S1_S1_PKiPfP15HIP_vector_typeIfLj2EEffffjfiS5_IjLj3EEiiiiiiiiiiiliiliiiiil.has_dyn_sized_stack, 0
	.set _ZL15flash_attn_tileILi64ELi64ELi4ELi4ELb0EEvPKcS1_S1_S1_S1_PKiPfP15HIP_vector_typeIfLj2EEffffjfiS5_IjLj3EEiiiiiiiiiiiliiliiiiil.has_recursion, 0
	.set _ZL15flash_attn_tileILi64ELi64ELi4ELi4ELb0EEvPKcS1_S1_S1_S1_PKiPfP15HIP_vector_typeIfLj2EEffffjfiS5_IjLj3EEiiiiiiiiiiiliiliiiiil.has_indirect_call, 0
	.section	.AMDGPU.csdata,"",@progbits
; Kernel info:
; codeLenInByte = 28572
; TotalNumSgprs: 42
; NumVgprs: 146
; ScratchSize: 0
; MemoryBound: 0
; FloatMode: 240
; IeeeMode: 1
; LDSByteSize: 24576 bytes/workgroup (compile time only)
; SGPRBlocks: 0
; VGPRBlocks: 20
; NumSGPRsForWavesPerEU: 42
; NumVGPRsForWavesPerEU: 161
; Occupancy: 5
; WaveLimiterHint : 1
; COMPUTE_PGM_RSRC2:SCRATCH_EN: 0
; COMPUTE_PGM_RSRC2:USER_SGPR: 6
; COMPUTE_PGM_RSRC2:TRAP_HANDLER: 0
; COMPUTE_PGM_RSRC2:TGID_X_EN: 1
; COMPUTE_PGM_RSRC2:TGID_Y_EN: 1
; COMPUTE_PGM_RSRC2:TGID_Z_EN: 1
; COMPUTE_PGM_RSRC2:TIDIG_COMP_CNT: 1
	.section	.text._ZL33flash_attn_stream_k_fixup_uniformILi64ELi4ELi4EEvPfPK15HIP_vector_typeIfLj2EEiiiiiiS1_IjLj3EES5_S5_,"axG",@progbits,_ZL33flash_attn_stream_k_fixup_uniformILi64ELi4ELi4EEvPfPK15HIP_vector_typeIfLj2EEiiiiiiS1_IjLj3EES5_S5_,comdat
	.globl	_ZL33flash_attn_stream_k_fixup_uniformILi64ELi4ELi4EEvPfPK15HIP_vector_typeIfLj2EEiiiiiiS1_IjLj3EES5_S5_ ; -- Begin function _ZL33flash_attn_stream_k_fixup_uniformILi64ELi4ELi4EEvPfPK15HIP_vector_typeIfLj2EEiiiiiiS1_IjLj3EES5_S5_
	.p2align	8
	.type	_ZL33flash_attn_stream_k_fixup_uniformILi64ELi4ELi4EEvPfPK15HIP_vector_typeIfLj2EEiiiiiiS1_IjLj3EES5_S5_,@function
_ZL33flash_attn_stream_k_fixup_uniformILi64ELi4ELi4EEvPfPK15HIP_vector_typeIfLj2EEiiiiiiS1_IjLj3EES5_S5_: ; @_ZL33flash_attn_stream_k_fixup_uniformILi64ELi4ELi4EEvPfPK15HIP_vector_typeIfLj2EEiiiiiiS1_IjLj3EES5_S5_
; %bb.0:
	s_clause 0x2
	s_load_dwordx8 s[12:19], s[4:5], 0x1c
	s_load_dwordx4 s[20:23], s[4:5], 0x3c
	s_load_dwordx2 s[10:11], s[4:5], 0x10
	s_waitcnt lgkmcnt(0)
	s_mul_hi_u32 s0, s15, s6
	s_add_i32 s0, s6, s0
	s_lshr_b32 s0, s0, s16
	s_mul_i32 s1, s0, s17
	s_sub_i32 s2, s6, s1
	s_mul_hi_u32 s1, s2, s18
	s_add_i32 s1, s2, s1
	s_lshr_b32 s1, s1, s19
	s_mul_i32 s3, s1, s20
	s_sub_i32 s2, s2, s3
	s_mul_hi_u32 s3, s2, s21
	s_add_i32 s3, s2, s3
	s_lshr_b32 s3, s3, s22
	s_mul_i32 s9, s3, s23
	s_lshl_b32 s15, s3, 2
	s_sub_i32 s9, s2, s9
	s_lshl_b32 s2, s9, 2
	s_add_i32 s2, s2, s7
	s_cmp_lt_i32 s2, s10
	s_cselect_b32 s2, -1, 0
	s_add_i32 s3, s15, s8
	s_cmp_lt_i32 s3, s13
	s_cselect_b32 s3, -1, 0
	s_and_b32 s2, s2, s3
	s_andn2_b32 vcc_lo, exec_lo, s2
	s_cbranch_vccnz .LBB25_6
; %bb.1:
	s_mul_i32 s0, s0, s10
	s_mul_i32 s10, s1, s13
	s_add_i32 s0, s0, s7
	s_mul_i32 s0, s0, s11
	s_add_i32 s13, s0, s8
	s_load_dwordx4 s[0:3], s[4:5], 0x0
	s_add_i32 s4, s13, s10
	s_mul_i32 s5, s11, s9
	s_add_i32 s4, s4, s15
	s_lshl_b32 s5, s5, 8
	s_lshl_b32 s4, s4, 6
	;; [unrolled: 1-line block ×3, first 2 shown]
	s_add_i32 s5, s5, s4
	s_mul_i32 s4, s14, s6
	v_or_b32_e32 v1, s5, v0
	s_add_i32 s11, s4, s14
	v_ashrrev_i32_e32 v2, 31, v1
	v_lshlrev_b64 v[1:2], 2, v[1:2]
	s_waitcnt lgkmcnt(0)
	v_add_co_u32 v1, vcc_lo, s0, v1
	v_add_co_ci_u32_e64 v2, null, s1, v2, vcc_lo
	s_add_i32 s0, s10, s8
	s_lshl_b32 s1, s11, 4
	s_add_i32 s0, s0, s1
	global_load_dword v5, v[1:2], off
	s_add_i32 s0, s0, -16
	s_ashr_i32 s1, s0, 31
	s_lshl_b64 s[0:1], s[0:1], 3
	s_add_u32 s0, s2, s0
	s_addc_u32 s1, s3, s1
	s_add_i32 s5, s11, -2
	s_load_dword s13, s[0:1], 0x4
	s_cmp_lt_i32 s5, s4
	s_cbranch_scc1 .LBB25_4
; %bb.2:
	s_lshl_b32 s16, s12, 6
	s_load_dword s15, s[0:1], 0x0
	s_ashr_i32 s17, s16, 31
	s_waitcnt lgkmcnt(0)
	v_mov_b32_e32 v6, s13
	s_lshl_b64 s[0:1], s[16:17], 2
	s_add_u32 s5, s2, s0
	s_addc_u32 s9, s3, s1
	s_add_i32 s6, s6, 1
	s_lshl_b32 s0, s7, 8
	s_lshl_b32 s1, s8, 6
	s_mul_i32 s6, s14, s6
	s_add_i32 s0, s1, s0
	s_lshl_b32 s1, s6, 10
	s_add_i32 s0, s0, s1
	s_lshl_b32 s1, s6, 4
	v_or_b32_e32 v0, s0, v0
	s_lshl_b32 s0, s12, 4
	s_add_i32 s1, s8, s1
	s_add_i32 s6, s11, -1
	s_add_i32 s0, s1, s0
	v_add_nc_u32_e32 v3, 0xfffff800, v0
	v_mov_b32_e32 v0, s15
	s_add_i32 s0, s0, s10
	s_sub_i32 s0, s0, 32
.LBB25_3:                               ; =>This Inner Loop Header: Depth=1
	v_ashrrev_i32_e32 v4, 31, v3
	s_ashr_i32 s1, s0, 31
	s_lshl_b64 s[10:11], s[0:1], 3
	s_add_u32 s10, s2, s10
	v_lshlrev_b64 v[7:8], 2, v[3:4]
	s_addc_u32 s11, s3, s11
	v_add_nc_u32_e32 v3, 0xfffffc00, v3
	s_add_i32 s6, s6, -1
	s_add_i32 s0, s0, -16
	s_cmp_le_i32 s6, s4
	v_add_co_u32 v7, vcc_lo, s5, v7
	v_add_co_ci_u32_e64 v8, null, s9, v8, vcc_lo
	s_load_dwordx2 s[10:11], s[10:11], 0x0
	global_load_dword v4, v[7:8], off
	v_max_f32_e32 v7, v0, v0
	s_waitcnt lgkmcnt(0)
	v_max_f32_e64 v8, s10, s10
	v_max_f32_e32 v7, v7, v8
	v_sub_f32_e32 v8, s10, v7
	v_sub_f32_e32 v0, v0, v7
	v_mul_f32_e32 v9, 0x3fb8aa3b, v8
	v_mul_f32_e32 v12, 0x3fb8aa3b, v0
	v_cmp_ngt_f32_e32 vcc_lo, 0xc2ce8ed0, v8
	v_fma_f32 v10, 0x3fb8aa3b, v8, -v9
	v_rndne_f32_e32 v11, v9
	v_fma_f32 v13, 0x3fb8aa3b, v0, -v12
	v_rndne_f32_e32 v14, v12
	v_fmac_f32_e32 v10, 0x32a5705f, v8
	v_sub_f32_e32 v9, v9, v11
	v_fmac_f32_e32 v13, 0x32a5705f, v0
	v_cvt_i32_f32_e32 v11, v11
	v_add_f32_e32 v9, v9, v10
	v_sub_f32_e32 v10, v12, v14
	v_exp_f32_e32 v9, v9
	v_add_f32_e32 v10, v10, v13
	v_exp_f32_e32 v10, v10
	v_ldexp_f32 v9, v9, v11
	v_cvt_i32_f32_e32 v11, v14
	v_cndmask_b32_e32 v9, 0, v9, vcc_lo
	v_cmp_nlt_f32_e32 vcc_lo, 0x42b17218, v8
	v_ldexp_f32 v10, v10, v11
	v_mov_b32_e32 v11, v6
	v_cndmask_b32_e32 v9, 0x7f800000, v9, vcc_lo
	v_cmp_ngt_f32_e32 vcc_lo, 0xc2ce8ed0, v0
	v_cndmask_b32_e32 v10, 0, v10, vcc_lo
	v_cmp_le_f32_e32 vcc_lo, 0xc1a00000, v8
	v_cndmask_b32_e32 v8, 0, v9, vcc_lo
	v_cmp_nlt_f32_e32 vcc_lo, 0x42b17218, v0
	s_waitcnt vmcnt(1)
	v_mov_b32_e32 v9, v5
	v_cndmask_b32_e32 v5, 0x7f800000, v10, vcc_lo
	v_mul_f32_e32 v10, s11, v8
	v_cmp_le_f32_e32 vcc_lo, 0xc1a00000, v0
	v_mov_b32_e32 v0, v7
	v_mov_b32_e32 v6, v10
	v_cndmask_b32_e32 v12, 0, v5, vcc_lo
	v_fmac_f32_e32 v6, v11, v12
	s_waitcnt vmcnt(0)
	v_mul_f32_e32 v5, v4, v8
	v_fmac_f32_e32 v5, v9, v12
	s_cbranch_scc0 .LBB25_3
	s_branch .LBB25_5
.LBB25_4:
	s_waitcnt lgkmcnt(0)
	v_mov_b32_e32 v6, s13
.LBB25_5:
	s_waitcnt vmcnt(0)
	v_div_scale_f32 v0, null, v6, v6, v5
	v_rcp_f32_e32 v3, v0
	v_fma_f32 v4, -v0, v3, 1.0
	v_fmac_f32_e32 v3, v4, v3
	v_div_scale_f32 v4, vcc_lo, v5, v6, v5
	v_mul_f32_e32 v7, v4, v3
	v_fma_f32 v8, -v0, v7, v4
	v_fmac_f32_e32 v7, v8, v3
	v_fma_f32 v0, -v0, v7, v4
	v_div_fmas_f32 v0, v0, v3, v7
	v_div_fixup_f32 v0, v0, v6, v5
	global_store_dword v[1:2], v0, off
.LBB25_6:
	s_endpgm
	.section	.rodata,"a",@progbits
	.p2align	6, 0x0
	.amdhsa_kernel _ZL33flash_attn_stream_k_fixup_uniformILi64ELi4ELi4EEvPfPK15HIP_vector_typeIfLj2EEiiiiiiS1_IjLj3EES5_S5_
		.amdhsa_group_segment_fixed_size 0
		.amdhsa_private_segment_fixed_size 0
		.amdhsa_kernarg_size 76
		.amdhsa_user_sgpr_count 6
		.amdhsa_user_sgpr_private_segment_buffer 1
		.amdhsa_user_sgpr_dispatch_ptr 0
		.amdhsa_user_sgpr_queue_ptr 0
		.amdhsa_user_sgpr_kernarg_segment_ptr 1
		.amdhsa_user_sgpr_dispatch_id 0
		.amdhsa_user_sgpr_flat_scratch_init 0
		.amdhsa_user_sgpr_private_segment_size 0
		.amdhsa_wavefront_size32 1
		.amdhsa_uses_dynamic_stack 0
		.amdhsa_system_sgpr_private_segment_wavefront_offset 0
		.amdhsa_system_sgpr_workgroup_id_x 1
		.amdhsa_system_sgpr_workgroup_id_y 1
		.amdhsa_system_sgpr_workgroup_id_z 1
		.amdhsa_system_sgpr_workgroup_info 0
		.amdhsa_system_vgpr_workitem_id 0
		.amdhsa_next_free_vgpr 15
		.amdhsa_next_free_sgpr 24
		.amdhsa_reserve_vcc 1
		.amdhsa_reserve_flat_scratch 0
		.amdhsa_float_round_mode_32 0
		.amdhsa_float_round_mode_16_64 0
		.amdhsa_float_denorm_mode_32 3
		.amdhsa_float_denorm_mode_16_64 3
		.amdhsa_dx10_clamp 1
		.amdhsa_ieee_mode 1
		.amdhsa_fp16_overflow 0
		.amdhsa_workgroup_processor_mode 1
		.amdhsa_memory_ordered 1
		.amdhsa_forward_progress 1
		.amdhsa_shared_vgpr_count 0
		.amdhsa_exception_fp_ieee_invalid_op 0
		.amdhsa_exception_fp_denorm_src 0
		.amdhsa_exception_fp_ieee_div_zero 0
		.amdhsa_exception_fp_ieee_overflow 0
		.amdhsa_exception_fp_ieee_underflow 0
		.amdhsa_exception_fp_ieee_inexact 0
		.amdhsa_exception_int_div_zero 0
	.end_amdhsa_kernel
	.section	.text._ZL33flash_attn_stream_k_fixup_uniformILi64ELi4ELi4EEvPfPK15HIP_vector_typeIfLj2EEiiiiiiS1_IjLj3EES5_S5_,"axG",@progbits,_ZL33flash_attn_stream_k_fixup_uniformILi64ELi4ELi4EEvPfPK15HIP_vector_typeIfLj2EEiiiiiiS1_IjLj3EES5_S5_,comdat
.Lfunc_end25:
	.size	_ZL33flash_attn_stream_k_fixup_uniformILi64ELi4ELi4EEvPfPK15HIP_vector_typeIfLj2EEiiiiiiS1_IjLj3EES5_S5_, .Lfunc_end25-_ZL33flash_attn_stream_k_fixup_uniformILi64ELi4ELi4EEvPfPK15HIP_vector_typeIfLj2EEiiiiiiS1_IjLj3EES5_S5_
                                        ; -- End function
	.set _ZL33flash_attn_stream_k_fixup_uniformILi64ELi4ELi4EEvPfPK15HIP_vector_typeIfLj2EEiiiiiiS1_IjLj3EES5_S5_.num_vgpr, 15
	.set _ZL33flash_attn_stream_k_fixup_uniformILi64ELi4ELi4EEvPfPK15HIP_vector_typeIfLj2EEiiiiiiS1_IjLj3EES5_S5_.num_agpr, 0
	.set _ZL33flash_attn_stream_k_fixup_uniformILi64ELi4ELi4EEvPfPK15HIP_vector_typeIfLj2EEiiiiiiS1_IjLj3EES5_S5_.numbered_sgpr, 24
	.set _ZL33flash_attn_stream_k_fixup_uniformILi64ELi4ELi4EEvPfPK15HIP_vector_typeIfLj2EEiiiiiiS1_IjLj3EES5_S5_.num_named_barrier, 0
	.set _ZL33flash_attn_stream_k_fixup_uniformILi64ELi4ELi4EEvPfPK15HIP_vector_typeIfLj2EEiiiiiiS1_IjLj3EES5_S5_.private_seg_size, 0
	.set _ZL33flash_attn_stream_k_fixup_uniformILi64ELi4ELi4EEvPfPK15HIP_vector_typeIfLj2EEiiiiiiS1_IjLj3EES5_S5_.uses_vcc, 1
	.set _ZL33flash_attn_stream_k_fixup_uniformILi64ELi4ELi4EEvPfPK15HIP_vector_typeIfLj2EEiiiiiiS1_IjLj3EES5_S5_.uses_flat_scratch, 0
	.set _ZL33flash_attn_stream_k_fixup_uniformILi64ELi4ELi4EEvPfPK15HIP_vector_typeIfLj2EEiiiiiiS1_IjLj3EES5_S5_.has_dyn_sized_stack, 0
	.set _ZL33flash_attn_stream_k_fixup_uniformILi64ELi4ELi4EEvPfPK15HIP_vector_typeIfLj2EEiiiiiiS1_IjLj3EES5_S5_.has_recursion, 0
	.set _ZL33flash_attn_stream_k_fixup_uniformILi64ELi4ELi4EEvPfPK15HIP_vector_typeIfLj2EEiiiiiiS1_IjLj3EES5_S5_.has_indirect_call, 0
	.section	.AMDGPU.csdata,"",@progbits
; Kernel info:
; codeLenInByte = 848
; TotalNumSgprs: 26
; NumVgprs: 15
; ScratchSize: 0
; MemoryBound: 0
; FloatMode: 240
; IeeeMode: 1
; LDSByteSize: 0 bytes/workgroup (compile time only)
; SGPRBlocks: 0
; VGPRBlocks: 1
; NumSGPRsForWavesPerEU: 26
; NumVGPRsForWavesPerEU: 15
; Occupancy: 16
; WaveLimiterHint : 0
; COMPUTE_PGM_RSRC2:SCRATCH_EN: 0
; COMPUTE_PGM_RSRC2:USER_SGPR: 6
; COMPUTE_PGM_RSRC2:TRAP_HANDLER: 0
; COMPUTE_PGM_RSRC2:TGID_X_EN: 1
; COMPUTE_PGM_RSRC2:TGID_Y_EN: 1
; COMPUTE_PGM_RSRC2:TGID_Z_EN: 1
; COMPUTE_PGM_RSRC2:TIDIG_COMP_CNT: 0
	.section	.text._ZL33flash_attn_stream_k_fixup_generalILi64ELi4ELi4EEvPfPK15HIP_vector_typeIfLj2EEiiiiS1_IjLj3EES5_S5_S5_,"axG",@progbits,_ZL33flash_attn_stream_k_fixup_generalILi64ELi4ELi4EEvPfPK15HIP_vector_typeIfLj2EEiiiiS1_IjLj3EES5_S5_S5_,comdat
	.globl	_ZL33flash_attn_stream_k_fixup_generalILi64ELi4ELi4EEvPfPK15HIP_vector_typeIfLj2EEiiiiS1_IjLj3EES5_S5_S5_ ; -- Begin function _ZL33flash_attn_stream_k_fixup_generalILi64ELi4ELi4EEvPfPK15HIP_vector_typeIfLj2EEiiiiS1_IjLj3EES5_S5_S5_
	.p2align	8
	.type	_ZL33flash_attn_stream_k_fixup_generalILi64ELi4ELi4EEvPfPK15HIP_vector_typeIfLj2EEiiiiS1_IjLj3EES5_S5_S5_,@function
_ZL33flash_attn_stream_k_fixup_generalILi64ELi4ELi4EEvPfPK15HIP_vector_typeIfLj2EEiiiiS1_IjLj3EES5_S5_S5_: ; @_ZL33flash_attn_stream_k_fixup_generalILi64ELi4ELi4EEvPfPK15HIP_vector_typeIfLj2EEiiiiS1_IjLj3EES5_S5_S5_
; %bb.0:
	s_clause 0x1
	s_load_dwordx4 s[0:3], s[4:5], 0x10
	s_load_dword s9, s[4:5], 0x50
	s_mov_b32 s16, 0
	s_waitcnt lgkmcnt(0)
	s_mul_hi_i32 s17, s3, s6
	s_mul_i32 s18, s3, s6
	s_cmp_lg_u64 s[16:17], 0
	s_cbranch_scc0 .LBB26_21
; %bb.1:
	s_add_u32 s10, s9, 0
	s_addc_u32 s11, 0, 0
	s_xor_b64 s[10:11], s[10:11], 0
	v_cvt_f32_u32_e32 v1, s10
	v_cvt_f32_u32_e32 v2, s11
	s_sub_u32 s14, 0, s10
	s_subb_u32 s15, 0, s11
	v_fmamk_f32 v1, v2, 0x4f800000, v1
	v_rcp_f32_e32 v1, v1
	v_mul_f32_e32 v1, 0x5f7ffffc, v1
	v_mul_f32_e32 v2, 0x2f800000, v1
	v_trunc_f32_e32 v2, v2
	v_fmamk_f32 v1, v2, 0xcf800000, v1
	v_cvt_u32_f32_e32 v2, v2
	v_cvt_u32_f32_e32 v1, v1
	v_readfirstlane_b32 s12, v2
	v_readfirstlane_b32 s13, v1
	s_mul_i32 s19, s14, s12
	s_mul_hi_u32 s21, s14, s13
	s_mul_i32 s20, s15, s13
	s_add_i32 s19, s21, s19
	s_mul_i32 s22, s14, s13
	s_add_i32 s19, s19, s20
	s_mul_hi_u32 s21, s13, s22
	s_mul_i32 s24, s13, s19
	s_mul_hi_u32 s23, s12, s22
	s_mul_i32 s20, s12, s22
	s_mul_hi_u32 s22, s13, s19
	s_add_u32 s21, s21, s24
	s_addc_u32 s22, 0, s22
	s_mul_hi_u32 s25, s12, s19
	s_add_u32 s20, s21, s20
	s_mul_i32 s19, s12, s19
	s_addc_u32 s20, s22, s23
	s_addc_u32 s21, s25, 0
	s_add_u32 s19, s20, s19
	s_addc_u32 s20, 0, s21
	s_add_u32 s13, s13, s19
	s_cselect_b32 s19, -1, 0
	s_mul_hi_u32 s21, s14, s13
	s_cmp_lg_u32 s19, 0
	s_mul_i32 s19, s14, s13
	s_addc_u32 s12, s12, s20
	s_mul_i32 s15, s15, s13
	s_mul_i32 s14, s14, s12
	s_mul_hi_u32 s20, s13, s19
	s_add_i32 s14, s21, s14
	s_mul_hi_u32 s21, s12, s19
	s_add_i32 s14, s14, s15
	s_mul_i32 s15, s12, s19
	s_mul_i32 s23, s13, s14
	s_mul_hi_u32 s22, s13, s14
	s_add_u32 s20, s20, s23
	s_addc_u32 s22, 0, s22
	s_mul_hi_u32 s19, s12, s14
	s_add_u32 s15, s20, s15
	s_mul_i32 s14, s12, s14
	s_addc_u32 s15, s22, s21
	s_addc_u32 s19, s19, 0
	s_add_u32 s14, s15, s14
	s_addc_u32 s15, 0, s19
	s_add_u32 s19, s13, s14
	s_cselect_b32 s13, -1, 0
	s_cmp_lg_u32 s13, 0
	s_addc_u32 s20, s12, s15
	s_ashr_i32 s12, s17, 31
	s_add_u32 s14, s18, s12
	s_mov_b32 s13, s12
	s_addc_u32 s15, s17, s12
	s_xor_b64 s[14:15], s[14:15], s[12:13]
	s_mul_i32 s21, s14, s20
	s_mul_hi_u32 s22, s14, s19
	s_mul_hi_u32 s17, s14, s20
	;; [unrolled: 1-line block ×3, first 2 shown]
	s_mul_i32 s19, s15, s19
	s_add_u32 s21, s22, s21
	s_addc_u32 s17, 0, s17
	s_mul_hi_u32 s23, s15, s20
	s_add_u32 s19, s21, s19
	s_mul_i32 s20, s15, s20
	s_addc_u32 s17, s17, s24
	s_addc_u32 s19, s23, 0
	s_add_u32 s17, s17, s20
	s_addc_u32 s19, 0, s19
	s_mul_hi_u32 s20, s10, s17
	s_mul_i32 s21, s10, s19
	s_mul_i32 s22, s11, s17
	s_add_i32 s20, s20, s21
	s_mul_i32 s21, s10, s17
	s_add_i32 s20, s20, s22
	s_sub_i32 s22, s15, s20
	s_sub_u32 s14, s14, s21
	s_cselect_b32 s21, -1, 0
	s_cmp_lg_u32 s21, 0
	s_subb_u32 s22, s22, s11
	s_sub_u32 s23, s14, s10
	s_cselect_b32 s24, -1, 0
	s_cmp_lg_u32 s24, 0
	s_subb_u32 s22, s22, 0
	s_cmp_ge_u32 s22, s11
	s_cselect_b32 s24, -1, 0
	s_cmp_ge_u32 s23, s10
	s_cselect_b32 s23, -1, 0
	s_cmp_eq_u32 s22, s11
	s_cselect_b32 s22, s23, s24
	s_add_u32 s23, s17, 1
	s_addc_u32 s24, s19, 0
	s_add_u32 s25, s17, 2
	s_addc_u32 s26, s19, 0
	s_cmp_lg_u32 s22, 0
	s_cselect_b32 s22, s25, s23
	s_cselect_b32 s23, s26, s24
	s_cmp_lg_u32 s21, 0
	s_subb_u32 s15, s15, s20
	s_cmp_ge_u32 s15, s11
	s_cselect_b32 s20, -1, 0
	s_cmp_ge_u32 s14, s10
	s_cselect_b32 s10, -1, 0
	s_cmp_eq_u32 s15, s11
	s_cselect_b32 s10, s10, s20
	s_cmp_lg_u32 s10, 0
	s_cselect_b32 s11, s23, s19
	s_cselect_b32 s10, s22, s17
	s_xor_b64 s[12:13], s[12:13], 0
	s_xor_b64 s[10:11], s[10:11], s[12:13]
	s_sub_u32 s10, s10, s12
	s_load_dwordx4 s[12:15], s[4:5], 0x44
	s_andn2_b32 vcc_lo, exec_lo, s16
	s_cbranch_vccnz .LBB26_3
.LBB26_2:
	v_cvt_f32_u32_e32 v1, s9
	s_sub_i32 s11, 0, s9
	v_rcp_iflag_f32_e32 v1, v1
	v_mul_f32_e32 v1, 0x4f7ffffe, v1
	v_cvt_u32_f32_e32 v1, v1
	v_readfirstlane_b32 s10, v1
	s_mul_i32 s11, s11, s10
	s_mul_hi_u32 s11, s10, s11
	s_add_i32 s10, s10, s11
	s_mul_hi_u32 s10, s18, s10
	s_mul_i32 s11, s10, s9
	s_waitcnt lgkmcnt(0)
	s_add_i32 s15, s10, 1
	s_sub_i32 s11, s18, s11
	s_sub_i32 s16, s11, s9
	s_cmp_ge_u32 s11, s9
	s_cselect_b32 s10, s15, s10
	s_cselect_b32 s11, s16, s11
	s_add_i32 s15, s10, 1
	s_cmp_ge_u32 s11, s9
	s_cselect_b32 s10, s15, s10
.LBB26_3:
	s_add_i32 s11, s6, 1
	s_mov_b32 s16, 0
	s_mul_hi_i32 s17, s3, s11
	s_mul_i32 s11, s3, s11
	s_cmp_lg_u64 s[16:17], 0
	s_cbranch_scc0 .LBB26_22
; %bb.4:
	s_add_u32 s18, s9, 0
	s_addc_u32 s19, 0, 0
	s_xor_b64 s[18:19], s[18:19], 0
	v_cvt_f32_u32_e32 v1, s18
	v_cvt_f32_u32_e32 v2, s19
	s_sub_u32 s21, 0, s18
	s_subb_u32 s22, 0, s19
	v_fmamk_f32 v1, v2, 0x4f800000, v1
	v_rcp_f32_e32 v1, v1
	v_mul_f32_e32 v1, 0x5f7ffffc, v1
	v_mul_f32_e32 v2, 0x2f800000, v1
	v_trunc_f32_e32 v2, v2
	v_fmamk_f32 v1, v2, 0xcf800000, v1
	v_cvt_u32_f32_e32 v2, v2
	v_cvt_u32_f32_e32 v1, v1
	s_waitcnt lgkmcnt(0)
	v_readfirstlane_b32 s15, v2
	v_readfirstlane_b32 s20, v1
	s_mul_i32 s23, s21, s15
	s_mul_hi_u32 s25, s21, s20
	s_mul_i32 s24, s22, s20
	s_add_i32 s23, s25, s23
	s_mul_i32 s26, s21, s20
	s_add_i32 s23, s23, s24
	s_mul_hi_u32 s25, s20, s26
	s_mul_i32 s28, s20, s23
	s_mul_hi_u32 s27, s15, s26
	s_mul_i32 s24, s15, s26
	s_mul_hi_u32 s26, s20, s23
	s_add_u32 s25, s25, s28
	s_addc_u32 s26, 0, s26
	s_mul_hi_u32 s29, s15, s23
	s_add_u32 s24, s25, s24
	s_mul_i32 s23, s15, s23
	s_addc_u32 s24, s26, s27
	s_addc_u32 s25, s29, 0
	s_add_u32 s23, s24, s23
	s_addc_u32 s24, 0, s25
	s_add_u32 s20, s20, s23
	s_cselect_b32 s23, -1, 0
	s_mul_hi_u32 s25, s21, s20
	s_cmp_lg_u32 s23, 0
	s_mul_i32 s23, s21, s20
	s_addc_u32 s15, s15, s24
	s_mul_i32 s22, s22, s20
	s_mul_i32 s21, s21, s15
	s_mul_hi_u32 s24, s20, s23
	s_add_i32 s21, s25, s21
	s_mul_hi_u32 s25, s15, s23
	s_add_i32 s21, s21, s22
	s_mul_i32 s22, s15, s23
	s_mul_i32 s27, s20, s21
	s_mul_hi_u32 s26, s20, s21
	s_add_u32 s24, s24, s27
	s_addc_u32 s26, 0, s26
	s_mul_hi_u32 s23, s15, s21
	s_add_u32 s22, s24, s22
	s_mul_i32 s21, s15, s21
	s_addc_u32 s22, s26, s25
	s_addc_u32 s23, s23, 0
	s_add_u32 s21, s22, s21
	s_addc_u32 s22, 0, s23
	s_add_u32 s24, s20, s21
	s_cselect_b32 s20, -1, 0
	s_cmp_lg_u32 s20, 0
	s_addc_u32 s15, s15, s22
	s_ashr_i32 s20, s17, 31
	s_add_u32 s22, s11, s20
	s_mov_b32 s21, s20
	s_addc_u32 s23, s17, s20
	s_xor_b64 s[22:23], s[22:23], s[20:21]
	s_mul_i32 s25, s22, s15
	s_mul_hi_u32 s26, s22, s24
	s_mul_hi_u32 s17, s22, s15
	;; [unrolled: 1-line block ×3, first 2 shown]
	s_mul_i32 s24, s23, s24
	s_add_u32 s25, s26, s25
	s_addc_u32 s17, 0, s17
	s_mul_hi_u32 s27, s23, s15
	s_add_u32 s24, s25, s24
	s_mul_i32 s15, s23, s15
	s_addc_u32 s17, s17, s28
	s_addc_u32 s24, s27, 0
	s_add_u32 s15, s17, s15
	s_addc_u32 s17, 0, s24
	s_mul_hi_u32 s24, s18, s15
	s_mul_i32 s25, s18, s17
	s_mul_i32 s26, s19, s15
	s_add_i32 s24, s24, s25
	s_mul_i32 s25, s18, s15
	s_add_i32 s24, s24, s26
	s_sub_i32 s26, s23, s24
	s_sub_u32 s22, s22, s25
	s_cselect_b32 s25, -1, 0
	s_cmp_lg_u32 s25, 0
	s_subb_u32 s26, s26, s19
	s_sub_u32 s27, s22, s18
	s_cselect_b32 s28, -1, 0
	s_cmp_lg_u32 s28, 0
	s_subb_u32 s26, s26, 0
	s_cmp_ge_u32 s26, s19
	s_cselect_b32 s28, -1, 0
	s_cmp_ge_u32 s27, s18
	s_cselect_b32 s27, -1, 0
	s_cmp_eq_u32 s26, s19
	s_cselect_b32 s26, s27, s28
	s_add_u32 s27, s15, 1
	s_addc_u32 s28, s17, 0
	s_add_u32 s29, s15, 2
	s_addc_u32 s30, s17, 0
	s_cmp_lg_u32 s26, 0
	s_cselect_b32 s26, s29, s27
	s_cselect_b32 s27, s30, s28
	s_cmp_lg_u32 s25, 0
	s_subb_u32 s23, s23, s24
	s_cmp_ge_u32 s23, s19
	s_cselect_b32 s24, -1, 0
	s_cmp_ge_u32 s22, s18
	s_cselect_b32 s18, -1, 0
	s_cmp_eq_u32 s23, s19
	s_cselect_b32 s18, s18, s24
	s_cmp_lg_u32 s18, 0
	s_cselect_b32 s19, s27, s17
	s_cselect_b32 s18, s26, s15
	s_xor_b64 s[20:21], s[20:21], 0
	s_xor_b64 s[18:19], s[18:19], s[20:21]
	s_sub_u32 s18, s18, s20
	s_andn2_b32 vcc_lo, exec_lo, s16
	s_cbranch_vccnz .LBB26_6
.LBB26_5:
	v_cvt_f32_u32_e32 v1, s9
	s_sub_i32 s16, 0, s9
	v_rcp_iflag_f32_e32 v1, v1
	v_mul_f32_e32 v1, 0x4f7ffffe, v1
	v_cvt_u32_f32_e32 v1, v1
	s_waitcnt lgkmcnt(0)
	v_readfirstlane_b32 s15, v1
	s_mul_i32 s16, s16, s15
	s_mul_hi_u32 s16, s15, s16
	s_add_i32 s15, s15, s16
	s_mul_hi_u32 s15, s11, s15
	s_mul_i32 s16, s15, s9
	s_sub_i32 s11, s11, s16
	s_add_i32 s16, s15, 1
	s_sub_i32 s17, s11, s9
	s_cmp_ge_u32 s11, s9
	s_cselect_b32 s15, s16, s15
	s_cselect_b32 s11, s17, s11
	s_add_i32 s16, s15, 1
	s_cmp_ge_u32 s11, s9
	s_cselect_b32 s18, s16, s15
.LBB26_6:
	s_cmp_eq_u32 s10, s18
	s_waitcnt lgkmcnt(0)
	s_mul_hi_u32 s11, s10, s12
	s_cselect_b32 s15, -1, 0
	s_add_i32 s11, s11, s10
	s_lshr_b32 s11, s11, s13
	s_mul_i32 s16, s11, s14
	s_cmp_eq_u32 s16, s10
	s_mul_hi_u32 s16, s18, s12
	s_cselect_b32 s17, -1, 0
	s_add_i32 s16, s16, s18
	s_lshr_b32 s16, s16, s13
	s_cmp_eq_u32 s11, s16
	s_mul_i32 s16, s16, s14
	s_cselect_b32 s19, -1, 0
	s_cmp_lg_u32 s16, s18
	s_cselect_b32 s16, -1, 0
	s_or_b32 s15, s15, s17
	s_and_b32 s16, s19, s16
	s_or_b32 s15, s15, s16
	s_and_b32 vcc_lo, exec_lo, s15
	s_cbranch_vccnz .LBB26_24
; %bb.7:
	s_clause 0x1
	s_load_dwordx8 s[20:27], s[4:5], 0x20
	s_load_dword s16, s[4:5], 0x40
	s_waitcnt lgkmcnt(0)
	s_mul_hi_u32 s15, s10, s20
	s_add_i32 s15, s15, s10
	s_lshr_b32 s15, s15, s21
	s_mul_i32 s17, s15, s22
	s_sub_i32 s17, s10, s17
	s_mul_hi_u32 s18, s17, s23
	s_add_i32 s18, s17, s18
	s_lshr_b32 s22, s18, s24
	s_mul_i32 s18, s22, s25
	s_sub_i32 s17, s17, s18
	s_mul_hi_u32 s18, s17, s26
	s_add_i32 s18, s17, s18
	s_lshr_b32 s18, s18, s27
	s_mul_i32 s16, s18, s16
	s_lshl_b32 s24, s18, 2
	s_sub_i32 s16, s17, s16
	s_mul_hi_u32 s17, s16, s12
	s_add_i32 s16, s16, s17
	s_lshr_b32 s23, s16, s13
	s_lshl_b32 s16, s23, 2
	s_add_i32 s16, s16, s7
	s_cmp_lt_i32 s16, s0
	s_cselect_b32 s16, -1, 0
	s_add_i32 s17, s24, s8
	s_cmp_lt_i32 s17, s2
	s_cselect_b32 s17, -1, 0
	s_and_b32 s16, s16, s17
	s_andn2_b32 vcc_lo, exec_lo, s16
	s_cbranch_vccnz .LBB26_24
; %bb.8:
	s_load_dwordx4 s[16:19], s[4:5], 0x0
	s_mov_b32 s4, 0
	s_lshl_b32 s20, s9, 6
	s_mov_b32 s21, s4
	s_lshl_b32 s5, s7, 2
	s_lshl_b64 s[20:21], s[20:21], 2
	s_mul_i32 s0, s15, s0
	s_add_i32 s15, s5, s8
	s_mul_i32 s22, s22, s2
	v_cvt_f32_u32_e32 v4, s9
	v_rcp_iflag_f32_e32 v4, v4
	s_waitcnt lgkmcnt(0)
	s_add_u32 s20, s18, s20
	s_addc_u32 s21, s19, s21
	s_add_i32 s0, s0, s7
	s_mul_i32 s0, s0, s1
	s_mul_i32 s1, s1, s23
	s_add_i32 s0, s0, s8
	s_lshl_b32 s1, s1, 8
	s_add_i32 s0, s0, s22
	v_mul_f32_e32 v4, 0x4f7ffffe, v4
	s_add_i32 s0, s0, s24
	s_lshl_b32 s0, s0, 6
	s_add_i32 s1, s1, s0
	s_lshl_b32 s0, s6, 4
	v_or_b32_e32 v1, s1, v0
	s_add_i32 s0, s15, s0
	v_lshl_or_b32 v0, s15, 6, v0
	s_ashr_i32 s1, s0, 31
	v_cvt_u32_f32_e32 v4, v4
	v_ashrrev_i32_e32 v2, 31, v1
	s_lshl_b64 s[0:1], s[0:1], 3
	s_add_u32 s0, s18, s0
	s_addc_u32 s1, s19, s1
	v_lshlrev_b64 v[1:2], 2, v[1:2]
	s_load_dwordx2 s[0:1], s[0:1], 0x0
	s_add_i32 s8, s6, -1
	s_sub_i32 s2, 0, s9
	v_add_co_u32 v1, vcc_lo, s16, v1
	v_add_co_ci_u32_e64 v2, null, s17, v2, vcc_lo
	global_load_dword v3, v[1:2], off
	s_waitcnt lgkmcnt(0)
	v_mov_b32_e32 v5, s1
	v_mov_b32_e32 v6, s0
.LBB26_9:                               ; =>This Inner Loop Header: Depth=1
	s_mul_hi_i32 s5, s8, s3
	s_mul_i32 s6, s8, s3
	s_cmp_lg_u64 s[4:5], 0
	s_mov_b32 s7, -1
                                        ; implicit-def: $sgpr0_sgpr1
	s_cbranch_scc0 .LBB26_11
; %bb.10:                               ;   in Loop: Header=BB26_9 Depth=1
	s_add_u32 s0, s9, 0
	s_addc_u32 s1, 0, 0
	s_xor_b64 s[0:1], s[0:1], 0
	v_cvt_f32_u32_e32 v7, s0
	v_cvt_f32_u32_e32 v8, s1
	s_sub_u32 s17, 0, s0
	s_subb_u32 s22, 0, s1
	v_fmac_f32_e32 v7, 0x4f800000, v8
	v_rcp_f32_e32 v7, v7
	v_mul_f32_e32 v7, 0x5f7ffffc, v7
	v_mul_f32_e32 v8, 0x2f800000, v7
	v_trunc_f32_e32 v8, v8
	v_fmac_f32_e32 v7, 0xcf800000, v8
	v_cvt_u32_f32_e32 v8, v8
	v_cvt_u32_f32_e32 v7, v7
	v_readfirstlane_b32 s7, v8
	v_readfirstlane_b32 s16, v7
	s_mul_i32 s23, s17, s7
	s_mul_hi_u32 s25, s17, s16
	s_mul_i32 s24, s22, s16
	s_add_i32 s23, s25, s23
	s_mul_i32 s26, s17, s16
	s_add_i32 s23, s23, s24
	s_mul_hi_u32 s25, s16, s26
	s_mul_i32 s28, s16, s23
	s_mul_hi_u32 s27, s7, s26
	s_mul_i32 s24, s7, s26
	s_mul_hi_u32 s26, s16, s23
	s_add_u32 s25, s25, s28
	s_addc_u32 s26, 0, s26
	s_mul_hi_u32 s29, s7, s23
	s_add_u32 s24, s25, s24
	s_mul_i32 s23, s7, s23
	s_addc_u32 s24, s26, s27
	s_addc_u32 s25, s29, 0
	s_add_u32 s23, s24, s23
	s_addc_u32 s24, 0, s25
	s_add_u32 s16, s16, s23
	s_cselect_b32 s23, -1, 0
	s_mul_hi_u32 s25, s17, s16
	s_cmp_lg_u32 s23, 0
	s_mul_i32 s23, s17, s16
	s_addc_u32 s7, s7, s24
	s_mul_i32 s22, s22, s16
	s_mul_i32 s17, s17, s7
	s_mul_hi_u32 s24, s16, s23
	s_add_i32 s17, s25, s17
	s_mul_hi_u32 s25, s7, s23
	s_add_i32 s17, s17, s22
	s_mul_i32 s22, s7, s23
	s_mul_i32 s27, s16, s17
	s_mul_hi_u32 s26, s16, s17
	s_add_u32 s24, s24, s27
	s_addc_u32 s26, 0, s26
	s_mul_hi_u32 s23, s7, s17
	s_add_u32 s22, s24, s22
	s_mul_i32 s17, s7, s17
	s_addc_u32 s22, s26, s25
	s_addc_u32 s23, s23, 0
	s_add_u32 s17, s22, s17
	s_addc_u32 s22, 0, s23
	s_add_u32 s24, s16, s17
	s_cselect_b32 s16, -1, 0
	s_cmp_lg_u32 s16, 0
	s_addc_u32 s7, s7, s22
	s_ashr_i32 s16, s5, 31
	s_add_u32 s22, s6, s16
	s_mov_b32 s17, s16
	s_addc_u32 s23, s5, s16
	s_xor_b64 s[22:23], s[22:23], s[16:17]
	s_mul_i32 s25, s22, s7
	s_mul_hi_u32 s26, s22, s24
	s_mul_hi_u32 s5, s22, s7
	;; [unrolled: 1-line block ×3, first 2 shown]
	s_mul_i32 s24, s23, s24
	s_add_u32 s25, s26, s25
	s_addc_u32 s5, 0, s5
	s_mul_hi_u32 s27, s23, s7
	s_add_u32 s24, s25, s24
	s_mul_i32 s7, s23, s7
	s_addc_u32 s5, s5, s28
	s_addc_u32 s24, s27, 0
	s_add_u32 s5, s5, s7
	s_addc_u32 s7, 0, s24
	s_mul_hi_u32 s24, s0, s5
	s_mul_i32 s25, s0, s7
	s_mul_i32 s26, s1, s5
	s_add_i32 s24, s24, s25
	s_mul_i32 s25, s0, s5
	s_add_i32 s24, s24, s26
	s_sub_i32 s26, s23, s24
	s_sub_u32 s22, s22, s25
	s_cselect_b32 s25, -1, 0
	s_cmp_lg_u32 s25, 0
	s_subb_u32 s26, s26, s1
	s_sub_u32 s27, s22, s0
	s_cselect_b32 s28, -1, 0
	s_cmp_lg_u32 s28, 0
	s_subb_u32 s26, s26, 0
	s_cmp_ge_u32 s26, s1
	s_cselect_b32 s28, -1, 0
	s_cmp_ge_u32 s27, s0
	s_cselect_b32 s27, -1, 0
	s_cmp_eq_u32 s26, s1
	s_cselect_b32 s26, s27, s28
	s_add_u32 s27, s5, 1
	s_addc_u32 s28, s7, 0
	s_add_u32 s29, s5, 2
	s_addc_u32 s30, s7, 0
	s_cmp_lg_u32 s26, 0
	s_cselect_b32 s26, s29, s27
	s_cselect_b32 s27, s30, s28
	s_cmp_lg_u32 s25, 0
	s_subb_u32 s23, s23, s24
	s_cmp_ge_u32 s23, s1
	s_cselect_b32 s24, -1, 0
	s_cmp_ge_u32 s22, s0
	s_cselect_b32 s0, -1, 0
	s_cmp_eq_u32 s23, s1
	s_cselect_b32 s0, s0, s24
	s_cmp_lg_u32 s0, 0
	s_cselect_b32 s1, s27, s7
	s_cselect_b32 s0, s26, s5
	s_xor_b64 s[16:17], s[16:17], 0
	s_mov_b32 s7, 0
	s_xor_b64 s[0:1], s[0:1], s[16:17]
	s_sub_u32 s0, s0, s16
.LBB26_11:                              ;   in Loop: Header=BB26_9 Depth=1
	s_andn2_b32 vcc_lo, exec_lo, s7
	s_cbranch_vccnz .LBB26_13
; %bb.12:                               ;   in Loop: Header=BB26_9 Depth=1
	v_readfirstlane_b32 s0, v4
	s_mul_i32 s1, s2, s0
	s_mul_hi_u32 s1, s0, s1
	s_add_i32 s0, s0, s1
	s_mul_hi_u32 s0, s6, s0
	s_mul_i32 s1, s0, s9
	s_add_i32 s5, s0, 1
	s_sub_i32 s1, s6, s1
	s_sub_i32 s6, s1, s9
	s_cmp_ge_u32 s1, s9
	s_cselect_b32 s0, s5, s0
	s_cselect_b32 s1, s6, s1
	s_add_i32 s5, s0, 1
	s_cmp_ge_u32 s1, s9
	s_cselect_b32 s0, s5, s0
.LBB26_13:                              ;   in Loop: Header=BB26_9 Depth=1
	s_cmp_lg_u32 s10, s0
	s_mov_b32 s6, -1
                                        ; implicit-def: $sgpr5
                                        ; implicit-def: $vgpr8
                                        ; implicit-def: $vgpr7
                                        ; implicit-def: $vgpr9
                                        ; implicit-def: $sgpr1
                                        ; implicit-def: $sgpr16
	s_cbranch_scc0 .LBB26_18
; %bb.14:                               ;   in Loop: Header=BB26_9 Depth=1
	s_add_i32 s1, s8, s9
	s_mov_b32 s7, s4
	s_lshl_b32 s1, s1, 4
	s_mov_b32 s16, s10
	s_add_i32 s6, s1, s15
	s_mul_hi_u32 s1, s0, s12
	s_lshl_b64 s[6:7], s[6:7], 3
	s_add_u32 s6, s18, s6
	s_addc_u32 s7, s19, s7
	s_add_i32 s1, s1, s0
	s_lshr_b32 s1, s1, s13
	s_mul_i32 s5, s1, s14
	s_cmp_eq_u32 s5, s0
	s_cselect_b32 s5, -1, 0
	s_cmp_lt_u32 s1, s11
	s_cselect_b32 s1, -1, 0
	s_or_b32 s1, s1, s5
	s_mov_b32 s5, -1
	s_and_b32 vcc_lo, exec_lo, s1
	s_mov_b32 s1, s8
	s_cbranch_vccnz .LBB26_16
; %bb.15:                               ;   in Loop: Header=BB26_9 Depth=1
	s_add_i32 s1, s8, -1
	s_mov_b32 s5, 0
	s_mov_b32 s16, s0
.LBB26_16:                              ;   in Loop: Header=BB26_9 Depth=1
	v_lshl_add_u32 v7, s8, 10, v0
	s_load_dwordx2 s[6:7], s[6:7], 0x0
	v_ashrrev_i32_e32 v8, 31, v7
	v_lshlrev_b64 v[7:8], 2, v[7:8]
	v_add_co_u32 v7, vcc_lo, s20, v7
	v_add_co_ci_u32_e64 v8, null, s21, v8, vcc_lo
	s_waitcnt lgkmcnt(0)
	v_max_f32_e64 v9, s6, s6
	global_load_dword v8, v[7:8], off
	v_max_f32_e32 v7, v6, v6
	v_max_f32_e32 v7, v7, v9
	v_sub_f32_e32 v9, s6, v7
	v_sub_f32_e32 v10, v6, v7
	v_mul_f32_e32 v11, 0x3fb8aa3b, v9
	v_mul_f32_e32 v12, 0x3fb8aa3b, v10
	v_cmp_ngt_f32_e32 vcc_lo, 0xc2ce8ed0, v9
	v_fma_f32 v13, 0x3fb8aa3b, v9, -v11
	v_rndne_f32_e32 v14, v11
	v_fma_f32 v15, 0x3fb8aa3b, v10, -v12
	v_rndne_f32_e32 v16, v12
	v_fmac_f32_e32 v13, 0x32a5705f, v9
	v_sub_f32_e32 v11, v11, v14
	v_fmac_f32_e32 v15, 0x32a5705f, v10
	v_sub_f32_e32 v12, v12, v16
	v_add_f32_e32 v11, v11, v13
	v_cvt_i32_f32_e32 v13, v14
	v_add_f32_e32 v12, v12, v15
	v_cvt_i32_f32_e32 v14, v16
	v_exp_f32_e32 v11, v11
	v_exp_f32_e32 v12, v12
	v_ldexp_f32 v11, v11, v13
	v_ldexp_f32 v12, v12, v14
	v_cndmask_b32_e32 v11, 0, v11, vcc_lo
	v_cmp_ngt_f32_e32 vcc_lo, 0xc2ce8ed0, v10
	v_cndmask_b32_e32 v12, 0, v12, vcc_lo
	v_cmp_nlt_f32_e32 vcc_lo, 0x42b17218, v9
	v_cndmask_b32_e32 v11, 0x7f800000, v11, vcc_lo
	v_cmp_nlt_f32_e32 vcc_lo, 0x42b17218, v10
	v_cndmask_b32_e32 v12, 0x7f800000, v12, vcc_lo
	v_cmp_le_f32_e32 vcc_lo, 0xc1a00000, v9
	v_cndmask_b32_e32 v9, 0, v11, vcc_lo
	v_cmp_le_f32_e32 vcc_lo, 0xc1a00000, v10
	v_cndmask_b32_e32 v10, 0, v12, vcc_lo
	s_waitcnt vmcnt(0)
	v_mul_f32_e32 v8, v8, v9
	v_mul_f32_e32 v9, s7, v9
	v_fmac_f32_e32 v8, v3, v10
	v_fmac_f32_e32 v9, v5, v10
	s_cbranch_execz .LBB26_19
.LBB26_17:                              ;   in Loop: Header=BB26_9 Depth=1
	s_andn2_b32 vcc_lo, exec_lo, s5
	s_cbranch_vccnz .LBB26_20
	s_branch .LBB26_23
.LBB26_18:                              ;   in Loop: Header=BB26_9 Depth=1
	s_andn2_b32 vcc_lo, exec_lo, s6
	s_cbranch_vccnz .LBB26_17
.LBB26_19:                              ;   in Loop: Header=BB26_9 Depth=1
	v_mov_b32_e32 v9, v5
	v_mov_b32_e32 v7, v6
	s_waitcnt vmcnt(0)
	v_mov_b32_e32 v8, v3
	s_add_i32 s1, s8, -1
	s_mov_b32 s16, s10
	s_cbranch_execz .LBB26_23
.LBB26_20:                              ;   in Loop: Header=BB26_9 Depth=1
	v_mov_b32_e32 v5, v9
	v_mov_b32_e32 v6, v7
	s_waitcnt vmcnt(0)
	v_mov_b32_e32 v3, v8
	s_mov_b32 s10, s16
	s_mov_b32 s8, s1
	s_branch .LBB26_9
.LBB26_21:
                                        ; implicit-def: $sgpr10_sgpr11
	s_load_dwordx4 s[12:15], s[4:5], 0x44
	s_branch .LBB26_2
.LBB26_22:
                                        ; implicit-def: $sgpr18_sgpr19
	s_branch .LBB26_5
.LBB26_23:
	v_div_scale_f32 v0, null, v9, v9, v8
	s_waitcnt vmcnt(0)
	v_rcp_f32_e32 v3, v0
	v_fma_f32 v4, -v0, v3, 1.0
	v_fmac_f32_e32 v3, v4, v3
	v_div_scale_f32 v4, vcc_lo, v8, v9, v8
	v_mul_f32_e32 v5, v4, v3
	v_fma_f32 v6, -v0, v5, v4
	v_fmac_f32_e32 v5, v6, v3
	v_fma_f32 v0, -v0, v5, v4
	v_div_fmas_f32 v0, v0, v3, v5
	v_div_fixup_f32 v0, v0, v9, v8
	global_store_dword v[1:2], v0, off
.LBB26_24:
	s_endpgm
	.section	.rodata,"a",@progbits
	.p2align	6, 0x0
	.amdhsa_kernel _ZL33flash_attn_stream_k_fixup_generalILi64ELi4ELi4EEvPfPK15HIP_vector_typeIfLj2EEiiiiS1_IjLj3EES5_S5_S5_
		.amdhsa_group_segment_fixed_size 0
		.amdhsa_private_segment_fixed_size 0
		.amdhsa_kernarg_size 336
		.amdhsa_user_sgpr_count 6
		.amdhsa_user_sgpr_private_segment_buffer 1
		.amdhsa_user_sgpr_dispatch_ptr 0
		.amdhsa_user_sgpr_queue_ptr 0
		.amdhsa_user_sgpr_kernarg_segment_ptr 1
		.amdhsa_user_sgpr_dispatch_id 0
		.amdhsa_user_sgpr_flat_scratch_init 0
		.amdhsa_user_sgpr_private_segment_size 0
		.amdhsa_wavefront_size32 1
		.amdhsa_uses_dynamic_stack 0
		.amdhsa_system_sgpr_private_segment_wavefront_offset 0
		.amdhsa_system_sgpr_workgroup_id_x 1
		.amdhsa_system_sgpr_workgroup_id_y 1
		.amdhsa_system_sgpr_workgroup_id_z 1
		.amdhsa_system_sgpr_workgroup_info 0
		.amdhsa_system_vgpr_workitem_id 0
		.amdhsa_next_free_vgpr 17
		.amdhsa_next_free_sgpr 31
		.amdhsa_reserve_vcc 1
		.amdhsa_reserve_flat_scratch 0
		.amdhsa_float_round_mode_32 0
		.amdhsa_float_round_mode_16_64 0
		.amdhsa_float_denorm_mode_32 3
		.amdhsa_float_denorm_mode_16_64 3
		.amdhsa_dx10_clamp 1
		.amdhsa_ieee_mode 1
		.amdhsa_fp16_overflow 0
		.amdhsa_workgroup_processor_mode 1
		.amdhsa_memory_ordered 1
		.amdhsa_forward_progress 1
		.amdhsa_shared_vgpr_count 0
		.amdhsa_exception_fp_ieee_invalid_op 0
		.amdhsa_exception_fp_denorm_src 0
		.amdhsa_exception_fp_ieee_div_zero 0
		.amdhsa_exception_fp_ieee_overflow 0
		.amdhsa_exception_fp_ieee_underflow 0
		.amdhsa_exception_fp_ieee_inexact 0
		.amdhsa_exception_int_div_zero 0
	.end_amdhsa_kernel
	.section	.text._ZL33flash_attn_stream_k_fixup_generalILi64ELi4ELi4EEvPfPK15HIP_vector_typeIfLj2EEiiiiS1_IjLj3EES5_S5_S5_,"axG",@progbits,_ZL33flash_attn_stream_k_fixup_generalILi64ELi4ELi4EEvPfPK15HIP_vector_typeIfLj2EEiiiiS1_IjLj3EES5_S5_S5_,comdat
.Lfunc_end26:
	.size	_ZL33flash_attn_stream_k_fixup_generalILi64ELi4ELi4EEvPfPK15HIP_vector_typeIfLj2EEiiiiS1_IjLj3EES5_S5_S5_, .Lfunc_end26-_ZL33flash_attn_stream_k_fixup_generalILi64ELi4ELi4EEvPfPK15HIP_vector_typeIfLj2EEiiiiS1_IjLj3EES5_S5_S5_
                                        ; -- End function
	.set _ZL33flash_attn_stream_k_fixup_generalILi64ELi4ELi4EEvPfPK15HIP_vector_typeIfLj2EEiiiiS1_IjLj3EES5_S5_S5_.num_vgpr, 17
	.set _ZL33flash_attn_stream_k_fixup_generalILi64ELi4ELi4EEvPfPK15HIP_vector_typeIfLj2EEiiiiS1_IjLj3EES5_S5_S5_.num_agpr, 0
	.set _ZL33flash_attn_stream_k_fixup_generalILi64ELi4ELi4EEvPfPK15HIP_vector_typeIfLj2EEiiiiS1_IjLj3EES5_S5_S5_.numbered_sgpr, 31
	.set _ZL33flash_attn_stream_k_fixup_generalILi64ELi4ELi4EEvPfPK15HIP_vector_typeIfLj2EEiiiiS1_IjLj3EES5_S5_S5_.num_named_barrier, 0
	.set _ZL33flash_attn_stream_k_fixup_generalILi64ELi4ELi4EEvPfPK15HIP_vector_typeIfLj2EEiiiiS1_IjLj3EES5_S5_S5_.private_seg_size, 0
	.set _ZL33flash_attn_stream_k_fixup_generalILi64ELi4ELi4EEvPfPK15HIP_vector_typeIfLj2EEiiiiS1_IjLj3EES5_S5_S5_.uses_vcc, 1
	.set _ZL33flash_attn_stream_k_fixup_generalILi64ELi4ELi4EEvPfPK15HIP_vector_typeIfLj2EEiiiiS1_IjLj3EES5_S5_S5_.uses_flat_scratch, 0
	.set _ZL33flash_attn_stream_k_fixup_generalILi64ELi4ELi4EEvPfPK15HIP_vector_typeIfLj2EEiiiiS1_IjLj3EES5_S5_S5_.has_dyn_sized_stack, 0
	.set _ZL33flash_attn_stream_k_fixup_generalILi64ELi4ELi4EEvPfPK15HIP_vector_typeIfLj2EEiiiiS1_IjLj3EES5_S5_S5_.has_recursion, 0
	.set _ZL33flash_attn_stream_k_fixup_generalILi64ELi4ELi4EEvPfPK15HIP_vector_typeIfLj2EEiiiiS1_IjLj3EES5_S5_S5_.has_indirect_call, 0
	.section	.AMDGPU.csdata,"",@progbits
; Kernel info:
; codeLenInByte = 2944
; TotalNumSgprs: 33
; NumVgprs: 17
; ScratchSize: 0
; MemoryBound: 0
; FloatMode: 240
; IeeeMode: 1
; LDSByteSize: 0 bytes/workgroup (compile time only)
; SGPRBlocks: 0
; VGPRBlocks: 2
; NumSGPRsForWavesPerEU: 33
; NumVGPRsForWavesPerEU: 17
; Occupancy: 16
; WaveLimiterHint : 0
; COMPUTE_PGM_RSRC2:SCRATCH_EN: 0
; COMPUTE_PGM_RSRC2:USER_SGPR: 6
; COMPUTE_PGM_RSRC2:TRAP_HANDLER: 0
; COMPUTE_PGM_RSRC2:TGID_X_EN: 1
; COMPUTE_PGM_RSRC2:TGID_Y_EN: 1
; COMPUTE_PGM_RSRC2:TGID_Z_EN: 1
; COMPUTE_PGM_RSRC2:TIDIG_COMP_CNT: 0
	.section	.text._ZL15flash_attn_tileILi64ELi64ELi2ELi4ELb0EEvPKcS1_S1_S1_S1_PKiPfP15HIP_vector_typeIfLj2EEffffjfiS5_IjLj3EEiiiiiiiiiiiliiliiiiil,"axG",@progbits,_ZL15flash_attn_tileILi64ELi64ELi2ELi4ELb0EEvPKcS1_S1_S1_S1_PKiPfP15HIP_vector_typeIfLj2EEffffjfiS5_IjLj3EEiiiiiiiiiiiliiliiiiil,comdat
	.globl	_ZL15flash_attn_tileILi64ELi64ELi2ELi4ELb0EEvPKcS1_S1_S1_S1_PKiPfP15HIP_vector_typeIfLj2EEffffjfiS5_IjLj3EEiiiiiiiiiiiliiliiiiil ; -- Begin function _ZL15flash_attn_tileILi64ELi64ELi2ELi4ELb0EEvPKcS1_S1_S1_S1_PKiPfP15HIP_vector_typeIfLj2EEffffjfiS5_IjLj3EEiiiiiiiiiiiliiliiiiil
	.p2align	8
	.type	_ZL15flash_attn_tileILi64ELi64ELi2ELi4ELb0EEvPKcS1_S1_S1_S1_PKiPfP15HIP_vector_typeIfLj2EEffffjfiS5_IjLj3EEiiiiiiiiiiiliiliiiiil,@function
_ZL15flash_attn_tileILi64ELi64ELi2ELi4ELb0EEvPKcS1_S1_S1_S1_PKiPfP15HIP_vector_typeIfLj2EEffffjfiS5_IjLj3EEiiiiiiiiiiiliiliiiiil: ; @_ZL15flash_attn_tileILi64ELi64ELi2ELi4ELb0EEvPKcS1_S1_S1_S1_PKiPfP15HIP_vector_typeIfLj2EEffffjfiS5_IjLj3EEiiiiiiiiiiiliiliiiiil
; %bb.0:
	s_clause 0x1
	s_load_dwordx4 s[24:27], s[4:5], 0x5c
	s_load_dwordx2 s[30:31], s[4:5], 0x80
	s_mov_b32 s28, s7
	s_mov_b64 s[34:35], 0
	s_waitcnt lgkmcnt(0)
	s_ashr_i32 s0, s27, 31
	s_lshr_b32 s0, s0, 30
	s_add_i32 s0, s27, s0
	s_ashr_i32 s0, s0, 2
	v_cvt_f32_u32_e32 v2, s0
	s_sub_i32 s2, 0, s0
	v_rcp_iflag_f32_e32 v2, v2
	v_mul_f32_e32 v2, 0x4f7ffffe, v2
	v_cvt_u32_f32_e32 v2, v2
	v_readfirstlane_b32 s1, v2
	s_mul_i32 s2, s2, s1
	s_mul_hi_u32 s2, s1, s2
	s_add_i32 s1, s1, s2
	s_mul_hi_u32 s1, s8, s1
	s_mul_i32 s2, s1, s0
	s_add_i32 s3, s1, 1
	s_sub_i32 s2, s8, s2
	s_sub_i32 s7, s2, s0
	s_cmp_ge_u32 s2, s0
	s_cselect_b32 s1, s3, s1
	s_cselect_b32 s2, s7, s2
	s_add_i32 s3, s1, 1
	s_cmp_ge_u32 s2, s0
	s_cselect_b32 s29, s3, s1
	s_abs_i32 s0, s31
	s_lshl_b32 s3, s8, 2
	v_cvt_f32_u32_e32 v2, s0
	s_sub_i32 s2, 0, s0
	s_abs_i32 s8, s27
	s_mul_i32 s7, s29, s27
	v_rcp_iflag_f32_e32 v2, v2
	s_sub_i32 s33, s3, s7
	v_mul_f32_e32 v2, 0x4f7ffffe, v2
	v_cvt_u32_f32_e32 v2, v2
	v_readfirstlane_b32 s1, v2
	s_mul_i32 s2, s2, s1
	s_mul_hi_u32 s2, s1, s2
	s_add_i32 s1, s1, s2
	s_xor_b32 s2, s27, s31
	s_mul_hi_u32 s1, s8, s1
	s_ashr_i32 s2, s2, 31
	s_mul_i32 s3, s1, s0
	s_add_i32 s7, s1, 1
	s_sub_i32 s3, s8, s3
	s_sub_i32 s8, s3, s0
	s_cmp_ge_u32 s3, s0
	s_cselect_b32 s1, s7, s1
	s_cselect_b32 s3, s8, s3
	s_add_i32 s7, s1, 1
	s_cmp_ge_u32 s3, s0
	s_clause 0x1
	s_load_dwordx16 s[8:23], s[4:5], 0x0
	s_load_dwordx2 s[36:37], s[4:5], 0xb8
	s_cselect_b32 s0, s7, s1
	s_xor_b32 s0, s0, s2
	s_sub_i32 s31, s0, s2
	s_abs_i32 s7, s31
	v_cvt_f32_u32_e32 v2, s7
	v_rcp_iflag_f32_e32 v2, v2
	s_waitcnt lgkmcnt(0)
	s_cmp_eq_u64 s[14:15], 0
	v_mul_f32_e32 v2, 0x4f7ffffe, v2
	v_cvt_u32_f32_e32 v2, v2
	v_readfirstlane_b32 s38, v2
	s_cbranch_scc1 .LBB27_2
; %bb.1:
	s_abs_i32 s2, s36
	s_abs_i32 s3, s29
	v_cvt_f32_u32_e32 v2, s2
	s_sub_i32 s1, 0, s2
	v_rcp_iflag_f32_e32 v2, v2
	v_mul_f32_e32 v2, 0x4f7ffffe, v2
	v_cvt_u32_f32_e32 v2, v2
	v_readfirstlane_b32 s0, v2
	s_mul_i32 s1, s1, s0
	s_mul_hi_u32 s1, s0, s1
	s_add_i32 s0, s0, s1
	s_mul_hi_u32 s34, s3, s0
	s_load_dwordx2 s[0:1], s[4:5], 0xc8
	s_mul_i32 s34, s34, s2
	s_sub_i32 s3, s3, s34
	s_ashr_i32 s34, s29, 31
	s_sub_i32 s35, s3, s2
	s_cmp_ge_u32 s3, s2
	s_cselect_b32 s3, s35, s3
	s_sub_i32 s35, s3, s2
	s_cmp_ge_u32 s3, s2
	s_cselect_b32 s2, s35, s3
	s_xor_b32 s2, s2, s34
	s_sub_i32 s2, s2, s34
	s_ashr_i32 s3, s2, 31
	s_waitcnt lgkmcnt(0)
	s_mul_hi_u32 s34, s0, s2
	s_mul_i32 s3, s0, s3
	s_mul_i32 s1, s1, s2
	s_add_i32 s3, s34, s3
	s_mul_i32 s0, s0, s2
	s_add_i32 s3, s3, s1
	s_add_u32 s34, s14, s0
	s_addc_u32 s35, s15, s3
.LBB27_2:
	v_lshrrev_b32_e32 v2, 1, v1
	s_load_dwordx4 s[0:3], s[4:5], 0x70
	v_lshlrev_b32_e32 v5, 1, v1
	v_lshl_add_u32 v33, s6, 1, v2
	v_or_b32_e32 v11, 1, v5
	v_and_b32_e32 v69, 2, v5
	v_mul_hi_u32 v2, s24, v33
	v_and_b32_e32 v9, 3, v11
	v_add_nc_u32_e32 v2, v33, v2
	s_waitcnt lgkmcnt(0)
	s_mul_i32 s3, s29, s2
	s_mul_i32 s14, s33, s1
	v_lshrrev_b32_e32 v2, s25, v2
	s_ashr_i32 s15, s3, 31
	s_add_u32 s3, s8, s3
	s_addc_u32 s8, s9, s15
	s_ashr_i32 s9, s14, 31
	v_mul_lo_u32 v2, v2, s26
	s_add_u32 s14, s3, s14
	s_mov_b32 s2, s1
	s_addc_u32 s15, s8, s9
	s_ashr_i32 s3, s1, 31
	s_ashr_i32 s1, s0, 31
	s_lshr_b64 s[8:9], s[0:1], 2
	v_sub_nc_u32_e32 v2, v33, v2
	s_lshr_b32 s1, s1, 2
	s_lshr_b32 s0, s3, 2
	v_mul_lo_u32 v10, s0, v69
	v_mad_u64_u32 v[3:4], null, s8, v2, 0
	s_lshr_b64 s[8:9], s[2:3], 2
	s_cmp_eq_u64 s[18:19], 0
	v_mad_u64_u32 v[7:8], null, s8, v69, 0
	v_mad_u64_u32 v[4:5], null, s1, v2, v[4:5]
	;; [unrolled: 1-line block ×3, first 2 shown]
	v_or_b32_e32 v8, v8, v10
	v_lshlrev_b64 v[3:4], 2, v[3:4]
	v_mad_u64_u32 v[9:10], null, s0, v9, v[6:7]
	v_lshlrev_b32_e32 v10, 3, v0
	v_lshlrev_b64 v[7:8], 2, v[7:8]
	v_add_co_u32 v3, vcc_lo, s14, v3
	v_add_co_ci_u32_e64 v4, null, s15, v4, vcc_lo
	v_mov_b32_e32 v6, v9
	v_add_co_u32 v9, vcc_lo, v3, v10
	v_add_co_ci_u32_e64 v10, null, 0, v4, vcc_lo
	v_lshlrev_b64 v[3:4], 2, v[5:6]
	v_add_co_u32 v5, vcc_lo, v9, v7
	v_add_co_ci_u32_e64 v6, null, v10, v8, vcc_lo
	s_load_dword s0, s[4:5], 0x40
	v_add_co_u32 v3, vcc_lo, v9, v3
	v_add_co_ci_u32_e64 v4, null, v10, v4, vcc_lo
	s_clause 0x1
	global_load_dwordx2 v[5:6], v[5:6], off
	global_load_dwordx2 v[7:8], v[3:4], off
	v_lshl_or_b32 v4, v0, 2, 0x5000
	v_lshlrev_b32_e32 v3, 8, v1
	v_add_nc_u32_e32 v9, v4, v3
	v_lshl_add_u32 v4, v11, 7, v4
	s_waitcnt vmcnt(1) lgkmcnt(0)
	v_fma_mixlo_f16 v6, s0, v6, 0
	s_waitcnt vmcnt(0)
	v_fma_mixlo_f16 v8, s0, v8, 0
	v_fma_mixlo_f16 v5, s0, v5, 0
	;; [unrolled: 1-line block ×3, first 2 shown]
	v_lshlrev_b32_e32 v6, 16, v6
	v_lshlrev_b32_e32 v8, 16, v8
	v_or_b32_sdwa v5, v6, v5 dst_sel:DWORD dst_unused:UNUSED_PAD src0_sel:DWORD src1_sel:WORD_0
	v_or_b32_sdwa v6, v8, v7 dst_sel:DWORD dst_unused:UNUSED_PAD src0_sel:DWORD src1_sel:WORD_0
	ds_write_b32 v9, v5
	ds_write_b32 v4, v6
	s_waitcnt lgkmcnt(0)
	s_barrier
	buffer_gl0_inv
	s_cbranch_scc1 .LBB27_4
; %bb.3:
	s_load_dword s0, s[4:5], 0xd0
	s_mov_b32 s1, 0
	s_waitcnt lgkmcnt(0)
	s_mul_i32 s0, s0, s29
	s_add_i32 s0, s0, s6
	s_lshl_b64 s[0:1], s[0:1], 2
	s_add_u32 s0, s18, s0
	s_addc_u32 s1, s19, s1
	s_load_dword s30, s[0:1], 0x0
.LBB27_4:
	v_mbcnt_lo_u32_b32 v70, -1, 0
	s_lshl_b32 s9, s28, 7
	s_waitcnt lgkmcnt(0)
	s_cmp_lt_i32 s9, s30
	s_cbranch_scc1 .LBB27_7
; %bb.5:
	v_mbcnt_lo_u32_b32 v4, -1, 0
	v_mov_b32_e32 v72, 32
	v_xor_b32_e32 v83, 16, v4
	v_xor_b32_e32 v77, 8, v4
	;; [unrolled: 1-line block ×5, first 2 shown]
	s_cbranch_execz .LBB27_8
; %bb.6:
	v_mov_b32_e32 v118, 0
	v_mov_b32_e32 v116, 0
	;; [unrolled: 1-line block ×6, first 2 shown]
	s_branch .LBB27_11
.LBB27_7:
                                        ; implicit-def: $vgpr4
                                        ; implicit-def: $vgpr72
                                        ; implicit-def: $vgpr83
                                        ; implicit-def: $vgpr77
                                        ; implicit-def: $vgpr76
                                        ; implicit-def: $vgpr75
                                        ; implicit-def: $vgpr74
.LBB27_8:
	s_clause 0x1
	s_load_dwordx4 s[0:3], s[4:5], 0x98
	s_load_dwordx2 s[18:19], s[4:5], 0x8c
	s_sub_i32 s6, 0, s7
	s_abs_i32 s8, s33
	s_mul_i32 s6, s6, s38
	s_ashr_i32 s36, s33, 31
	s_mul_hi_u32 s6, s38, s6
	s_ashr_i32 s31, s31, 31
	s_add_i32 s38, s38, s6
	s_ashr_i32 s6, s37, 1
	s_mul_hi_u32 s37, s8, s38
	s_ashr_i32 s38, s29, 31
	s_load_dwordx2 s[24:25], s[4:5], 0xa8
	s_mul_i32 s39, s37, s7
	v_lshrrev_b32_e32 v4, 3, v0
	v_lshlrev_b32_e32 v71, 2, v0
	v_mad_u64_u32 v[34:35], null, v2, s6, v[0:1]
	v_lshl_add_u32 v89, v1, 9, 0x4800
	v_lshl_add_u32 v13, v1, 2, v4
	s_waitcnt lgkmcnt(0)
	s_ashr_i32 s14, s2, 2
	s_ashr_i32 s15, s18, 2
	s_mul_hi_u32 s2, s0, s29
	s_mul_i32 s18, s0, s38
	s_mul_i32 s1, s1, s29
	s_add_i32 s2, s2, s18
	s_mul_i32 s0, s0, s29
	s_add_i32 s2, s2, s1
	s_add_u32 s0, s10, s0
	s_addc_u32 s1, s11, s2
	s_sub_i32 s8, s8, s39
	s_xor_b32 s2, s36, s31
	s_add_i32 s10, s37, 1
	s_sub_i32 s11, s8, s7
	s_cmp_ge_u32 s8, s7
	v_mul_lo_u32 v4, s15, v13
	s_cselect_b32 s10, s10, s37
	s_cselect_b32 s8, s11, s8
	s_add_i32 s11, s10, 1
	s_cmp_ge_u32 s8, s7
	s_mul_hi_u32 s8, s24, s29
	s_cselect_b32 s7, s11, s10
	s_mul_i32 s10, s24, s38
	s_xor_b32 s7, s7, s2
	v_mul_lo_u32 v12, s14, v13
	s_sub_i32 s2, s7, s2
	s_mul_i32 s7, s25, s29
	s_mul_i32 s11, s2, s19
	;; [unrolled: 1-line block ×3, first 2 shown]
	s_ashr_i32 s19, s11, 31
	s_add_u32 s18, s0, s11
	s_addc_u32 s19, s1, s19
	s_add_i32 s0, s8, s10
	s_mul_i32 s2, s2, s3
	s_add_i32 s0, s0, s7
	s_add_u32 s1, s12, s24
	s_addc_u32 s0, s13, s0
	s_ashr_i32 s3, s2, 31
	s_add_u32 s12, s1, s2
	s_addc_u32 s13, s0, s3
	s_lshl_b32 s0, s15, 4
	s_lshl_b32 s1, s14, 4
	v_add_nc_u32_e32 v6, s0, v4
	v_add_nc_u32_e32 v16, s1, v12
	v_and_b32_e32 v32, 28, v71
	v_ashrrev_i32_e32 v5, 31, v4
	v_mov_b32_e32 v117, 0
	v_add_nc_u32_e32 v8, s0, v6
	v_add_nc_u32_e32 v20, s1, v16
	v_lshlrev_b32_e32 v17, 2, v32
	v_ashrrev_i32_e32 v7, 31, v6
	v_lshlrev_b64 v[35:36], 2, v[4:5]
	v_add_nc_u32_e32 v10, s0, v8
	v_add_nc_u32_e32 v24, s1, v20
	v_mad_u32_u24 v73, 0x90, v13, v17
	v_ashrrev_i32_e32 v9, 31, v8
	v_lshl_or_b32 v88, v13, 7, v17
	v_add_nc_u32_e32 v14, s0, v10
	v_add_nc_u32_e32 v28, s1, v24
	v_ashrrev_i32_e32 v11, 31, v10
	v_ashrrev_i32_e32 v13, 31, v12
	v_ashrrev_i32_e32 v17, 31, v16
	v_add_nc_u32_e32 v18, s0, v14
	v_add_nc_u32_e32 v1, s1, v28
	v_ashrrev_i32_e32 v15, 31, v14
	v_ashrrev_i32_e32 v21, 31, v20
	v_ashrrev_i32_e32 v25, 31, v24
	;; [unrolled: 5-line block ×3, first 2 shown]
	v_add_nc_u32_e32 v26, s0, v22
	v_add_nc_u32_e32 v65, s1, v30
	v_ashrrev_i32_e32 v23, 31, v22
	v_ashrrev_i32_e32 v31, 31, v30
	v_lshlrev_b64 v[37:38], 2, v[6:7]
	v_ashrrev_i32_e32 v27, 31, v26
	v_ashrrev_i32_e32 v66, 31, v65
	v_lshlrev_b64 v[39:40], 2, v[8:9]
	v_lshlrev_b64 v[41:42], 2, v[10:11]
	;; [unrolled: 1-line block ×14, first 2 shown]
	v_add_nc_u32_e32 v78, 0x5000, v3
	v_mul_u32_u24_e32 v79, 0x90, v0
	v_add_nc_u32_e32 v80, 0x900, v73
	v_add_nc_u32_e32 v81, 0x1200, v73
	;; [unrolled: 1-line block ×14, first 2 shown]
	v_mov_b32_e32 v67, 0xfeffffff
	v_lshlrev_b32_e32 v97, 2, v32
	v_mov_b32_e32 v72, 32
	v_xor_b32_e32 v83, 16, v70
	v_xor_b32_e32 v77, 8, v70
	;; [unrolled: 1-line block ×5, first 2 shown]
	v_add_nc_u32_e32 v98, v89, v71
	v_mov_b32_e32 v99, 0x10001
	v_add_nc_u32_e32 v100, 0x400, v71
	v_add_nc_u32_e32 v101, 0x800, v71
	;; [unrolled: 1-line block ×15, first 2 shown]
	v_mov_b32_e32 v118, 0
	v_mov_b32_e32 v68, 0xfeffffff
	;; [unrolled: 1-line block ×4, first 2 shown]
	s_add_u32 s10, s4, 0xd0
	s_addc_u32 s11, s5, 0
.LBB27_9:                               ; =>This Inner Loop Header: Depth=1
	s_mul_hi_i32 s1, s9, s15
	s_mul_i32 s0, s9, s15
	v_mov_b32_e32 v119, 0
	s_lshl_b64 s[0:1], s[0:1], 2
	v_mov_b32_e32 v120, 0
	s_add_u32 s8, s18, s0
	s_addc_u32 s24, s19, s1
	v_add_co_u32 v1, vcc_lo, s8, v37
	v_add_co_u32 v2, s0, s8, v39
	v_add_co_u32 v3, s1, s8, v41
	;; [unrolled: 1-line block ×7, first 2 shown]
	v_add_co_ci_u32_e64 v11, null, s24, v36, s8
	v_add_co_ci_u32_e64 v12, null, s24, v38, vcc_lo
	v_add_co_ci_u32_e64 v14, null, s24, v40, s0
	v_add_co_ci_u32_e64 v15, null, s24, v42, s1
	v_add_co_u32 v5, vcc_lo, v1, v97
	v_add_co_u32 v1, s8, v10, v97
	v_add_co_ci_u32_e64 v16, null, s24, v44, s2
	v_add_co_ci_u32_e64 v19, null, s24, v46, s3
	;; [unrolled: 1-line block ×4, first 2 shown]
	v_add_co_u32 v9, s0, v2, v97
	v_add_co_ci_u32_e64 v2, null, 0, v11, s8
	v_add_co_u32 v13, s1, v3, v97
	v_add_co_u32 v21, s3, v6, v97
	v_add_co_ci_u32_e64 v6, null, 0, v12, vcc_lo
	v_add_co_u32 v17, s2, v4, v97
	v_add_co_u32 v25, s6, v7, v97
	;; [unrolled: 1-line block ×3, first 2 shown]
	v_add_co_ci_u32_e64 v10, null, 0, v14, s0
	v_add_co_ci_u32_e64 v14, null, 0, v15, s1
	;; [unrolled: 1-line block ×6, first 2 shown]
	s_clause 0x7
	global_load_dwordx4 v[1:4], v[1:2], off
	global_load_dwordx4 v[5:8], v[5:6], off
	;; [unrolled: 1-line block ×8, first 2 shown]
	v_mov_b32_e32 v121, 0
	v_mov_b32_e32 v122, 0
	v_mov_b32_e32 v125, 0
	v_mov_b32_e32 v123, 0
	v_mov_b32_e32 v126, 0
	v_mov_b32_e32 v124, 0
	v_add_nc_u32_e32 v127, s9, v34
	s_mul_hi_i32 s1, s9, s14
	s_mul_i32 s0, s9, s14
	s_waitcnt vmcnt(7)
	ds_write_b128 v73, v[1:4]
	s_waitcnt vmcnt(6)
	ds_write_b128 v80, v[5:8]
	;; [unrolled: 2-line block ×8, first 2 shown]
	s_waitcnt lgkmcnt(0)
	s_barrier
	buffer_gl0_inv
	ds_read_b128 v[1:4], v79
	ds_read_b128 v[5:8], v78
	ds_read_b128 v[9:12], v78 offset:128
	ds_read_b128 v[13:16], v79 offset:4608
	;; [unrolled: 1-line block ×4, first 2 shown]
	s_waitcnt lgkmcnt(4)
	;;#ASMSTART
	v_dot2_f32_f16 v119, v1, v5, v119
	;;#ASMEND
	;;#ASMSTART
	v_dot2_f32_f16 v119, v2, v6, v119
	;;#ASMEND
	;;#ASMSTART
	v_dot2_f32_f16 v119, v3, v7, v119
	;;#ASMEND
	;;#ASMSTART
	v_dot2_f32_f16 v119, v4, v8, v119
	;;#ASMEND
	s_waitcnt lgkmcnt(3)
	;;#ASMSTART
	v_dot2_f32_f16 v120, v1, v9, v120
	;;#ASMEND
	;;#ASMSTART
	v_dot2_f32_f16 v120, v2, v10, v120
	;;#ASMEND
	;;#ASMSTART
	v_dot2_f32_f16 v120, v3, v11, v120
	;;#ASMEND
	;;#ASMSTART
	v_dot2_f32_f16 v120, v4, v12, v120
	;;#ASMEND
	;; [unrolled: 13-line block ×3, first 2 shown]
	;;#ASMSTART
	v_dot2_f32_f16 v122, v13, v9, v122
	;;#ASMEND
	;;#ASMSTART
	v_dot2_f32_f16 v122, v14, v10, v122
	;;#ASMEND
	;; [unrolled: 3-line block ×4, first 2 shown]
	s_waitcnt lgkmcnt(1)
	;;#ASMSTART
	v_dot2_f32_f16 v125, v17, v5, v125
	;;#ASMEND
	;;#ASMSTART
	v_dot2_f32_f16 v125, v18, v6, v125
	;;#ASMEND
	;; [unrolled: 3-line block ×8, first 2 shown]
	s_waitcnt lgkmcnt(0)
	;;#ASMSTART
	v_dot2_f32_f16 v126, v21, v5, v126
	;;#ASMEND
	;;#ASMSTART
	v_dot2_f32_f16 v126, v22, v6, v126
	;;#ASMEND
	;; [unrolled: 3-line block ×8, first 2 shown]
	ds_read_b128 v[1:4], v79 offset:16
	ds_read_b128 v[5:8], v78 offset:16
	;; [unrolled: 1-line block ×6, first 2 shown]
	s_waitcnt lgkmcnt(4)
	;;#ASMSTART
	v_dot2_f32_f16 v119, v1, v5, v119
	;;#ASMEND
	;;#ASMSTART
	v_dot2_f32_f16 v119, v2, v6, v119
	;;#ASMEND
	;;#ASMSTART
	v_dot2_f32_f16 v119, v3, v7, v119
	;;#ASMEND
	;;#ASMSTART
	v_dot2_f32_f16 v119, v4, v8, v119
	;;#ASMEND
	s_waitcnt lgkmcnt(3)
	;;#ASMSTART
	v_dot2_f32_f16 v120, v1, v9, v120
	;;#ASMEND
	;;#ASMSTART
	v_dot2_f32_f16 v120, v2, v10, v120
	;;#ASMEND
	;;#ASMSTART
	v_dot2_f32_f16 v120, v3, v11, v120
	;;#ASMEND
	;;#ASMSTART
	v_dot2_f32_f16 v120, v4, v12, v120
	;;#ASMEND
	;; [unrolled: 13-line block ×3, first 2 shown]
	;;#ASMSTART
	v_dot2_f32_f16 v122, v13, v9, v122
	;;#ASMEND
	;;#ASMSTART
	v_dot2_f32_f16 v122, v14, v10, v122
	;;#ASMEND
	;; [unrolled: 3-line block ×4, first 2 shown]
	s_waitcnt lgkmcnt(1)
	;;#ASMSTART
	v_dot2_f32_f16 v125, v17, v5, v125
	;;#ASMEND
	;;#ASMSTART
	v_dot2_f32_f16 v125, v18, v6, v125
	;;#ASMEND
	;;#ASMSTART
	v_dot2_f32_f16 v125, v19, v7, v125
	;;#ASMEND
	;;#ASMSTART
	v_dot2_f32_f16 v125, v20, v8, v125
	;;#ASMEND
	;;#ASMSTART
	v_dot2_f32_f16 v123, v17, v9, v123
	;;#ASMEND
	;;#ASMSTART
	v_dot2_f32_f16 v123, v18, v10, v123
	;;#ASMEND
	;;#ASMSTART
	v_dot2_f32_f16 v123, v19, v11, v123
	;;#ASMEND
	;;#ASMSTART
	v_dot2_f32_f16 v123, v20, v12, v123
	;;#ASMEND
	s_waitcnt lgkmcnt(0)
	;;#ASMSTART
	v_dot2_f32_f16 v126, v21, v5, v126
	;;#ASMEND
	;;#ASMSTART
	v_dot2_f32_f16 v126, v22, v6, v126
	;;#ASMEND
	;;#ASMSTART
	v_dot2_f32_f16 v126, v23, v7, v126
	;;#ASMEND
	;;#ASMSTART
	v_dot2_f32_f16 v126, v24, v8, v126
	;;#ASMEND
	;;#ASMSTART
	v_dot2_f32_f16 v124, v21, v9, v124
	;;#ASMEND
	;;#ASMSTART
	v_dot2_f32_f16 v124, v22, v10, v124
	;;#ASMEND
	;;#ASMSTART
	v_dot2_f32_f16 v124, v23, v11, v124
	;;#ASMEND
	;;#ASMSTART
	v_dot2_f32_f16 v124, v24, v12, v124
	;;#ASMEND
	ds_read_b128 v[1:4], v79 offset:32
	ds_read_b128 v[5:8], v78 offset:32
	;; [unrolled: 1-line block ×6, first 2 shown]
	s_waitcnt lgkmcnt(4)
	;;#ASMSTART
	v_dot2_f32_f16 v119, v1, v5, v119
	;;#ASMEND
	;;#ASMSTART
	v_dot2_f32_f16 v119, v2, v6, v119
	;;#ASMEND
	;;#ASMSTART
	v_dot2_f32_f16 v119, v3, v7, v119
	;;#ASMEND
	;;#ASMSTART
	v_dot2_f32_f16 v119, v4, v8, v119
	;;#ASMEND
	s_waitcnt lgkmcnt(3)
	;;#ASMSTART
	v_dot2_f32_f16 v120, v1, v9, v120
	;;#ASMEND
	;;#ASMSTART
	v_dot2_f32_f16 v120, v2, v10, v120
	;;#ASMEND
	;;#ASMSTART
	v_dot2_f32_f16 v120, v3, v11, v120
	;;#ASMEND
	;;#ASMSTART
	v_dot2_f32_f16 v120, v4, v12, v120
	;;#ASMEND
	;; [unrolled: 13-line block ×3, first 2 shown]
	;;#ASMSTART
	v_dot2_f32_f16 v122, v13, v9, v122
	;;#ASMEND
	;;#ASMSTART
	v_dot2_f32_f16 v122, v14, v10, v122
	;;#ASMEND
	;; [unrolled: 3-line block ×4, first 2 shown]
	s_waitcnt lgkmcnt(1)
	;;#ASMSTART
	v_dot2_f32_f16 v125, v17, v5, v125
	;;#ASMEND
	;;#ASMSTART
	v_dot2_f32_f16 v125, v18, v6, v125
	;;#ASMEND
	;;#ASMSTART
	v_dot2_f32_f16 v125, v19, v7, v125
	;;#ASMEND
	;;#ASMSTART
	v_dot2_f32_f16 v125, v20, v8, v125
	;;#ASMEND
	;;#ASMSTART
	v_dot2_f32_f16 v123, v17, v9, v123
	;;#ASMEND
	;;#ASMSTART
	v_dot2_f32_f16 v123, v18, v10, v123
	;;#ASMEND
	;;#ASMSTART
	v_dot2_f32_f16 v123, v19, v11, v123
	;;#ASMEND
	;;#ASMSTART
	v_dot2_f32_f16 v123, v20, v12, v123
	;;#ASMEND
	s_waitcnt lgkmcnt(0)
	;;#ASMSTART
	v_dot2_f32_f16 v126, v21, v5, v126
	;;#ASMEND
	;;#ASMSTART
	v_dot2_f32_f16 v126, v22, v6, v126
	;;#ASMEND
	;; [unrolled: 3-line block ×8, first 2 shown]
	ds_read_b128 v[1:4], v79 offset:48
	ds_read_b128 v[5:8], v78 offset:48
	;; [unrolled: 1-line block ×6, first 2 shown]
	s_waitcnt lgkmcnt(4)
	;;#ASMSTART
	v_dot2_f32_f16 v119, v1, v5, v119
	;;#ASMEND
	;;#ASMSTART
	v_dot2_f32_f16 v119, v2, v6, v119
	;;#ASMEND
	;;#ASMSTART
	v_dot2_f32_f16 v119, v3, v7, v119
	;;#ASMEND
	;;#ASMSTART
	v_dot2_f32_f16 v119, v4, v8, v119
	;;#ASMEND
	s_waitcnt lgkmcnt(3)
	;;#ASMSTART
	v_dot2_f32_f16 v120, v1, v9, v120
	;;#ASMEND
	;;#ASMSTART
	v_dot2_f32_f16 v120, v2, v10, v120
	;;#ASMEND
	;;#ASMSTART
	v_dot2_f32_f16 v120, v3, v11, v120
	;;#ASMEND
	;;#ASMSTART
	v_dot2_f32_f16 v120, v4, v12, v120
	;;#ASMEND
	s_waitcnt lgkmcnt(2)
	;;#ASMSTART
	v_dot2_f32_f16 v121, v13, v5, v121
	;;#ASMEND
	;;#ASMSTART
	v_dot2_f32_f16 v121, v14, v6, v121
	;;#ASMEND
	;;#ASMSTART
	v_dot2_f32_f16 v121, v15, v7, v121
	;;#ASMEND
	;;#ASMSTART
	v_dot2_f32_f16 v121, v16, v8, v121
	;;#ASMEND
	;;#ASMSTART
	v_dot2_f32_f16 v122, v13, v9, v122
	;;#ASMEND
	;;#ASMSTART
	v_dot2_f32_f16 v122, v14, v10, v122
	;;#ASMEND
	;; [unrolled: 3-line block ×4, first 2 shown]
	s_waitcnt lgkmcnt(1)
	;;#ASMSTART
	v_dot2_f32_f16 v125, v17, v5, v125
	;;#ASMEND
	;;#ASMSTART
	v_dot2_f32_f16 v125, v18, v6, v125
	;;#ASMEND
	;;#ASMSTART
	v_dot2_f32_f16 v125, v19, v7, v125
	;;#ASMEND
	;;#ASMSTART
	v_dot2_f32_f16 v125, v20, v8, v125
	;;#ASMEND
	;;#ASMSTART
	v_dot2_f32_f16 v123, v17, v9, v123
	;;#ASMEND
	;;#ASMSTART
	v_dot2_f32_f16 v123, v18, v10, v123
	;;#ASMEND
	;;#ASMSTART
	v_dot2_f32_f16 v123, v19, v11, v123
	;;#ASMEND
	;;#ASMSTART
	v_dot2_f32_f16 v123, v20, v12, v123
	;;#ASMEND
	s_waitcnt lgkmcnt(0)
	;;#ASMSTART
	v_dot2_f32_f16 v126, v21, v5, v126
	;;#ASMEND
	;;#ASMSTART
	v_dot2_f32_f16 v126, v22, v6, v126
	;;#ASMEND
	;;#ASMSTART
	v_dot2_f32_f16 v126, v23, v7, v126
	;;#ASMEND
	;;#ASMSTART
	v_dot2_f32_f16 v126, v24, v8, v126
	;;#ASMEND
	;;#ASMSTART
	v_dot2_f32_f16 v124, v21, v9, v124
	;;#ASMEND
	;;#ASMSTART
	v_dot2_f32_f16 v124, v22, v10, v124
	;;#ASMEND
	;;#ASMSTART
	v_dot2_f32_f16 v124, v23, v11, v124
	;;#ASMEND
	;;#ASMSTART
	v_dot2_f32_f16 v124, v24, v12, v124
	;;#ASMEND
	ds_read_b128 v[1:4], v79 offset:64
	ds_read_b128 v[5:8], v78 offset:64
	;; [unrolled: 1-line block ×6, first 2 shown]
	s_waitcnt lgkmcnt(4)
	;;#ASMSTART
	v_dot2_f32_f16 v119, v1, v5, v119
	;;#ASMEND
	;;#ASMSTART
	v_dot2_f32_f16 v119, v2, v6, v119
	;;#ASMEND
	;;#ASMSTART
	v_dot2_f32_f16 v119, v3, v7, v119
	;;#ASMEND
	;;#ASMSTART
	v_dot2_f32_f16 v119, v4, v8, v119
	;;#ASMEND
	s_waitcnt lgkmcnt(3)
	;;#ASMSTART
	v_dot2_f32_f16 v120, v1, v9, v120
	;;#ASMEND
	;;#ASMSTART
	v_dot2_f32_f16 v120, v2, v10, v120
	;;#ASMEND
	;;#ASMSTART
	v_dot2_f32_f16 v120, v3, v11, v120
	;;#ASMEND
	;;#ASMSTART
	v_dot2_f32_f16 v120, v4, v12, v120
	;;#ASMEND
	;; [unrolled: 13-line block ×3, first 2 shown]
	;;#ASMSTART
	v_dot2_f32_f16 v122, v13, v9, v122
	;;#ASMEND
	;;#ASMSTART
	v_dot2_f32_f16 v122, v14, v10, v122
	;;#ASMEND
	;; [unrolled: 3-line block ×4, first 2 shown]
	s_waitcnt lgkmcnt(1)
	;;#ASMSTART
	v_dot2_f32_f16 v125, v17, v5, v125
	;;#ASMEND
	;;#ASMSTART
	v_dot2_f32_f16 v125, v18, v6, v125
	;;#ASMEND
	;; [unrolled: 3-line block ×8, first 2 shown]
	s_waitcnt lgkmcnt(0)
	;;#ASMSTART
	v_dot2_f32_f16 v126, v21, v5, v126
	;;#ASMEND
	;;#ASMSTART
	v_dot2_f32_f16 v126, v22, v6, v126
	;;#ASMEND
	;; [unrolled: 3-line block ×8, first 2 shown]
	ds_read_b128 v[1:4], v79 offset:80
	ds_read_b128 v[5:8], v78 offset:80
	;; [unrolled: 1-line block ×6, first 2 shown]
	s_waitcnt lgkmcnt(4)
	;;#ASMSTART
	v_dot2_f32_f16 v119, v1, v5, v119
	;;#ASMEND
	;;#ASMSTART
	v_dot2_f32_f16 v119, v2, v6, v119
	;;#ASMEND
	;;#ASMSTART
	v_dot2_f32_f16 v119, v3, v7, v119
	;;#ASMEND
	;;#ASMSTART
	v_dot2_f32_f16 v119, v4, v8, v119
	;;#ASMEND
	s_waitcnt lgkmcnt(3)
	;;#ASMSTART
	v_dot2_f32_f16 v120, v1, v9, v120
	;;#ASMEND
	;;#ASMSTART
	v_dot2_f32_f16 v120, v2, v10, v120
	;;#ASMEND
	;;#ASMSTART
	v_dot2_f32_f16 v120, v3, v11, v120
	;;#ASMEND
	;;#ASMSTART
	v_dot2_f32_f16 v120, v4, v12, v120
	;;#ASMEND
	;; [unrolled: 13-line block ×3, first 2 shown]
	;;#ASMSTART
	v_dot2_f32_f16 v122, v13, v9, v122
	;;#ASMEND
	;;#ASMSTART
	v_dot2_f32_f16 v122, v14, v10, v122
	;;#ASMEND
	;; [unrolled: 3-line block ×4, first 2 shown]
	s_waitcnt lgkmcnt(1)
	;;#ASMSTART
	v_dot2_f32_f16 v125, v17, v5, v125
	;;#ASMEND
	;;#ASMSTART
	v_dot2_f32_f16 v125, v18, v6, v125
	;;#ASMEND
	;; [unrolled: 3-line block ×8, first 2 shown]
	s_waitcnt lgkmcnt(0)
	;;#ASMSTART
	v_dot2_f32_f16 v126, v21, v5, v126
	;;#ASMEND
	;;#ASMSTART
	v_dot2_f32_f16 v126, v22, v6, v126
	;;#ASMEND
	;; [unrolled: 3-line block ×8, first 2 shown]
	ds_read_b128 v[1:4], v79 offset:96
	ds_read_b128 v[5:8], v78 offset:96
	;; [unrolled: 1-line block ×6, first 2 shown]
	s_waitcnt lgkmcnt(4)
	;;#ASMSTART
	v_dot2_f32_f16 v119, v1, v5, v119
	;;#ASMEND
	;;#ASMSTART
	v_dot2_f32_f16 v119, v2, v6, v119
	;;#ASMEND
	;;#ASMSTART
	v_dot2_f32_f16 v119, v3, v7, v119
	;;#ASMEND
	;;#ASMSTART
	v_dot2_f32_f16 v119, v4, v8, v119
	;;#ASMEND
	s_waitcnt lgkmcnt(3)
	;;#ASMSTART
	v_dot2_f32_f16 v120, v1, v9, v120
	;;#ASMEND
	;;#ASMSTART
	v_dot2_f32_f16 v120, v2, v10, v120
	;;#ASMEND
	;;#ASMSTART
	v_dot2_f32_f16 v120, v3, v11, v120
	;;#ASMEND
	;;#ASMSTART
	v_dot2_f32_f16 v120, v4, v12, v120
	;;#ASMEND
	;; [unrolled: 13-line block ×3, first 2 shown]
	;;#ASMSTART
	v_dot2_f32_f16 v122, v13, v9, v122
	;;#ASMEND
	;;#ASMSTART
	v_dot2_f32_f16 v122, v14, v10, v122
	;;#ASMEND
	;; [unrolled: 3-line block ×4, first 2 shown]
	s_waitcnt lgkmcnt(1)
	;;#ASMSTART
	v_dot2_f32_f16 v125, v17, v5, v125
	;;#ASMEND
	;;#ASMSTART
	v_dot2_f32_f16 v125, v18, v6, v125
	;;#ASMEND
	;; [unrolled: 3-line block ×8, first 2 shown]
	s_waitcnt lgkmcnt(0)
	;;#ASMSTART
	v_dot2_f32_f16 v126, v21, v5, v126
	;;#ASMEND
	;;#ASMSTART
	v_dot2_f32_f16 v126, v22, v6, v126
	;;#ASMEND
	;; [unrolled: 3-line block ×8, first 2 shown]
	ds_read_b128 v[1:4], v79 offset:112
	ds_read_b128 v[5:8], v78 offset:112
	;; [unrolled: 1-line block ×6, first 2 shown]
	s_waitcnt lgkmcnt(4)
	;;#ASMSTART
	v_dot2_f32_f16 v119, v1, v5, v119
	;;#ASMEND
	;;#ASMSTART
	v_dot2_f32_f16 v119, v2, v6, v119
	;;#ASMEND
	;; [unrolled: 3-line block ×4, first 2 shown]
	s_waitcnt lgkmcnt(3)
	;;#ASMSTART
	v_dot2_f32_f16 v120, v1, v9, v120
	;;#ASMEND
	;;#ASMSTART
	v_dot2_f32_f16 v120, v2, v10, v120
	;;#ASMEND
	;; [unrolled: 3-line block ×3, first 2 shown]
	v_ashrrev_i32_e32 v128, 31, v127
	;;#ASMSTART
	v_dot2_f32_f16 v120, v4, v12, v120
	;;#ASMEND
	s_waitcnt lgkmcnt(2)
	;;#ASMSTART
	v_dot2_f32_f16 v121, v13, v5, v121
	;;#ASMEND
	;;#ASMSTART
	v_dot2_f32_f16 v121, v14, v6, v121
	;;#ASMEND
	;; [unrolled: 3-line block ×6, first 2 shown]
	v_lshlrev_b64 v[127:128], 1, v[127:128]
	;;#ASMSTART
	v_dot2_f32_f16 v122, v15, v11, v122
	;;#ASMEND
	;;#ASMSTART
	v_dot2_f32_f16 v122, v16, v12, v122
	;;#ASMEND
	s_waitcnt lgkmcnt(1)
	;;#ASMSTART
	v_dot2_f32_f16 v125, v17, v5, v125
	;;#ASMEND
	;;#ASMSTART
	v_dot2_f32_f16 v125, v18, v6, v125
	;;#ASMEND
	;; [unrolled: 3-line block ×6, first 2 shown]
	v_add_co_u32 v127, vcc_lo, s34, v127
	;;#ASMSTART
	v_dot2_f32_f16 v123, v19, v11, v123
	;;#ASMEND
	;;#ASMSTART
	v_dot2_f32_f16 v123, v20, v12, v123
	;;#ASMEND
	s_waitcnt lgkmcnt(0)
	;;#ASMSTART
	v_dot2_f32_f16 v126, v21, v5, v126
	;;#ASMEND
	v_add_co_ci_u32_e64 v128, null, s35, v128, vcc_lo
	;;#ASMSTART
	v_dot2_f32_f16 v126, v22, v6, v126
	;;#ASMEND
	;;#ASMSTART
	v_dot2_f32_f16 v126, v23, v7, v126
	;;#ASMEND
	;; [unrolled: 3-line block ×7, first 2 shown]
	s_clause 0x3
	global_load_ushort v139, v[127:128], off
	global_load_ushort v140, v[127:128], off offset:64
	global_load_ushort v141, v[127:128], off offset:128
	;; [unrolled: 1-line block ×3, first 2 shown]
	v_cmp_gt_i32_e32 vcc_lo, 32, v83
	s_lshl_b64 s[0:1], s[0:1], 2
	v_mov_b32_e32 v2, v67
	s_add_u32 s8, s12, s0
	s_addc_u32 s24, s13, s1
	v_cndmask_b32_e32 v3, v70, v83, vcc_lo
	v_cmp_gt_i32_e32 vcc_lo, 32, v77
	v_add_co_u32 v8, s2, s8, v59
	v_add_co_u32 v10, s3, s8, v61
	v_cndmask_b32_e32 v4, v70, v77, vcc_lo
	v_cmp_gt_i32_e32 vcc_lo, 32, v76
	v_lshlrev_b32_e32 v143, 2, v3
	v_add_co_u32 v11, s6, s8, v63
	v_lshlrev_b32_e32 v144, 2, v4
	v_cndmask_b32_e32 v5, v70, v76, vcc_lo
	v_cmp_gt_i32_e32 vcc_lo, 32, v75
	v_add_co_u32 v4, s0, s8, v55
	v_add_co_u32 v12, s7, s8, v65
	v_cndmask_b32_e32 v6, v70, v75, vcc_lo
	v_cmp_gt_i32_e32 vcc_lo, 32, v74
	v_add_co_ci_u32_e64 v16, null, s24, v56, s0
	v_add_co_ci_u32_e64 v20, null, s24, v64, s6
	v_cndmask_b32_e32 v7, v70, v74, vcc_lo
	v_lshlrev_b32_e32 v146, 2, v6
	v_add_co_u32 v3, vcc_lo, s8, v53
	v_add_co_u32 v6, s1, s8, v57
	v_add_co_u32 v13, s8, s8, v51
	v_add_co_ci_u32_e64 v14, null, s24, v52, s8
	v_add_co_ci_u32_e64 v15, null, s24, v54, vcc_lo
	v_add_co_ci_u32_e64 v17, null, s24, v58, s1
	v_add_co_u32 v67, s6, v11, v97
	v_add_co_u32 v11, s8, v13, v97
	v_add_co_ci_u32_e64 v18, null, s24, v60, s2
	v_add_co_ci_u32_e64 v21, null, s24, v66, s7
	v_add_co_u32 v3, vcc_lo, v3, v97
	v_lshlrev_b32_e32 v145, 2, v5
	v_add_co_ci_u32_e64 v19, null, s24, v62, s3
	v_add_co_u32 v5, s0, v4, v97
	v_add_co_u32 v135, s7, v12, v97
	v_add_co_ci_u32_e64 v12, null, 0, v14, s8
	v_lshlrev_b32_e32 v147, 2, v7
	v_add_co_u32 v7, s1, v6, v97
	v_add_co_ci_u32_e64 v4, null, 0, v15, vcc_lo
	v_add_co_u32 v9, s2, v8, v97
	v_add_co_ci_u32_e64 v6, null, 0, v16, s0
	v_add_co_u32 v31, s3, v10, v97
	v_add_co_ci_u32_e64 v8, null, 0, v17, s1
	v_add_co_ci_u32_e64 v10, null, 0, v18, s2
	;; [unrolled: 1-line block ×3, first 2 shown]
	v_mov_b32_e32 v1, v68
	v_add_co_ci_u32_e64 v32, null, 0, v19, s3
	v_add_co_ci_u32_e64 v68, null, 0, v20, s6
	s_waitcnt vmcnt(0)
	s_barrier
	buffer_gl0_inv
	s_clause 0x7
	global_load_dwordx4 v[11:14], v[11:12], off
	global_load_dwordx4 v[15:18], v[3:4], off
	;; [unrolled: 1-line block ×8, first 2 shown]
	v_cvt_f32_f16_e32 v3, v139
	v_cvt_f32_f16_e32 v4, v140
	;; [unrolled: 1-line block ×4, first 2 shown]
	v_add_f32_e32 v7, v119, v3
	v_add_f32_e32 v8, v121, v4
	;; [unrolled: 1-line block ×16, first 2 shown]
	v_max3_f32 v31, v2, v31, v32
	v_max3_f32 v32, v1, v119, v120
	;; [unrolled: 1-line block ×4, first 2 shown]
	ds_bpermute_b32 v67, v143, v31
	ds_bpermute_b32 v68, v143, v32
	s_waitcnt lgkmcnt(1)
	v_max_f32_e32 v67, v67, v67
	s_waitcnt lgkmcnt(0)
	v_max_f32_e32 v68, v68, v68
	v_max_f32_e32 v31, v31, v67
	v_max_f32_e32 v32, v32, v68
	ds_bpermute_b32 v67, v144, v31
	ds_bpermute_b32 v68, v144, v32
	s_waitcnt lgkmcnt(1)
	v_max_f32_e32 v67, v67, v67
	s_waitcnt lgkmcnt(0)
	v_max_f32_e32 v68, v68, v68
	v_max_f32_e32 v31, v31, v67
	v_max_f32_e32 v32, v32, v68
	;; [unrolled: 8-line block ×5, first 2 shown]
	v_sub_f32_e32 v7, v7, v67
	v_sub_f32_e32 v8, v8, v67
	;; [unrolled: 1-line block ×8, first 2 shown]
	v_mul_f32_e32 v31, 0x3fb8aa3b, v7
	v_mul_f32_e32 v32, 0x3fb8aa3b, v8
	v_mul_f32_e32 v119, 0x3fb8aa3b, v9
	v_mul_f32_e32 v120, 0x3fb8aa3b, v10
	v_mul_f32_e32 v122, 0x3fb8aa3b, v3
	v_mul_f32_e32 v123, 0x3fb8aa3b, v4
	v_mul_f32_e32 v124, 0x3fb8aa3b, v5
	v_mul_f32_e32 v125, 0x3fb8aa3b, v6
	v_fma_f32 v139, 0x3fb8aa3b, v7, -v31
	v_rndne_f32_e32 v140, v31
	v_fma_f32 v141, 0x3fb8aa3b, v8, -v32
	v_rndne_f32_e32 v142, v32
	;; [unrolled: 2-line block ×8, first 2 shown]
	v_fmac_f32_e32 v139, 0x32a5705f, v7
	v_sub_f32_e32 v31, v31, v140
	v_fmac_f32_e32 v141, 0x32a5705f, v8
	v_sub_f32_e32 v32, v32, v142
	;; [unrolled: 2-line block ×8, first 2 shown]
	v_add_f32_e32 v31, v31, v139
	v_add_f32_e32 v32, v32, v141
	;; [unrolled: 1-line block ×8, first 2 shown]
	v_exp_f32_e32 v31, v31
	v_exp_f32_e32 v32, v32
	;; [unrolled: 1-line block ×8, first 2 shown]
	v_sub_f32_e32 v2, v2, v67
	v_sub_f32_e32 v1, v1, v68
	v_cvt_i32_f32_e32 v140, v140
	v_cvt_i32_f32_e32 v142, v142
	;; [unrolled: 1-line block ×8, first 2 shown]
	v_mul_f32_e32 v121, 0x3fb8aa3b, v2
	v_mul_f32_e32 v126, 0x3fb8aa3b, v1
	v_ldexp_f32 v31, v31, v140
	v_ldexp_f32 v32, v32, v142
	v_cmp_ngt_f32_e32 vcc_lo, 0xc2ce8ed0, v8
	v_ldexp_f32 v119, v119, v144
	v_cmp_ngt_f32_e64 s0, 0xc2ce8ed0, v9
	v_ldexp_f32 v120, v120, v146
	v_cmp_ngt_f32_e64 s1, 0xc2ce8ed0, v10
	;; [unrolled: 2-line block ×4, first 2 shown]
	v_cmp_ngt_f32_e64 s8, 0xc2ce8ed0, v7
	v_ldexp_f32 v124, v124, v154
	v_cmp_ngt_f32_e64 s6, 0xc2ce8ed0, v5
	v_ldexp_f32 v125, v125, v156
	v_cmp_ngt_f32_e64 s7, 0xc2ce8ed0, v6
	v_fma_f32 v147, 0x3fb8aa3b, v2, -v121
	v_rndne_f32_e32 v148, v121
	v_fma_f32 v157, 0x3fb8aa3b, v1, -v126
	v_rndne_f32_e32 v158, v126
	v_cndmask_b32_e64 v31, 0, v31, s8
	v_cndmask_b32_e32 v32, 0, v32, vcc_lo
	v_cmp_nlt_f32_e32 vcc_lo, 0x42b17218, v8
	v_cndmask_b32_e64 v8, 0, v119, s0
	v_cmp_nlt_f32_e64 s0, 0x42b17218, v9
	v_cndmask_b32_e64 v119, 0, v120, s1
	v_cndmask_b32_e64 v120, 0, v122, s2
	v_cmp_nlt_f32_e64 s2, 0x42b17218, v3
	v_cndmask_b32_e64 v3, 0, v123, s3
	v_cmp_nlt_f32_e64 s3, 0x42b17218, v4
	v_cmp_nlt_f32_e64 s8, 0x42b17218, v7
	;; [unrolled: 1-line block ×3, first 2 shown]
	v_cndmask_b32_e64 v122, 0, v124, s6
	v_cmp_nlt_f32_e64 s6, 0x42b17218, v5
	v_cndmask_b32_e64 v123, 0, v125, s7
	v_cmp_nlt_f32_e64 s7, 0x42b17218, v6
	v_fmac_f32_e32 v147, 0x32a5705f, v2
	v_sub_f32_e32 v121, v121, v148
	v_fmac_f32_e32 v157, 0x32a5705f, v1
	v_sub_f32_e32 v126, v126, v158
	v_cndmask_b32_e64 v9, 0x7f800000, v31, s8
	v_cndmask_b32_e32 v10, 0x7f800000, v32, vcc_lo
	v_cndmask_b32_e64 v6, 0x7f800000, v8, s0
	v_cndmask_b32_e64 v7, 0x7f800000, v120, s2
	;; [unrolled: 1-line block ×6, first 2 shown]
	v_add_f32_e32 v121, v121, v147
	v_add_f32_e32 v126, v126, v157
	v_cvt_f16_f32_e32 v31, v9
	v_cvt_f16_f32_e32 v32, v10
	;; [unrolled: 1-line block ×8, first 2 shown]
	v_exp_f32_e32 v121, v121
	v_exp_f32_e32 v126, v126
	v_pack_b32_f16 v31, v31, v122
	v_pack_b32_f16 v32, v32, v123
	;; [unrolled: 1-line block ×4, first 2 shown]
	v_cvt_i32_f32_e32 v148, v148
	v_cvt_i32_f32_e32 v158, v158
	ds_write2_b32 v98, v31, v32 offset1:32
	ds_write2_b32 v98, v119, v120 offset0:64 offset1:96
	s_waitcnt vmcnt(7)
	ds_write_b128 v88, v[11:14]
	s_waitcnt vmcnt(6)
	ds_write_b128 v90, v[15:18]
	;; [unrolled: 2-line block ×8, first 2 shown]
	s_waitcnt lgkmcnt(0)
	s_barrier
	buffer_gl0_inv
	ds_read_b128 v[11:14], v89
	v_ldexp_f32 v121, v121, v148
	v_ldexp_f32 v126, v126, v158
	v_cmp_ngt_f32_e32 vcc_lo, 0xc2ce8ed0, v1
	v_cmp_ngt_f32_e64 s0, 0xc2ce8ed0, v2
	ds_read2_b32 v[19:20], v71 offset1:32
	v_cndmask_b32_e32 v16, 0, v126, vcc_lo
	v_cndmask_b32_e64 v15, 0, v121, s0
	v_cmp_nlt_f32_e32 vcc_lo, 0x42b17218, v1
	v_cmp_nlt_f32_e64 s0, 0x42b17218, v2
	v_cndmask_b32_e32 v1, 0x7f800000, v16, vcc_lo
	v_cndmask_b32_e64 v2, 0x7f800000, v15, s0
	ds_read2_b32 v[21:22], v71 offset0:64 offset1:96
	ds_read_b128 v[15:18], v89 offset:16
	v_cvt_f16_f32_e32 v24, v1
	v_cvt_f16_f32_e32 v23, v2
	s_waitcnt lgkmcnt(3)
	v_mul_u32_u24_sdwa v25, v11, v99 dst_sel:DWORD dst_unused:UNUSED_PAD src0_sel:WORD_0 src1_sel:DWORD
	v_mul_u32_u24_sdwa v11, v11, v99 dst_sel:DWORD dst_unused:UNUSED_PAD src0_sel:WORD_1 src1_sel:DWORD
	v_mul_u32_u24_sdwa v28, v14, v99 dst_sel:DWORD dst_unused:UNUSED_PAD src0_sel:WORD_1 src1_sel:DWORD
	v_mul_u32_u24_sdwa v27, v24, v99 dst_sel:DWORD dst_unused:UNUSED_PAD src0_sel:WORD_0 src1_sel:DWORD
	v_mul_u32_u24_sdwa v26, v23, v99 dst_sel:DWORD dst_unused:UNUSED_PAD src0_sel:WORD_0 src1_sel:DWORD
	s_waitcnt lgkmcnt(2)
	v_pk_mul_f16 v25, v19, v25
	v_pk_mul_f16 v11, v19, v11
	ds_read2_b32 v[23:24], v71 offset0:128 offset1:160
	v_mul_u32_u24_sdwa v19, v12, v99 dst_sel:DWORD dst_unused:UNUSED_PAD src0_sel:WORD_0 src1_sel:DWORD
	v_mul_u32_u24_sdwa v12, v12, v99 dst_sel:DWORD dst_unused:UNUSED_PAD src0_sel:WORD_1 src1_sel:DWORD
	v_pk_fma_f16 v25, v118, v26, v25
	v_pk_fma_f16 v11, v117, v27, v11
	v_mul_u32_u24_sdwa v26, v13, v99 dst_sel:DWORD dst_unused:UNUSED_PAD src0_sel:WORD_0 src1_sel:DWORD
	v_mul_u32_u24_sdwa v13, v13, v99 dst_sel:DWORD dst_unused:UNUSED_PAD src0_sel:WORD_1 src1_sel:DWORD
	v_mul_u32_u24_sdwa v27, v14, v99 dst_sel:DWORD dst_unused:UNUSED_PAD src0_sel:WORD_0 src1_sel:DWORD
	v_pk_fma_f16 v25, v20, v19, v25
	v_pk_fma_f16 v11, v20, v12, v11
	ds_read2_b32 v[19:20], v71 offset0:192 offset1:224
	s_waitcnt lgkmcnt(3)
	v_pk_fma_f16 v25, v21, v26, v25
	v_pk_fma_f16 v21, v21, v13, v11
	ds_read_b128 v[11:14], v89 offset:32
	s_waitcnt lgkmcnt(3)
	v_mul_u32_u24_sdwa v26, v15, v99 dst_sel:DWORD dst_unused:UNUSED_PAD src0_sel:WORD_0 src1_sel:DWORD
	v_mul_u32_u24_sdwa v15, v15, v99 dst_sel:DWORD dst_unused:UNUSED_PAD src0_sel:WORD_1 src1_sel:DWORD
	v_pk_fma_f16 v25, v22, v27, v25
	v_pk_fma_f16 v27, v22, v28, v21
	ds_read2_b32 v[21:22], v100 offset1:32
	v_mul_u32_u24_sdwa v28, v16, v99 dst_sel:DWORD dst_unused:UNUSED_PAD src0_sel:WORD_0 src1_sel:DWORD
	v_mul_u32_u24_sdwa v16, v16, v99 dst_sel:DWORD dst_unused:UNUSED_PAD src0_sel:WORD_1 src1_sel:DWORD
	s_waitcnt lgkmcnt(3)
	v_pk_fma_f16 v25, v23, v26, v25
	v_pk_fma_f16 v15, v23, v15, v27
	v_mul_u32_u24_sdwa v26, v17, v99 dst_sel:DWORD dst_unused:UNUSED_PAD src0_sel:WORD_0 src1_sel:DWORD
	v_mul_u32_u24_sdwa v17, v17, v99 dst_sel:DWORD dst_unused:UNUSED_PAD src0_sel:WORD_1 src1_sel:DWORD
	v_mul_u32_u24_sdwa v27, v18, v99 dst_sel:DWORD dst_unused:UNUSED_PAD src0_sel:WORD_0 src1_sel:DWORD
	v_pk_fma_f16 v25, v24, v28, v25
	v_pk_fma_f16 v15, v24, v16, v15
	ds_read2_b32 v[23:24], v100 offset0:64 offset1:96
	v_mul_u32_u24_sdwa v28, v18, v99 dst_sel:DWORD dst_unused:UNUSED_PAD src0_sel:WORD_1 src1_sel:DWORD
	s_waitcnt lgkmcnt(3)
	v_pk_fma_f16 v25, v19, v26, v25
	v_pk_fma_f16 v19, v19, v17, v15
	ds_read_b128 v[15:18], v89 offset:48
	s_waitcnt lgkmcnt(3)
	v_mul_u32_u24_sdwa v26, v11, v99 dst_sel:DWORD dst_unused:UNUSED_PAD src0_sel:WORD_0 src1_sel:DWORD
	v_mul_u32_u24_sdwa v11, v11, v99 dst_sel:DWORD dst_unused:UNUSED_PAD src0_sel:WORD_1 src1_sel:DWORD
	v_pk_fma_f16 v25, v20, v27, v25
	v_pk_fma_f16 v27, v20, v28, v19
	ds_read2_b32 v[19:20], v100 offset0:128 offset1:160
	v_mul_u32_u24_sdwa v28, v12, v99 dst_sel:DWORD dst_unused:UNUSED_PAD src0_sel:WORD_0 src1_sel:DWORD
	v_mul_u32_u24_sdwa v12, v12, v99 dst_sel:DWORD dst_unused:UNUSED_PAD src0_sel:WORD_1 src1_sel:DWORD
	s_waitcnt lgkmcnt(3)
	v_pk_fma_f16 v25, v21, v26, v25
	v_pk_fma_f16 v11, v21, v11, v27
	v_mul_u32_u24_sdwa v26, v13, v99 dst_sel:DWORD dst_unused:UNUSED_PAD src0_sel:WORD_0 src1_sel:DWORD
	v_mul_u32_u24_sdwa v13, v13, v99 dst_sel:DWORD dst_unused:UNUSED_PAD src0_sel:WORD_1 src1_sel:DWORD
	v_mul_u32_u24_sdwa v27, v14, v99 dst_sel:DWORD dst_unused:UNUSED_PAD src0_sel:WORD_0 src1_sel:DWORD
	v_pk_fma_f16 v25, v22, v28, v25
	v_pk_fma_f16 v11, v22, v12, v11
	ds_read2_b32 v[21:22], v100 offset0:192 offset1:224
	v_mul_u32_u24_sdwa v28, v14, v99 dst_sel:DWORD dst_unused:UNUSED_PAD src0_sel:WORD_1 src1_sel:DWORD
	s_waitcnt lgkmcnt(3)
	v_pk_fma_f16 v25, v23, v26, v25
	v_pk_fma_f16 v23, v23, v13, v11
	ds_read_b128 v[11:14], v89 offset:64
	s_waitcnt lgkmcnt(3)
	v_mul_u32_u24_sdwa v26, v15, v99 dst_sel:DWORD dst_unused:UNUSED_PAD src0_sel:WORD_0 src1_sel:DWORD
	v_mul_u32_u24_sdwa v15, v15, v99 dst_sel:DWORD dst_unused:UNUSED_PAD src0_sel:WORD_1 src1_sel:DWORD
	v_pk_fma_f16 v25, v24, v27, v25
	v_pk_fma_f16 v27, v24, v28, v23
	ds_read2_b32 v[23:24], v101 offset1:32
	v_mul_u32_u24_sdwa v28, v16, v99 dst_sel:DWORD dst_unused:UNUSED_PAD src0_sel:WORD_0 src1_sel:DWORD
	v_mul_u32_u24_sdwa v16, v16, v99 dst_sel:DWORD dst_unused:UNUSED_PAD src0_sel:WORD_1 src1_sel:DWORD
	s_waitcnt lgkmcnt(3)
	v_pk_fma_f16 v25, v19, v26, v25
	v_pk_fma_f16 v15, v19, v15, v27
	v_mul_u32_u24_sdwa v26, v17, v99 dst_sel:DWORD dst_unused:UNUSED_PAD src0_sel:WORD_0 src1_sel:DWORD
	v_mul_u32_u24_sdwa v17, v17, v99 dst_sel:DWORD dst_unused:UNUSED_PAD src0_sel:WORD_1 src1_sel:DWORD
	v_mul_u32_u24_sdwa v27, v18, v99 dst_sel:DWORD dst_unused:UNUSED_PAD src0_sel:WORD_0 src1_sel:DWORD
	v_pk_fma_f16 v25, v20, v28, v25
	v_pk_fma_f16 v15, v20, v16, v15
	ds_read2_b32 v[19:20], v101 offset0:64 offset1:96
	v_mul_u32_u24_sdwa v28, v18, v99 dst_sel:DWORD dst_unused:UNUSED_PAD src0_sel:WORD_1 src1_sel:DWORD
	s_waitcnt lgkmcnt(3)
	v_pk_fma_f16 v25, v21, v26, v25
	v_pk_fma_f16 v21, v21, v17, v15
	ds_read_b128 v[15:18], v89 offset:80
	s_waitcnt lgkmcnt(3)
	v_mul_u32_u24_sdwa v26, v11, v99 dst_sel:DWORD dst_unused:UNUSED_PAD src0_sel:WORD_0 src1_sel:DWORD
	v_mul_u32_u24_sdwa v11, v11, v99 dst_sel:DWORD dst_unused:UNUSED_PAD src0_sel:WORD_1 src1_sel:DWORD
	v_pk_fma_f16 v25, v22, v27, v25
	v_pk_fma_f16 v27, v22, v28, v21
	ds_read2_b32 v[21:22], v101 offset0:128 offset1:160
	v_mul_u32_u24_sdwa v28, v12, v99 dst_sel:DWORD dst_unused:UNUSED_PAD src0_sel:WORD_0 src1_sel:DWORD
	v_mul_u32_u24_sdwa v12, v12, v99 dst_sel:DWORD dst_unused:UNUSED_PAD src0_sel:WORD_1 src1_sel:DWORD
	s_waitcnt lgkmcnt(3)
	v_pk_fma_f16 v25, v23, v26, v25
	v_pk_fma_f16 v11, v23, v11, v27
	v_mul_u32_u24_sdwa v26, v13, v99 dst_sel:DWORD dst_unused:UNUSED_PAD src0_sel:WORD_0 src1_sel:DWORD
	v_mul_u32_u24_sdwa v13, v13, v99 dst_sel:DWORD dst_unused:UNUSED_PAD src0_sel:WORD_1 src1_sel:DWORD
	v_mul_u32_u24_sdwa v27, v14, v99 dst_sel:DWORD dst_unused:UNUSED_PAD src0_sel:WORD_0 src1_sel:DWORD
	v_pk_fma_f16 v25, v24, v28, v25
	v_pk_fma_f16 v11, v24, v12, v11
	ds_read2_b32 v[23:24], v101 offset0:192 offset1:224
	v_mul_u32_u24_sdwa v28, v14, v99 dst_sel:DWORD dst_unused:UNUSED_PAD src0_sel:WORD_1 src1_sel:DWORD
	;; [unrolled: 44-line block ×10, first 2 shown]
	v_mov_b32_e32 v11, v115
	s_waitcnt lgkmcnt(3)
	v_pk_fma_f16 v30, v23, v21, v20
	v_pk_fma_f16 v12, v23, v13, v12
	ds_read_b128 v[19:22], v89 offset:352
	s_waitcnt lgkmcnt(3)
	v_mul_u32_u24_sdwa v13, v15, v99 dst_sel:DWORD dst_unused:UNUSED_PAD src0_sel:WORD_0 src1_sel:DWORD
	v_mul_u32_u24_sdwa v15, v15, v99 dst_sel:DWORD dst_unused:UNUSED_PAD src0_sel:WORD_1 src1_sel:DWORD
	v_pk_fma_f16 v29, v24, v29, v30
	v_pk_fma_f16 v12, v24, v14, v12
	ds_read2_b32 v[23:24], v110 offset1:32
	v_mul_u32_u24_sdwa v14, v16, v99 dst_sel:DWORD dst_unused:UNUSED_PAD src0_sel:WORD_0 src1_sel:DWORD
	v_mul_u32_u24_sdwa v16, v16, v99 dst_sel:DWORD dst_unused:UNUSED_PAD src0_sel:WORD_1 src1_sel:DWORD
	s_waitcnt lgkmcnt(3)
	v_pk_fma_f16 v13, v25, v13, v29
	v_pk_fma_f16 v12, v25, v15, v12
	v_mul_u32_u24_sdwa v15, v17, v99 dst_sel:DWORD dst_unused:UNUSED_PAD src0_sel:WORD_0 src1_sel:DWORD
	v_mul_u32_u24_sdwa v17, v17, v99 dst_sel:DWORD dst_unused:UNUSED_PAD src0_sel:WORD_1 src1_sel:DWORD
	v_mov_b32_e32 v29, v116
	v_pk_fma_f16 v13, v26, v14, v13
	v_pk_fma_f16 v12, v26, v16, v12
	ds_read2_b32 v[25:26], v110 offset0:64 offset1:96
	v_mul_u32_u24_sdwa v16, v18, v99 dst_sel:DWORD dst_unused:UNUSED_PAD src0_sel:WORD_0 src1_sel:DWORD
	v_mul_u32_u24_sdwa v18, v18, v99 dst_sel:DWORD dst_unused:UNUSED_PAD src0_sel:WORD_1 src1_sel:DWORD
	s_waitcnt lgkmcnt(3)
	v_pk_fma_f16 v30, v27, v15, v13
	v_pk_fma_f16 v17, v27, v17, v12
	ds_read_b128 v[12:15], v89 offset:368
	s_waitcnt lgkmcnt(3)
	v_mul_u32_u24_sdwa v31, v19, v99 dst_sel:DWORD dst_unused:UNUSED_PAD src0_sel:WORD_0 src1_sel:DWORD
	v_mul_u32_u24_sdwa v19, v19, v99 dst_sel:DWORD dst_unused:UNUSED_PAD src0_sel:WORD_1 src1_sel:DWORD
	v_pk_fma_f16 v16, v28, v16, v30
	v_pk_fma_f16 v17, v28, v18, v17
	ds_read2_b32 v[27:28], v110 offset0:128 offset1:160
	v_mul_u32_u24_sdwa v18, v20, v99 dst_sel:DWORD dst_unused:UNUSED_PAD src0_sel:WORD_0 src1_sel:DWORD
	v_mul_u32_u24_sdwa v20, v20, v99 dst_sel:DWORD dst_unused:UNUSED_PAD src0_sel:WORD_1 src1_sel:DWORD
	s_waitcnt lgkmcnt(3)
	v_pk_fma_f16 v16, v23, v31, v16
	v_pk_fma_f16 v17, v23, v19, v17
	v_add_f32_e32 v30, v9, v10
	v_mul_u32_u24_sdwa v9, v21, v99 dst_sel:DWORD dst_unused:UNUSED_PAD src0_sel:WORD_0 src1_sel:DWORD
	v_mul_u32_u24_sdwa v10, v21, v99 dst_sel:DWORD dst_unused:UNUSED_PAD src0_sel:WORD_1 src1_sel:DWORD
	v_pk_fma_f16 v16, v24, v18, v16
	v_pk_fma_f16 v17, v24, v20, v17
	ds_read2_b32 v[20:21], v110 offset0:192 offset1:224
	v_mul_u32_u24_sdwa v23, v22, v99 dst_sel:DWORD dst_unused:UNUSED_PAD src0_sel:WORD_0 src1_sel:DWORD
	v_mul_u32_u24_sdwa v22, v22, v99 dst_sel:DWORD dst_unused:UNUSED_PAD src0_sel:WORD_1 src1_sel:DWORD
	s_waitcnt lgkmcnt(3)
	v_pk_fma_f16 v9, v25, v9, v16
	v_pk_fma_f16 v10, v25, v10, v17
	ds_read_b128 v[16:19], v89 offset:384
	s_waitcnt lgkmcnt(3)
	v_mul_u32_u24_sdwa v24, v12, v99 dst_sel:DWORD dst_unused:UNUSED_PAD src0_sel:WORD_0 src1_sel:DWORD
	v_mul_u32_u24_sdwa v12, v12, v99 dst_sel:DWORD dst_unused:UNUSED_PAD src0_sel:WORD_1 src1_sel:DWORD
	v_pk_fma_f16 v9, v26, v23, v9
	v_pk_fma_f16 v10, v26, v22, v10
	ds_read2_b32 v[22:23], v111 offset1:32
	v_mul_u32_u24_sdwa v25, v13, v99 dst_sel:DWORD dst_unused:UNUSED_PAD src0_sel:WORD_0 src1_sel:DWORD
	v_mul_u32_u24_sdwa v13, v13, v99 dst_sel:DWORD dst_unused:UNUSED_PAD src0_sel:WORD_1 src1_sel:DWORD
	s_waitcnt lgkmcnt(3)
	v_pk_fma_f16 v9, v27, v24, v9
	v_pk_fma_f16 v10, v27, v12, v10
	v_add_f32_e32 v26, v7, v8
	v_mul_u32_u24_sdwa v7, v14, v99 dst_sel:DWORD dst_unused:UNUSED_PAD src0_sel:WORD_0 src1_sel:DWORD
	v_mul_u32_u24_sdwa v8, v14, v99 dst_sel:DWORD dst_unused:UNUSED_PAD src0_sel:WORD_1 src1_sel:DWORD
	v_pk_fma_f16 v9, v28, v25, v9
	v_pk_fma_f16 v10, v28, v13, v10
	ds_read2_b32 v[24:25], v111 offset0:64 offset1:96
	v_mul_u32_u24_sdwa v12, v15, v99 dst_sel:DWORD dst_unused:UNUSED_PAD src0_sel:WORD_0 src1_sel:DWORD
	v_mul_u32_u24_sdwa v13, v15, v99 dst_sel:DWORD dst_unused:UNUSED_PAD src0_sel:WORD_1 src1_sel:DWORD
	s_waitcnt lgkmcnt(3)
	v_pk_fma_f16 v14, v20, v7, v9
	v_pk_fma_f16 v15, v20, v8, v10
	ds_read_b128 v[7:10], v89 offset:400
	s_waitcnt lgkmcnt(3)
	v_mul_u32_u24_sdwa v27, v16, v99 dst_sel:DWORD dst_unused:UNUSED_PAD src0_sel:WORD_0 src1_sel:DWORD
	v_mul_u32_u24_sdwa v16, v16, v99 dst_sel:DWORD dst_unused:UNUSED_PAD src0_sel:WORD_1 src1_sel:DWORD
	v_pk_fma_f16 v12, v21, v12, v14
	v_pk_fma_f16 v13, v21, v13, v15
	ds_read2_b32 v[20:21], v111 offset0:128 offset1:160
	v_mul_u32_u24_sdwa v14, v17, v99 dst_sel:DWORD dst_unused:UNUSED_PAD src0_sel:WORD_0 src1_sel:DWORD
	v_mul_u32_u24_sdwa v15, v17, v99 dst_sel:DWORD dst_unused:UNUSED_PAD src0_sel:WORD_1 src1_sel:DWORD
	s_waitcnt lgkmcnt(3)
	v_pk_fma_f16 v12, v22, v27, v12
	v_pk_fma_f16 v13, v22, v16, v13
	v_add_f32_e32 v22, v6, v30
	v_mul_u32_u24_sdwa v6, v18, v99 dst_sel:DWORD dst_unused:UNUSED_PAD src0_sel:WORD_0 src1_sel:DWORD
	v_mul_u32_u24_sdwa v18, v18, v99 dst_sel:DWORD dst_unused:UNUSED_PAD src0_sel:WORD_1 src1_sel:DWORD
	v_pk_fma_f16 v12, v23, v14, v12
	v_pk_fma_f16 v13, v23, v15, v13
	ds_read2_b32 v[16:17], v111 offset0:192 offset1:224
	v_mul_u32_u24_sdwa v23, v19, v99 dst_sel:DWORD dst_unused:UNUSED_PAD src0_sel:WORD_0 src1_sel:DWORD
	v_mul_u32_u24_sdwa v19, v19, v99 dst_sel:DWORD dst_unused:UNUSED_PAD src0_sel:WORD_1 src1_sel:DWORD
	s_waitcnt lgkmcnt(3)
	v_pk_fma_f16 v6, v24, v6, v12
	v_pk_fma_f16 v18, v24, v18, v13
	ds_read_b128 v[12:15], v89 offset:416
	s_waitcnt lgkmcnt(3)
	v_mul_u32_u24_sdwa v24, v7, v99 dst_sel:DWORD dst_unused:UNUSED_PAD src0_sel:WORD_0 src1_sel:DWORD
	v_mul_u32_u24_sdwa v7, v7, v99 dst_sel:DWORD dst_unused:UNUSED_PAD src0_sel:WORD_1 src1_sel:DWORD
	v_pk_fma_f16 v6, v25, v23, v6
	v_pk_fma_f16 v23, v25, v19, v18
	ds_read2_b32 v[18:19], v112 offset1:32
	v_mul_u32_u24_sdwa v25, v8, v99 dst_sel:DWORD dst_unused:UNUSED_PAD src0_sel:WORD_0 src1_sel:DWORD
	v_mul_u32_u24_sdwa v8, v8, v99 dst_sel:DWORD dst_unused:UNUSED_PAD src0_sel:WORD_1 src1_sel:DWORD
	s_waitcnt lgkmcnt(3)
	v_pk_fma_f16 v6, v20, v24, v6
	v_pk_fma_f16 v7, v20, v7, v23
	v_add_f32_e32 v23, v5, v26
	v_mul_u32_u24_sdwa v5, v9, v99 dst_sel:DWORD dst_unused:UNUSED_PAD src0_sel:WORD_0 src1_sel:DWORD
	v_mul_u32_u24_sdwa v9, v9, v99 dst_sel:DWORD dst_unused:UNUSED_PAD src0_sel:WORD_1 src1_sel:DWORD
	;; [unrolled: 46-line block ×3, first 2 shown]
	v_pk_fma_f16 v4, v10, v22, v4
	v_pk_fma_f16 v5, v10, v6, v5
	ds_read2_b32 v[20:21], v113 offset0:64 offset1:96
	v_mul_u32_u24_sdwa v9, v8, v99 dst_sel:DWORD dst_unused:UNUSED_PAD src0_sel:WORD_0 src1_sel:DWORD
	v_mul_u32_u24_sdwa v8, v8, v99 dst_sel:DWORD dst_unused:UNUSED_PAD src0_sel:WORD_1 src1_sel:DWORD
	s_waitcnt lgkmcnt(3)
	v_pk_fma_f16 v10, v16, v3, v4
	v_pk_fma_f16 v7, v16, v7, v5
	ds_read_b128 v[3:6], v89 offset:464
	s_waitcnt lgkmcnt(3)
	v_mul_u32_u24_sdwa v22, v12, v99 dst_sel:DWORD dst_unused:UNUSED_PAD src0_sel:WORD_0 src1_sel:DWORD
	v_mul_u32_u24_sdwa v12, v12, v99 dst_sel:DWORD dst_unused:UNUSED_PAD src0_sel:WORD_1 src1_sel:DWORD
	v_pk_fma_f16 v9, v17, v9, v10
	v_pk_fma_f16 v7, v17, v8, v7
	ds_read2_b32 v[16:17], v113 offset0:128 offset1:160
	v_mul_u32_u24_sdwa v8, v13, v99 dst_sel:DWORD dst_unused:UNUSED_PAD src0_sel:WORD_0 src1_sel:DWORD
	v_mul_u32_u24_sdwa v10, v13, v99 dst_sel:DWORD dst_unused:UNUSED_PAD src0_sel:WORD_1 src1_sel:DWORD
	s_waitcnt lgkmcnt(3)
	v_pk_fma_f16 v9, v18, v22, v9
	v_pk_fma_f16 v7, v18, v12, v7
	v_mul_u32_u24_sdwa v12, v14, v99 dst_sel:DWORD dst_unused:UNUSED_PAD src0_sel:WORD_0 src1_sel:DWORD
	v_mul_u32_u24_sdwa v13, v14, v99 dst_sel:DWORD dst_unused:UNUSED_PAD src0_sel:WORD_1 src1_sel:DWORD
	ds_read2_b32 v[22:23], v113 offset0:192 offset1:224
	v_pk_fma_f16 v8, v19, v8, v9
	v_pk_fma_f16 v7, v19, v10, v7
	v_mul_u32_u24_sdwa v14, v15, v99 dst_sel:DWORD dst_unused:UNUSED_PAD src0_sel:WORD_0 src1_sel:DWORD
	v_mul_u32_u24_sdwa v15, v15, v99 dst_sel:DWORD dst_unused:UNUSED_PAD src0_sel:WORD_1 src1_sel:DWORD
	ds_read2_b32 v[18:19], v114 offset1:32
	s_waitcnt lgkmcnt(4)
	v_pk_fma_f16 v12, v20, v12, v8
	v_pk_fma_f16 v13, v20, v13, v7
	ds_read_b128 v[7:10], v89 offset:480
	s_waitcnt lgkmcnt(4)
	v_mul_u32_u24_sdwa v24, v3, v99 dst_sel:DWORD dst_unused:UNUSED_PAD src0_sel:WORD_0 src1_sel:DWORD
	v_mul_u32_u24_sdwa v3, v3, v99 dst_sel:DWORD dst_unused:UNUSED_PAD src0_sel:WORD_1 src1_sel:DWORD
	v_pk_fma_f16 v12, v21, v14, v12
	v_pk_fma_f16 v13, v21, v15, v13
	v_mul_u32_u24_sdwa v14, v4, v99 dst_sel:DWORD dst_unused:UNUSED_PAD src0_sel:WORD_0 src1_sel:DWORD
	v_mul_u32_u24_sdwa v15, v4, v99 dst_sel:DWORD dst_unused:UNUSED_PAD src0_sel:WORD_1 src1_sel:DWORD
	ds_read2_b32 v[20:21], v114 offset0:64 offset1:96
	s_waitcnt lgkmcnt(4)
	v_pk_fma_f16 v12, v16, v24, v12
	v_pk_fma_f16 v13, v16, v3, v13
	v_mul_u32_u24_sdwa v16, v5, v99 dst_sel:DWORD dst_unused:UNUSED_PAD src0_sel:WORD_0 src1_sel:DWORD
	v_mul_u32_u24_sdwa v5, v5, v99 dst_sel:DWORD dst_unused:UNUSED_PAD src0_sel:WORD_1 src1_sel:DWORD
	v_mul_u32_u24_sdwa v25, v6, v99 dst_sel:DWORD dst_unused:UNUSED_PAD src0_sel:WORD_0 src1_sel:DWORD
	v_pk_fma_f16 v24, v17, v14, v12
	v_pk_fma_f16 v17, v17, v15, v13
	v_mul_u32_u24_sdwa v26, v6, v99 dst_sel:DWORD dst_unused:UNUSED_PAD src0_sel:WORD_1 src1_sel:DWORD
	ds_read_b128 v[12:15], v89 offset:496
	ds_read2_b32 v[3:4], v114 offset0:128 offset1:160
	s_waitcnt lgkmcnt(5)
	v_pk_fma_f16 v16, v22, v16, v24
	v_pk_fma_f16 v17, v22, v5, v17
	s_waitcnt lgkmcnt(3)
	v_mul_u32_u24_sdwa v22, v7, v99 dst_sel:DWORD dst_unused:UNUSED_PAD src0_sel:WORD_0 src1_sel:DWORD
	v_mul_u32_u24_sdwa v7, v7, v99 dst_sel:DWORD dst_unused:UNUSED_PAD src0_sel:WORD_1 src1_sel:DWORD
	ds_read2_b32 v[5:6], v114 offset0:192 offset1:224
	v_pk_fma_f16 v16, v23, v25, v16
	v_pk_fma_f16 v17, v23, v26, v17
	v_mul_u32_u24_sdwa v23, v8, v99 dst_sel:DWORD dst_unused:UNUSED_PAD src0_sel:WORD_0 src1_sel:DWORD
	v_mul_u32_u24_sdwa v8, v8, v99 dst_sel:DWORD dst_unused:UNUSED_PAD src0_sel:WORD_1 src1_sel:DWORD
	s_waitcnt lgkmcnt(0)
	v_pk_fma_f16 v16, v18, v22, v16
	v_pk_fma_f16 v7, v18, v7, v17
	v_mul_u32_u24_sdwa v17, v9, v99 dst_sel:DWORD dst_unused:UNUSED_PAD src0_sel:WORD_0 src1_sel:DWORD
	v_mul_u32_u24_sdwa v9, v9, v99 dst_sel:DWORD dst_unused:UNUSED_PAD src0_sel:WORD_1 src1_sel:DWORD
	s_barrier
	v_pk_fma_f16 v16, v19, v23, v16
	v_pk_fma_f16 v7, v19, v8, v7
	v_mul_u32_u24_sdwa v8, v10, v99 dst_sel:DWORD dst_unused:UNUSED_PAD src0_sel:WORD_0 src1_sel:DWORD
	v_mul_u32_u24_sdwa v10, v10, v99 dst_sel:DWORD dst_unused:UNUSED_PAD src0_sel:WORD_1 src1_sel:DWORD
	buffer_gl0_inv
	v_pk_fma_f16 v16, v20, v17, v16
	v_pk_fma_f16 v7, v20, v9, v7
	s_load_dword s0, s[10:11], 0x4
	v_mul_u32_u24_sdwa v9, v12, v99 dst_sel:DWORD dst_unused:UNUSED_PAD src0_sel:WORD_0 src1_sel:DWORD
	v_mul_u32_u24_sdwa v12, v12, v99 dst_sel:DWORD dst_unused:UNUSED_PAD src0_sel:WORD_1 src1_sel:DWORD
	v_pk_fma_f16 v8, v21, v8, v16
	v_pk_fma_f16 v7, v21, v10, v7
	v_fmac_f32_e32 v115, v11, v2
	v_mul_u32_u24_sdwa v2, v13, v99 dst_sel:DWORD dst_unused:UNUSED_PAD src0_sel:WORD_0 src1_sel:DWORD
	v_mul_u32_u24_sdwa v10, v13, v99 dst_sel:DWORD dst_unused:UNUSED_PAD src0_sel:WORD_1 src1_sel:DWORD
	v_pk_fma_f16 v8, v3, v9, v8
	v_pk_fma_f16 v3, v3, v12, v7
	v_mul_u32_u24_sdwa v7, v14, v99 dst_sel:DWORD dst_unused:UNUSED_PAD src0_sel:WORD_0 src1_sel:DWORD
	v_mul_u32_u24_sdwa v9, v14, v99 dst_sel:DWORD dst_unused:UNUSED_PAD src0_sel:WORD_1 src1_sel:DWORD
	v_fmac_f32_e32 v116, v29, v1
	v_pk_fma_f16 v2, v4, v2, v8
	v_pk_fma_f16 v3, v4, v10, v3
	v_mul_u32_u24_sdwa v1, v15, v99 dst_sel:DWORD dst_unused:UNUSED_PAD src0_sel:WORD_0 src1_sel:DWORD
	v_mul_u32_u24_sdwa v4, v15, v99 dst_sel:DWORD dst_unused:UNUSED_PAD src0_sel:WORD_1 src1_sel:DWORD
	v_pk_fma_f16 v2, v5, v7, v2
	v_pk_fma_f16 v3, v5, v9, v3
	s_waitcnt lgkmcnt(0)
	s_lshl_b32 s0, s0, 7
	s_add_i32 s9, s0, s9
	v_pk_fma_f16 v118, v6, v1, v2
	v_pk_fma_f16 v117, v6, v4, v3
	s_cmp_ge_i32 s9, s30
	s_cbranch_scc0 .LBB27_9
; %bb.10:
	v_mov_b32_e32 v4, v70
.LBB27_11:
	v_lshlrev_b32_e32 v7, 1, v0
	v_cmp_lt_i32_e32 vcc_lo, v83, v72
	s_cmp_lg_u64 s[16:17], 0
	s_cselect_b32 s0, -1, 0
	s_cmp_eq_u32 s28, 0
	v_cndmask_b32_e32 v1, v4, v83, vcc_lo
	v_cmp_lt_i32_e32 vcc_lo, v77, v72
	s_cselect_b32 s1, -1, 0
	s_and_b32 s0, s1, s0
	v_lshlrev_b32_e32 v1, 2, v1
	v_cndmask_b32_e32 v3, v4, v77, vcc_lo
	v_cmp_lt_i32_e32 vcc_lo, v76, v72
	ds_bpermute_b32 v2, v1, v115
	ds_bpermute_b32 v1, v1, v116
	v_lshlrev_b32_e32 v3, 2, v3
	v_cndmask_b32_e32 v6, v4, v76, vcc_lo
	v_cmp_lt_i32_e32 vcc_lo, v75, v72
	v_lshlrev_b32_e32 v6, 2, v6
	s_waitcnt lgkmcnt(1)
	v_add_f32_e32 v2, v115, v2
	s_waitcnt lgkmcnt(0)
	v_add_f32_e32 v1, v116, v1
	ds_bpermute_b32 v5, v3, v2
	ds_bpermute_b32 v3, v3, v1
	s_waitcnt lgkmcnt(1)
	v_add_f32_e32 v2, v2, v5
	s_waitcnt lgkmcnt(0)
	v_add_f32_e32 v1, v1, v3
	ds_bpermute_b32 v3, v6, v2
	ds_bpermute_b32 v5, v6, v1
	v_cndmask_b32_e32 v6, v4, v75, vcc_lo
	v_cmp_lt_i32_e32 vcc_lo, v74, v72
	v_lshlrev_b32_e32 v6, 2, v6
	v_cndmask_b32_e32 v4, v4, v74, vcc_lo
	s_and_b32 vcc_lo, exec_lo, s0
	v_lshlrev_b32_e32 v4, 2, v4
	s_waitcnt lgkmcnt(1)
	v_add_f32_e32 v2, v2, v3
	s_waitcnt lgkmcnt(0)
	v_add_f32_e32 v1, v1, v5
	ds_bpermute_b32 v3, v6, v2
	ds_bpermute_b32 v5, v6, v1
	s_waitcnt lgkmcnt(1)
	v_add_f32_e32 v2, v2, v3
	s_waitcnt lgkmcnt(0)
	v_add_f32_e32 v3, v1, v5
	ds_bpermute_b32 v1, v4, v2
	ds_bpermute_b32 v4, v4, v3
	s_waitcnt lgkmcnt(1)
	v_add_f32_e32 v1, v2, v1
	s_waitcnt lgkmcnt(0)
	v_add_f32_e32 v2, v3, v4
	s_cbranch_vccz .LBB27_13
; %bb.12:
	v_add_nc_u32_e32 v3, s33, v69
	v_max_f32_e32 v5, v67, v67
	v_max_f32_e32 v8, v68, v68
	v_ashrrev_i32_e32 v4, 31, v3
	v_lshlrev_b64 v[3:4], 2, v[3:4]
	v_add_co_u32 v3, vcc_lo, s16, v3
	v_add_co_ci_u32_e64 v4, null, s17, v4, vcc_lo
	global_load_dwordx2 v[3:4], v[3:4], off
	s_waitcnt vmcnt(0)
	v_max_f32_e32 v6, v3, v3
	v_max_f32_e32 v9, v4, v4
	;; [unrolled: 1-line block ×4, first 2 shown]
	v_sub_f32_e32 v8, v67, v5
	v_sub_f32_e32 v9, v68, v6
	;; [unrolled: 1-line block ×4, first 2 shown]
	v_mov_b32_e32 v68, v6
	v_mul_f32_e32 v10, 0x3fb8aa3b, v8
	v_mul_f32_e32 v12, 0x3fb8aa3b, v9
	;; [unrolled: 1-line block ×4, first 2 shown]
	v_cmp_ngt_f32_e32 vcc_lo, 0xc2ce8ed0, v8
	v_fma_f32 v14, 0x3fb8aa3b, v8, -v10
	v_rndne_f32_e32 v15, v10
	v_fma_f32 v18, 0x3fb8aa3b, v9, -v12
	v_rndne_f32_e32 v19, v12
	v_fma_f32 v16, 0x3fb8aa3b, v3, -v11
	v_fmac_f32_e32 v14, 0x32a5705f, v8
	v_sub_f32_e32 v10, v10, v15
	v_rndne_f32_e32 v17, v11
	v_fmac_f32_e32 v18, 0x32a5705f, v9
	v_sub_f32_e32 v12, v12, v19
	v_fmac_f32_e32 v16, 0x32a5705f, v3
	v_add_f32_e32 v10, v10, v14
	v_sub_f32_e32 v11, v11, v17
	v_cvt_i32_f32_e32 v14, v15
	v_add_f32_e32 v12, v12, v18
	v_fma_f32 v20, 0x3fb8aa3b, v4, -v13
	v_exp_f32_e32 v10, v10
	v_add_f32_e32 v11, v11, v16
	v_rndne_f32_e32 v21, v13
	v_exp_f32_e32 v12, v12
	v_cvt_i32_f32_e32 v16, v19
	v_fmac_f32_e32 v20, 0x32a5705f, v4
	v_exp_f32_e32 v11, v11
	v_sub_f32_e32 v13, v13, v21
	v_cvt_i32_f32_e32 v15, v17
	v_cvt_i32_f32_e32 v17, v21
	v_ldexp_f32 v10, v10, v14
	v_mov_b32_e32 v18, 0x10001
	v_add_f32_e32 v13, v13, v20
	v_ldexp_f32 v12, v12, v16
	v_mov_b32_e32 v67, v5
	v_cndmask_b32_e32 v10, 0, v10, vcc_lo
	v_cmp_ngt_f32_e32 vcc_lo, 0xc2ce8ed0, v9
	v_ldexp_f32 v11, v11, v15
	v_exp_f32_e32 v13, v13
	v_cndmask_b32_e32 v12, 0, v12, vcc_lo
	v_cmp_ngt_f32_e32 vcc_lo, 0xc2ce8ed0, v3
	v_cndmask_b32_e32 v11, 0, v11, vcc_lo
	v_cmp_nlt_f32_e32 vcc_lo, 0x42b17218, v8
	v_ldexp_f32 v13, v13, v17
	v_cndmask_b32_e32 v8, 0x7f800000, v10, vcc_lo
	v_cmp_nlt_f32_e32 vcc_lo, 0x42b17218, v9
	v_cndmask_b32_e32 v9, 0x7f800000, v12, vcc_lo
	v_cmp_ngt_f32_e32 vcc_lo, 0xc2ce8ed0, v4
	v_cvt_f16_f32_e32 v12, v9
	v_cndmask_b32_e32 v10, 0, v13, vcc_lo
	v_cmp_nlt_f32_e32 vcc_lo, 0x42b17218, v3
	v_cndmask_b32_e32 v3, 0x7f800000, v11, vcc_lo
	v_cmp_nlt_f32_e32 vcc_lo, 0x42b17218, v4
	v_cvt_f16_f32_e32 v11, v8
	v_fmac_f32_e32 v3, v1, v8
	v_cndmask_b32_e32 v4, 0x7f800000, v10, vcc_lo
	v_mul_u32_u24_sdwa v8, v11, v18 dst_sel:DWORD dst_unused:UNUSED_PAD src0_sel:WORD_0 src1_sel:DWORD
	v_mul_u32_u24_sdwa v10, v12, v18 dst_sel:DWORD dst_unused:UNUSED_PAD src0_sel:WORD_0 src1_sel:DWORD
	v_mov_b32_e32 v1, v3
	v_fmac_f32_e32 v4, v2, v9
	v_pk_mul_f16 v118, v118, v8
	v_pk_mul_f16 v117, v117, v10
	v_mov_b32_e32 v2, v4
	s_mov_b32 s0, exec_lo
	v_cmpx_gt_i32_e64 s26, v33
	s_cbranch_execnz .LBB27_14
	s_branch .LBB27_22
.LBB27_13:
	v_mov_b32_e32 v4, v2
	v_mov_b32_e32 v3, v1
	s_mov_b32 s0, exec_lo
	v_cmpx_gt_i32_e64 s26, v33
	s_cbranch_execz .LBB27_22
.LBB27_14:
	s_load_dword s1, s[4:5], 0xd4
	v_mov_b32_e32 v8, 1.0
	s_waitcnt lgkmcnt(0)
	s_cmp_lg_u32 s1, 1
	s_cselect_b32 s3, -1, 0
	s_cmp_eq_u32 s1, 1
	s_cselect_b32 s2, -1, 0
	s_and_b32 vcc_lo, exec_lo, s3
	s_cbranch_vccnz .LBB27_16
; %bb.15:
	v_div_scale_f32 v5, null, v1, v1, 1.0
	v_rcp_f32_e32 v6, v5
	v_fma_f32 v8, -v5, v6, 1.0
	v_fmac_f32_e32 v6, v8, v6
	v_div_scale_f32 v8, vcc_lo, 1.0, v1, 1.0
	v_mul_f32_e32 v9, v8, v6
	v_fma_f32 v10, -v5, v9, v8
	v_fmac_f32_e32 v9, v10, v6
	v_fma_f32 v5, -v5, v9, v8
	v_div_fmas_f32 v5, v5, v6, v9
	v_div_fixup_f32 v8, v5, v1, 1.0
.LBB27_16:
	v_mad_u64_u32 v[5:6], null, s29, s26, v[33:34]
	v_mov_b32_e32 v10, 0
	v_cmp_eq_u32_e32 vcc_lo, 0, v0
	v_mul_lo_u32 v1, v5, s27
	v_add3_u32 v1, s33, v69, v1
	v_mad_u64_u32 v[5:6], null, s1, v1, s[28:29]
	v_cvt_f32_f16_e32 v1, v118
	v_cvt_f32_f16_sdwa v6, v118 dst_sel:DWORD dst_unused:UNUSED_PAD src0_sel:WORD_1
	v_mul_f32_e32 v0, v8, v1
	v_lshl_add_u32 v9, v5, 6, v7
	v_mul_f32_e32 v1, v8, v6
	v_lshlrev_b64 v[9:10], 2, v[9:10]
	v_add_co_u32 v8, s0, s20, v9
	v_add_co_ci_u32_e64 v9, null, s21, v10, s0
	s_and_b32 s0, vcc_lo, s3
	global_store_dwordx2 v[8:9], v[0:1], off
	s_and_saveexec_b32 s3, s0
	s_cbranch_execz .LBB27_18
; %bb.17:
	v_ashrrev_i32_e32 v6, 31, v5
	v_mov_b32_e32 v8, v67
	v_mov_b32_e32 v9, v3
	v_lshlrev_b64 v[0:1], 3, v[5:6]
	v_add_co_u32 v0, vcc_lo, s22, v0
	v_add_co_ci_u32_e64 v1, null, s23, v1, vcc_lo
	global_store_dwordx2 v[0:1], v[8:9], off
.LBB27_18:
	s_or_b32 exec_lo, exec_lo, s3
	v_mov_b32_e32 v1, 1.0
	s_andn2_b32 vcc_lo, exec_lo, s2
	s_cbranch_vccnz .LBB27_20
; %bb.19:
	v_div_scale_f32 v0, null, v2, v2, 1.0
	v_rcp_f32_e32 v1, v0
	v_fma_f32 v3, -v0, v1, 1.0
	v_fmac_f32_e32 v1, v3, v1
	v_div_scale_f32 v3, vcc_lo, 1.0, v2, 1.0
	v_mul_f32_e32 v6, v3, v1
	v_fma_f32 v8, -v0, v6, v3
	v_fmac_f32_e32 v6, v8, v1
	v_fma_f32 v0, -v0, v6, v3
	v_div_fmas_f32 v0, v0, v1, v6
	v_div_fixup_f32 v1, v0, v2, 1.0
.LBB27_20:
	v_add_nc_u32_e32 v0, s1, v5
	v_mov_b32_e32 v3, 0
	v_cvt_f32_f16_e32 v5, v117
	v_cvt_f32_f16_sdwa v6, v117 dst_sel:DWORD dst_unused:UNUSED_PAD src0_sel:WORD_1
	v_lshl_add_u32 v2, v0, 6, v7
	v_mul_f32_e32 v5, v1, v5
	v_mul_f32_e32 v6, v1, v6
	v_lshlrev_b64 v[2:3], 2, v[2:3]
	v_add_co_u32 v1, vcc_lo, s20, v2
	v_add_co_ci_u32_e64 v2, null, s21, v3, vcc_lo
	global_store_dwordx2 v[1:2], v[5:6], off
	s_and_b32 exec_lo, exec_lo, s0
	s_cbranch_execz .LBB27_22
; %bb.21:
	v_ashrrev_i32_e32 v1, 31, v0
	v_mov_b32_e32 v3, v68
	v_lshlrev_b64 v[0:1], 3, v[0:1]
	v_add_co_u32 v0, vcc_lo, s22, v0
	v_add_co_ci_u32_e64 v1, null, s23, v1, vcc_lo
	global_store_dwordx2 v[0:1], v[3:4], off
	s_endpgm
.LBB27_22:
	s_endpgm
	.section	.rodata,"a",@progbits
	.p2align	6, 0x0
	.amdhsa_kernel _ZL15flash_attn_tileILi64ELi64ELi2ELi4ELb0EEvPKcS1_S1_S1_S1_PKiPfP15HIP_vector_typeIfLj2EEffffjfiS5_IjLj3EEiiiiiiiiiiiliiliiiiil
		.amdhsa_group_segment_fixed_size 21504
		.amdhsa_private_segment_fixed_size 0
		.amdhsa_kernarg_size 464
		.amdhsa_user_sgpr_count 6
		.amdhsa_user_sgpr_private_segment_buffer 1
		.amdhsa_user_sgpr_dispatch_ptr 0
		.amdhsa_user_sgpr_queue_ptr 0
		.amdhsa_user_sgpr_kernarg_segment_ptr 1
		.amdhsa_user_sgpr_dispatch_id 0
		.amdhsa_user_sgpr_flat_scratch_init 0
		.amdhsa_user_sgpr_private_segment_size 0
		.amdhsa_wavefront_size32 1
		.amdhsa_uses_dynamic_stack 0
		.amdhsa_system_sgpr_private_segment_wavefront_offset 0
		.amdhsa_system_sgpr_workgroup_id_x 1
		.amdhsa_system_sgpr_workgroup_id_y 1
		.amdhsa_system_sgpr_workgroup_id_z 1
		.amdhsa_system_sgpr_workgroup_info 0
		.amdhsa_system_vgpr_workitem_id 1
		.amdhsa_next_free_vgpr 159
		.amdhsa_next_free_sgpr 40
		.amdhsa_reserve_vcc 1
		.amdhsa_reserve_flat_scratch 0
		.amdhsa_float_round_mode_32 0
		.amdhsa_float_round_mode_16_64 0
		.amdhsa_float_denorm_mode_32 3
		.amdhsa_float_denorm_mode_16_64 3
		.amdhsa_dx10_clamp 1
		.amdhsa_ieee_mode 1
		.amdhsa_fp16_overflow 0
		.amdhsa_workgroup_processor_mode 1
		.amdhsa_memory_ordered 1
		.amdhsa_forward_progress 1
		.amdhsa_shared_vgpr_count 0
		.amdhsa_exception_fp_ieee_invalid_op 0
		.amdhsa_exception_fp_denorm_src 0
		.amdhsa_exception_fp_ieee_div_zero 0
		.amdhsa_exception_fp_ieee_overflow 0
		.amdhsa_exception_fp_ieee_underflow 0
		.amdhsa_exception_fp_ieee_inexact 0
		.amdhsa_exception_int_div_zero 0
	.end_amdhsa_kernel
	.section	.text._ZL15flash_attn_tileILi64ELi64ELi2ELi4ELb0EEvPKcS1_S1_S1_S1_PKiPfP15HIP_vector_typeIfLj2EEffffjfiS5_IjLj3EEiiiiiiiiiiiliiliiiiil,"axG",@progbits,_ZL15flash_attn_tileILi64ELi64ELi2ELi4ELb0EEvPKcS1_S1_S1_S1_PKiPfP15HIP_vector_typeIfLj2EEffffjfiS5_IjLj3EEiiiiiiiiiiiliiliiiiil,comdat
.Lfunc_end27:
	.size	_ZL15flash_attn_tileILi64ELi64ELi2ELi4ELb0EEvPKcS1_S1_S1_S1_PKiPfP15HIP_vector_typeIfLj2EEffffjfiS5_IjLj3EEiiiiiiiiiiiliiliiiiil, .Lfunc_end27-_ZL15flash_attn_tileILi64ELi64ELi2ELi4ELb0EEvPKcS1_S1_S1_S1_PKiPfP15HIP_vector_typeIfLj2EEffffjfiS5_IjLj3EEiiiiiiiiiiiliiliiiiil
                                        ; -- End function
	.set _ZL15flash_attn_tileILi64ELi64ELi2ELi4ELb0EEvPKcS1_S1_S1_S1_PKiPfP15HIP_vector_typeIfLj2EEffffjfiS5_IjLj3EEiiiiiiiiiiiliiliiiiil.num_vgpr, 159
	.set _ZL15flash_attn_tileILi64ELi64ELi2ELi4ELb0EEvPKcS1_S1_S1_S1_PKiPfP15HIP_vector_typeIfLj2EEffffjfiS5_IjLj3EEiiiiiiiiiiiliiliiiiil.num_agpr, 0
	.set _ZL15flash_attn_tileILi64ELi64ELi2ELi4ELb0EEvPKcS1_S1_S1_S1_PKiPfP15HIP_vector_typeIfLj2EEffffjfiS5_IjLj3EEiiiiiiiiiiiliiliiiiil.numbered_sgpr, 40
	.set _ZL15flash_attn_tileILi64ELi64ELi2ELi4ELb0EEvPKcS1_S1_S1_S1_PKiPfP15HIP_vector_typeIfLj2EEffffjfiS5_IjLj3EEiiiiiiiiiiiliiliiiiil.num_named_barrier, 0
	.set _ZL15flash_attn_tileILi64ELi64ELi2ELi4ELb0EEvPKcS1_S1_S1_S1_PKiPfP15HIP_vector_typeIfLj2EEffffjfiS5_IjLj3EEiiiiiiiiiiiliiliiiiil.private_seg_size, 0
	.set _ZL15flash_attn_tileILi64ELi64ELi2ELi4ELb0EEvPKcS1_S1_S1_S1_PKiPfP15HIP_vector_typeIfLj2EEffffjfiS5_IjLj3EEiiiiiiiiiiiliiliiiiil.uses_vcc, 1
	.set _ZL15flash_attn_tileILi64ELi64ELi2ELi4ELb0EEvPKcS1_S1_S1_S1_PKiPfP15HIP_vector_typeIfLj2EEffffjfiS5_IjLj3EEiiiiiiiiiiiliiliiiiil.uses_flat_scratch, 0
	.set _ZL15flash_attn_tileILi64ELi64ELi2ELi4ELb0EEvPKcS1_S1_S1_S1_PKiPfP15HIP_vector_typeIfLj2EEffffjfiS5_IjLj3EEiiiiiiiiiiiliiliiiiil.has_dyn_sized_stack, 0
	.set _ZL15flash_attn_tileILi64ELi64ELi2ELi4ELb0EEvPKcS1_S1_S1_S1_PKiPfP15HIP_vector_typeIfLj2EEffffjfiS5_IjLj3EEiiiiiiiiiiiliiliiiiil.has_recursion, 0
	.set _ZL15flash_attn_tileILi64ELi64ELi2ELi4ELb0EEvPKcS1_S1_S1_S1_PKiPfP15HIP_vector_typeIfLj2EEffffjfiS5_IjLj3EEiiiiiiiiiiiliiliiiiil.has_indirect_call, 0
	.section	.AMDGPU.csdata,"",@progbits
; Kernel info:
; codeLenInByte = 16744
; TotalNumSgprs: 42
; NumVgprs: 159
; ScratchSize: 0
; MemoryBound: 0
; FloatMode: 240
; IeeeMode: 1
; LDSByteSize: 21504 bytes/workgroup (compile time only)
; SGPRBlocks: 0
; VGPRBlocks: 19
; NumSGPRsForWavesPerEU: 42
; NumVGPRsForWavesPerEU: 159
; Occupancy: 6
; WaveLimiterHint : 1
; COMPUTE_PGM_RSRC2:SCRATCH_EN: 0
; COMPUTE_PGM_RSRC2:USER_SGPR: 6
; COMPUTE_PGM_RSRC2:TRAP_HANDLER: 0
; COMPUTE_PGM_RSRC2:TGID_X_EN: 1
; COMPUTE_PGM_RSRC2:TGID_Y_EN: 1
; COMPUTE_PGM_RSRC2:TGID_Z_EN: 1
; COMPUTE_PGM_RSRC2:TIDIG_COMP_CNT: 1
	.section	.text._ZL33flash_attn_stream_k_fixup_uniformILi64ELi2ELi4EEvPfPK15HIP_vector_typeIfLj2EEiiiiiiS1_IjLj3EES5_S5_,"axG",@progbits,_ZL33flash_attn_stream_k_fixup_uniformILi64ELi2ELi4EEvPfPK15HIP_vector_typeIfLj2EEiiiiiiS1_IjLj3EES5_S5_,comdat
	.globl	_ZL33flash_attn_stream_k_fixup_uniformILi64ELi2ELi4EEvPfPK15HIP_vector_typeIfLj2EEiiiiiiS1_IjLj3EES5_S5_ ; -- Begin function _ZL33flash_attn_stream_k_fixup_uniformILi64ELi2ELi4EEvPfPK15HIP_vector_typeIfLj2EEiiiiiiS1_IjLj3EES5_S5_
	.p2align	8
	.type	_ZL33flash_attn_stream_k_fixup_uniformILi64ELi2ELi4EEvPfPK15HIP_vector_typeIfLj2EEiiiiiiS1_IjLj3EES5_S5_,@function
_ZL33flash_attn_stream_k_fixup_uniformILi64ELi2ELi4EEvPfPK15HIP_vector_typeIfLj2EEiiiiiiS1_IjLj3EES5_S5_: ; @_ZL33flash_attn_stream_k_fixup_uniformILi64ELi2ELi4EEvPfPK15HIP_vector_typeIfLj2EEiiiiiiS1_IjLj3EES5_S5_
; %bb.0:
	s_clause 0x2
	s_load_dwordx8 s[12:19], s[4:5], 0x1c
	s_load_dwordx4 s[20:23], s[4:5], 0x3c
	s_load_dwordx2 s[10:11], s[4:5], 0x10
	s_waitcnt lgkmcnt(0)
	s_mul_hi_u32 s0, s15, s6
	s_add_i32 s0, s6, s0
	s_lshr_b32 s0, s0, s16
	s_mul_i32 s1, s0, s17
	s_sub_i32 s2, s6, s1
	s_mul_hi_u32 s1, s2, s18
	s_add_i32 s1, s2, s1
	s_lshr_b32 s1, s1, s19
	s_mul_i32 s3, s1, s20
	s_sub_i32 s2, s2, s3
	s_mul_hi_u32 s3, s2, s21
	s_add_i32 s3, s2, s3
	s_lshr_b32 s3, s3, s22
	s_mul_i32 s9, s3, s23
	s_lshl_b32 s15, s3, 2
	s_sub_i32 s9, s2, s9
	s_lshl_b32 s2, s9, 1
	s_add_i32 s2, s2, s7
	s_cmp_lt_i32 s2, s10
	s_cselect_b32 s2, -1, 0
	s_add_i32 s3, s15, s8
	s_cmp_lt_i32 s3, s13
	s_cselect_b32 s3, -1, 0
	s_and_b32 s2, s2, s3
	s_andn2_b32 vcc_lo, exec_lo, s2
	s_cbranch_vccnz .LBB28_6
; %bb.1:
	s_mul_i32 s0, s0, s10
	s_mul_i32 s10, s1, s13
	s_add_i32 s0, s0, s7
	s_mul_i32 s0, s0, s11
	s_add_i32 s13, s0, s8
	s_load_dwordx4 s[0:3], s[4:5], 0x0
	s_add_i32 s4, s13, s10
	s_mul_i32 s5, s11, s9
	s_add_i32 s4, s4, s15
	s_lshl_b32 s5, s5, 7
	s_lshl_b32 s4, s4, 6
	;; [unrolled: 1-line block ×3, first 2 shown]
	s_add_i32 s5, s5, s4
	s_mul_i32 s4, s14, s6
	v_or_b32_e32 v1, s5, v0
	s_add_i32 s11, s4, s14
	v_ashrrev_i32_e32 v2, 31, v1
	v_lshlrev_b64 v[1:2], 2, v[1:2]
	s_waitcnt lgkmcnt(0)
	v_add_co_u32 v1, vcc_lo, s0, v1
	v_add_co_ci_u32_e64 v2, null, s1, v2, vcc_lo
	s_add_i32 s0, s10, s8
	s_lshl_b32 s1, s11, 3
	s_add_i32 s0, s0, s1
	global_load_dword v5, v[1:2], off
	s_add_i32 s0, s0, -8
	s_ashr_i32 s1, s0, 31
	s_lshl_b64 s[0:1], s[0:1], 3
	s_add_u32 s0, s2, s0
	s_addc_u32 s1, s3, s1
	s_add_i32 s5, s11, -2
	s_load_dword s13, s[0:1], 0x4
	s_cmp_lt_i32 s5, s4
	s_cbranch_scc1 .LBB28_4
; %bb.2:
	s_lshl_b32 s16, s12, 5
	s_load_dword s15, s[0:1], 0x0
	s_ashr_i32 s17, s16, 31
	s_waitcnt lgkmcnt(0)
	v_mov_b32_e32 v6, s13
	s_lshl_b64 s[0:1], s[16:17], 2
	s_add_u32 s5, s2, s0
	s_addc_u32 s9, s3, s1
	s_add_i32 s6, s6, 1
	s_lshl_b32 s0, s7, 8
	s_lshl_b32 s1, s8, 6
	s_mul_i32 s6, s14, s6
	s_add_i32 s0, s1, s0
	s_lshl_b32 s1, s6, 9
	s_add_i32 s0, s0, s1
	s_lshl_b32 s1, s6, 3
	v_or_b32_e32 v0, s0, v0
	s_lshl_b32 s0, s12, 3
	s_add_i32 s1, s8, s1
	s_add_i32 s6, s11, -1
	s_add_i32 s0, s1, s0
	v_add_nc_u32_e32 v3, 0xfffffc00, v0
	v_mov_b32_e32 v0, s15
	s_add_i32 s0, s0, s10
	s_add_i32 s0, s0, -16
.LBB28_3:                               ; =>This Inner Loop Header: Depth=1
	v_ashrrev_i32_e32 v4, 31, v3
	s_ashr_i32 s1, s0, 31
	s_lshl_b64 s[10:11], s[0:1], 3
	s_add_u32 s10, s2, s10
	v_lshlrev_b64 v[7:8], 2, v[3:4]
	s_addc_u32 s11, s3, s11
	v_add_nc_u32_e32 v3, 0xfffffe00, v3
	s_add_i32 s6, s6, -1
	s_add_i32 s0, s0, -8
	s_cmp_le_i32 s6, s4
	v_add_co_u32 v7, vcc_lo, s5, v7
	v_add_co_ci_u32_e64 v8, null, s9, v8, vcc_lo
	s_load_dwordx2 s[10:11], s[10:11], 0x0
	global_load_dword v4, v[7:8], off
	v_max_f32_e32 v7, v0, v0
	s_waitcnt lgkmcnt(0)
	v_max_f32_e64 v8, s10, s10
	v_max_f32_e32 v7, v7, v8
	v_sub_f32_e32 v8, s10, v7
	v_sub_f32_e32 v0, v0, v7
	v_mul_f32_e32 v9, 0x3fb8aa3b, v8
	v_mul_f32_e32 v12, 0x3fb8aa3b, v0
	v_cmp_ngt_f32_e32 vcc_lo, 0xc2ce8ed0, v8
	v_fma_f32 v10, 0x3fb8aa3b, v8, -v9
	v_rndne_f32_e32 v11, v9
	v_fma_f32 v13, 0x3fb8aa3b, v0, -v12
	v_rndne_f32_e32 v14, v12
	v_fmac_f32_e32 v10, 0x32a5705f, v8
	v_sub_f32_e32 v9, v9, v11
	v_fmac_f32_e32 v13, 0x32a5705f, v0
	v_cvt_i32_f32_e32 v11, v11
	v_add_f32_e32 v9, v9, v10
	v_sub_f32_e32 v10, v12, v14
	v_exp_f32_e32 v9, v9
	v_add_f32_e32 v10, v10, v13
	v_exp_f32_e32 v10, v10
	v_ldexp_f32 v9, v9, v11
	v_cvt_i32_f32_e32 v11, v14
	v_cndmask_b32_e32 v9, 0, v9, vcc_lo
	v_cmp_nlt_f32_e32 vcc_lo, 0x42b17218, v8
	v_ldexp_f32 v10, v10, v11
	v_mov_b32_e32 v11, v6
	v_cndmask_b32_e32 v9, 0x7f800000, v9, vcc_lo
	v_cmp_ngt_f32_e32 vcc_lo, 0xc2ce8ed0, v0
	v_cndmask_b32_e32 v10, 0, v10, vcc_lo
	v_cmp_le_f32_e32 vcc_lo, 0xc1a00000, v8
	v_cndmask_b32_e32 v8, 0, v9, vcc_lo
	v_cmp_nlt_f32_e32 vcc_lo, 0x42b17218, v0
	s_waitcnt vmcnt(1)
	v_mov_b32_e32 v9, v5
	v_cndmask_b32_e32 v5, 0x7f800000, v10, vcc_lo
	v_mul_f32_e32 v10, s11, v8
	v_cmp_le_f32_e32 vcc_lo, 0xc1a00000, v0
	v_mov_b32_e32 v0, v7
	v_mov_b32_e32 v6, v10
	v_cndmask_b32_e32 v12, 0, v5, vcc_lo
	v_fmac_f32_e32 v6, v11, v12
	s_waitcnt vmcnt(0)
	v_mul_f32_e32 v5, v4, v8
	v_fmac_f32_e32 v5, v9, v12
	s_cbranch_scc0 .LBB28_3
	s_branch .LBB28_5
.LBB28_4:
	s_waitcnt lgkmcnt(0)
	v_mov_b32_e32 v6, s13
.LBB28_5:
	s_waitcnt vmcnt(0)
	v_div_scale_f32 v0, null, v6, v6, v5
	v_rcp_f32_e32 v3, v0
	v_fma_f32 v4, -v0, v3, 1.0
	v_fmac_f32_e32 v3, v4, v3
	v_div_scale_f32 v4, vcc_lo, v5, v6, v5
	v_mul_f32_e32 v7, v4, v3
	v_fma_f32 v8, -v0, v7, v4
	v_fmac_f32_e32 v7, v8, v3
	v_fma_f32 v0, -v0, v7, v4
	v_div_fmas_f32 v0, v0, v3, v7
	v_div_fixup_f32 v0, v0, v6, v5
	global_store_dword v[1:2], v0, off
.LBB28_6:
	s_endpgm
	.section	.rodata,"a",@progbits
	.p2align	6, 0x0
	.amdhsa_kernel _ZL33flash_attn_stream_k_fixup_uniformILi64ELi2ELi4EEvPfPK15HIP_vector_typeIfLj2EEiiiiiiS1_IjLj3EES5_S5_
		.amdhsa_group_segment_fixed_size 0
		.amdhsa_private_segment_fixed_size 0
		.amdhsa_kernarg_size 76
		.amdhsa_user_sgpr_count 6
		.amdhsa_user_sgpr_private_segment_buffer 1
		.amdhsa_user_sgpr_dispatch_ptr 0
		.amdhsa_user_sgpr_queue_ptr 0
		.amdhsa_user_sgpr_kernarg_segment_ptr 1
		.amdhsa_user_sgpr_dispatch_id 0
		.amdhsa_user_sgpr_flat_scratch_init 0
		.amdhsa_user_sgpr_private_segment_size 0
		.amdhsa_wavefront_size32 1
		.amdhsa_uses_dynamic_stack 0
		.amdhsa_system_sgpr_private_segment_wavefront_offset 0
		.amdhsa_system_sgpr_workgroup_id_x 1
		.amdhsa_system_sgpr_workgroup_id_y 1
		.amdhsa_system_sgpr_workgroup_id_z 1
		.amdhsa_system_sgpr_workgroup_info 0
		.amdhsa_system_vgpr_workitem_id 0
		.amdhsa_next_free_vgpr 15
		.amdhsa_next_free_sgpr 24
		.amdhsa_reserve_vcc 1
		.amdhsa_reserve_flat_scratch 0
		.amdhsa_float_round_mode_32 0
		.amdhsa_float_round_mode_16_64 0
		.amdhsa_float_denorm_mode_32 3
		.amdhsa_float_denorm_mode_16_64 3
		.amdhsa_dx10_clamp 1
		.amdhsa_ieee_mode 1
		.amdhsa_fp16_overflow 0
		.amdhsa_workgroup_processor_mode 1
		.amdhsa_memory_ordered 1
		.amdhsa_forward_progress 1
		.amdhsa_shared_vgpr_count 0
		.amdhsa_exception_fp_ieee_invalid_op 0
		.amdhsa_exception_fp_denorm_src 0
		.amdhsa_exception_fp_ieee_div_zero 0
		.amdhsa_exception_fp_ieee_overflow 0
		.amdhsa_exception_fp_ieee_underflow 0
		.amdhsa_exception_fp_ieee_inexact 0
		.amdhsa_exception_int_div_zero 0
	.end_amdhsa_kernel
	.section	.text._ZL33flash_attn_stream_k_fixup_uniformILi64ELi2ELi4EEvPfPK15HIP_vector_typeIfLj2EEiiiiiiS1_IjLj3EES5_S5_,"axG",@progbits,_ZL33flash_attn_stream_k_fixup_uniformILi64ELi2ELi4EEvPfPK15HIP_vector_typeIfLj2EEiiiiiiS1_IjLj3EES5_S5_,comdat
.Lfunc_end28:
	.size	_ZL33flash_attn_stream_k_fixup_uniformILi64ELi2ELi4EEvPfPK15HIP_vector_typeIfLj2EEiiiiiiS1_IjLj3EES5_S5_, .Lfunc_end28-_ZL33flash_attn_stream_k_fixup_uniformILi64ELi2ELi4EEvPfPK15HIP_vector_typeIfLj2EEiiiiiiS1_IjLj3EES5_S5_
                                        ; -- End function
	.set _ZL33flash_attn_stream_k_fixup_uniformILi64ELi2ELi4EEvPfPK15HIP_vector_typeIfLj2EEiiiiiiS1_IjLj3EES5_S5_.num_vgpr, 15
	.set _ZL33flash_attn_stream_k_fixup_uniformILi64ELi2ELi4EEvPfPK15HIP_vector_typeIfLj2EEiiiiiiS1_IjLj3EES5_S5_.num_agpr, 0
	.set _ZL33flash_attn_stream_k_fixup_uniformILi64ELi2ELi4EEvPfPK15HIP_vector_typeIfLj2EEiiiiiiS1_IjLj3EES5_S5_.numbered_sgpr, 24
	.set _ZL33flash_attn_stream_k_fixup_uniformILi64ELi2ELi4EEvPfPK15HIP_vector_typeIfLj2EEiiiiiiS1_IjLj3EES5_S5_.num_named_barrier, 0
	.set _ZL33flash_attn_stream_k_fixup_uniformILi64ELi2ELi4EEvPfPK15HIP_vector_typeIfLj2EEiiiiiiS1_IjLj3EES5_S5_.private_seg_size, 0
	.set _ZL33flash_attn_stream_k_fixup_uniformILi64ELi2ELi4EEvPfPK15HIP_vector_typeIfLj2EEiiiiiiS1_IjLj3EES5_S5_.uses_vcc, 1
	.set _ZL33flash_attn_stream_k_fixup_uniformILi64ELi2ELi4EEvPfPK15HIP_vector_typeIfLj2EEiiiiiiS1_IjLj3EES5_S5_.uses_flat_scratch, 0
	.set _ZL33flash_attn_stream_k_fixup_uniformILi64ELi2ELi4EEvPfPK15HIP_vector_typeIfLj2EEiiiiiiS1_IjLj3EES5_S5_.has_dyn_sized_stack, 0
	.set _ZL33flash_attn_stream_k_fixup_uniformILi64ELi2ELi4EEvPfPK15HIP_vector_typeIfLj2EEiiiiiiS1_IjLj3EES5_S5_.has_recursion, 0
	.set _ZL33flash_attn_stream_k_fixup_uniformILi64ELi2ELi4EEvPfPK15HIP_vector_typeIfLj2EEiiiiiiS1_IjLj3EES5_S5_.has_indirect_call, 0
	.section	.AMDGPU.csdata,"",@progbits
; Kernel info:
; codeLenInByte = 848
; TotalNumSgprs: 26
; NumVgprs: 15
; ScratchSize: 0
; MemoryBound: 0
; FloatMode: 240
; IeeeMode: 1
; LDSByteSize: 0 bytes/workgroup (compile time only)
; SGPRBlocks: 0
; VGPRBlocks: 1
; NumSGPRsForWavesPerEU: 26
; NumVGPRsForWavesPerEU: 15
; Occupancy: 16
; WaveLimiterHint : 0
; COMPUTE_PGM_RSRC2:SCRATCH_EN: 0
; COMPUTE_PGM_RSRC2:USER_SGPR: 6
; COMPUTE_PGM_RSRC2:TRAP_HANDLER: 0
; COMPUTE_PGM_RSRC2:TGID_X_EN: 1
; COMPUTE_PGM_RSRC2:TGID_Y_EN: 1
; COMPUTE_PGM_RSRC2:TGID_Z_EN: 1
; COMPUTE_PGM_RSRC2:TIDIG_COMP_CNT: 0
	.section	.text._ZL33flash_attn_stream_k_fixup_generalILi64ELi2ELi4EEvPfPK15HIP_vector_typeIfLj2EEiiiiS1_IjLj3EES5_S5_S5_,"axG",@progbits,_ZL33flash_attn_stream_k_fixup_generalILi64ELi2ELi4EEvPfPK15HIP_vector_typeIfLj2EEiiiiS1_IjLj3EES5_S5_S5_,comdat
	.globl	_ZL33flash_attn_stream_k_fixup_generalILi64ELi2ELi4EEvPfPK15HIP_vector_typeIfLj2EEiiiiS1_IjLj3EES5_S5_S5_ ; -- Begin function _ZL33flash_attn_stream_k_fixup_generalILi64ELi2ELi4EEvPfPK15HIP_vector_typeIfLj2EEiiiiS1_IjLj3EES5_S5_S5_
	.p2align	8
	.type	_ZL33flash_attn_stream_k_fixup_generalILi64ELi2ELi4EEvPfPK15HIP_vector_typeIfLj2EEiiiiS1_IjLj3EES5_S5_S5_,@function
_ZL33flash_attn_stream_k_fixup_generalILi64ELi2ELi4EEvPfPK15HIP_vector_typeIfLj2EEiiiiS1_IjLj3EES5_S5_S5_: ; @_ZL33flash_attn_stream_k_fixup_generalILi64ELi2ELi4EEvPfPK15HIP_vector_typeIfLj2EEiiiiS1_IjLj3EES5_S5_S5_
; %bb.0:
	s_clause 0x1
	s_load_dwordx4 s[0:3], s[4:5], 0x10
	s_load_dword s9, s[4:5], 0x50
	s_mov_b32 s16, 0
	s_waitcnt lgkmcnt(0)
	s_mul_hi_i32 s17, s3, s6
	s_mul_i32 s18, s3, s6
	s_cmp_lg_u64 s[16:17], 0
	s_cbranch_scc0 .LBB29_21
; %bb.1:
	s_add_u32 s10, s9, 0
	s_addc_u32 s11, 0, 0
	s_xor_b64 s[10:11], s[10:11], 0
	v_cvt_f32_u32_e32 v1, s10
	v_cvt_f32_u32_e32 v2, s11
	s_sub_u32 s14, 0, s10
	s_subb_u32 s15, 0, s11
	v_fmamk_f32 v1, v2, 0x4f800000, v1
	v_rcp_f32_e32 v1, v1
	v_mul_f32_e32 v1, 0x5f7ffffc, v1
	v_mul_f32_e32 v2, 0x2f800000, v1
	v_trunc_f32_e32 v2, v2
	v_fmamk_f32 v1, v2, 0xcf800000, v1
	v_cvt_u32_f32_e32 v2, v2
	v_cvt_u32_f32_e32 v1, v1
	v_readfirstlane_b32 s12, v2
	v_readfirstlane_b32 s13, v1
	s_mul_i32 s19, s14, s12
	s_mul_hi_u32 s21, s14, s13
	s_mul_i32 s20, s15, s13
	s_add_i32 s19, s21, s19
	s_mul_i32 s22, s14, s13
	s_add_i32 s19, s19, s20
	s_mul_hi_u32 s21, s13, s22
	s_mul_i32 s24, s13, s19
	s_mul_hi_u32 s23, s12, s22
	s_mul_i32 s20, s12, s22
	s_mul_hi_u32 s22, s13, s19
	s_add_u32 s21, s21, s24
	s_addc_u32 s22, 0, s22
	s_mul_hi_u32 s25, s12, s19
	s_add_u32 s20, s21, s20
	s_mul_i32 s19, s12, s19
	s_addc_u32 s20, s22, s23
	s_addc_u32 s21, s25, 0
	s_add_u32 s19, s20, s19
	s_addc_u32 s20, 0, s21
	s_add_u32 s13, s13, s19
	s_cselect_b32 s19, -1, 0
	s_mul_hi_u32 s21, s14, s13
	s_cmp_lg_u32 s19, 0
	s_mul_i32 s19, s14, s13
	s_addc_u32 s12, s12, s20
	s_mul_i32 s15, s15, s13
	s_mul_i32 s14, s14, s12
	s_mul_hi_u32 s20, s13, s19
	s_add_i32 s14, s21, s14
	s_mul_hi_u32 s21, s12, s19
	s_add_i32 s14, s14, s15
	s_mul_i32 s15, s12, s19
	s_mul_i32 s23, s13, s14
	s_mul_hi_u32 s22, s13, s14
	s_add_u32 s20, s20, s23
	s_addc_u32 s22, 0, s22
	s_mul_hi_u32 s19, s12, s14
	s_add_u32 s15, s20, s15
	s_mul_i32 s14, s12, s14
	s_addc_u32 s15, s22, s21
	s_addc_u32 s19, s19, 0
	s_add_u32 s14, s15, s14
	s_addc_u32 s15, 0, s19
	s_add_u32 s19, s13, s14
	s_cselect_b32 s13, -1, 0
	s_cmp_lg_u32 s13, 0
	s_addc_u32 s20, s12, s15
	s_ashr_i32 s12, s17, 31
	s_add_u32 s14, s18, s12
	s_mov_b32 s13, s12
	s_addc_u32 s15, s17, s12
	s_xor_b64 s[14:15], s[14:15], s[12:13]
	s_mul_i32 s21, s14, s20
	s_mul_hi_u32 s22, s14, s19
	s_mul_hi_u32 s17, s14, s20
	;; [unrolled: 1-line block ×3, first 2 shown]
	s_mul_i32 s19, s15, s19
	s_add_u32 s21, s22, s21
	s_addc_u32 s17, 0, s17
	s_mul_hi_u32 s23, s15, s20
	s_add_u32 s19, s21, s19
	s_mul_i32 s20, s15, s20
	s_addc_u32 s17, s17, s24
	s_addc_u32 s19, s23, 0
	s_add_u32 s17, s17, s20
	s_addc_u32 s19, 0, s19
	s_mul_hi_u32 s20, s10, s17
	s_mul_i32 s21, s10, s19
	s_mul_i32 s22, s11, s17
	s_add_i32 s20, s20, s21
	s_mul_i32 s21, s10, s17
	s_add_i32 s20, s20, s22
	s_sub_i32 s22, s15, s20
	s_sub_u32 s14, s14, s21
	s_cselect_b32 s21, -1, 0
	s_cmp_lg_u32 s21, 0
	s_subb_u32 s22, s22, s11
	s_sub_u32 s23, s14, s10
	s_cselect_b32 s24, -1, 0
	s_cmp_lg_u32 s24, 0
	s_subb_u32 s22, s22, 0
	s_cmp_ge_u32 s22, s11
	s_cselect_b32 s24, -1, 0
	s_cmp_ge_u32 s23, s10
	s_cselect_b32 s23, -1, 0
	s_cmp_eq_u32 s22, s11
	s_cselect_b32 s22, s23, s24
	s_add_u32 s23, s17, 1
	s_addc_u32 s24, s19, 0
	s_add_u32 s25, s17, 2
	s_addc_u32 s26, s19, 0
	s_cmp_lg_u32 s22, 0
	s_cselect_b32 s22, s25, s23
	s_cselect_b32 s23, s26, s24
	s_cmp_lg_u32 s21, 0
	s_subb_u32 s15, s15, s20
	s_cmp_ge_u32 s15, s11
	s_cselect_b32 s20, -1, 0
	s_cmp_ge_u32 s14, s10
	s_cselect_b32 s10, -1, 0
	s_cmp_eq_u32 s15, s11
	s_cselect_b32 s10, s10, s20
	s_cmp_lg_u32 s10, 0
	s_cselect_b32 s11, s23, s19
	s_cselect_b32 s10, s22, s17
	s_xor_b64 s[12:13], s[12:13], 0
	s_xor_b64 s[10:11], s[10:11], s[12:13]
	s_sub_u32 s10, s10, s12
	s_load_dwordx4 s[12:15], s[4:5], 0x44
	s_andn2_b32 vcc_lo, exec_lo, s16
	s_cbranch_vccnz .LBB29_3
.LBB29_2:
	v_cvt_f32_u32_e32 v1, s9
	s_sub_i32 s11, 0, s9
	v_rcp_iflag_f32_e32 v1, v1
	v_mul_f32_e32 v1, 0x4f7ffffe, v1
	v_cvt_u32_f32_e32 v1, v1
	v_readfirstlane_b32 s10, v1
	s_mul_i32 s11, s11, s10
	s_mul_hi_u32 s11, s10, s11
	s_add_i32 s10, s10, s11
	s_mul_hi_u32 s10, s18, s10
	s_mul_i32 s11, s10, s9
	s_waitcnt lgkmcnt(0)
	s_add_i32 s15, s10, 1
	s_sub_i32 s11, s18, s11
	s_sub_i32 s16, s11, s9
	s_cmp_ge_u32 s11, s9
	s_cselect_b32 s10, s15, s10
	s_cselect_b32 s11, s16, s11
	s_add_i32 s15, s10, 1
	s_cmp_ge_u32 s11, s9
	s_cselect_b32 s10, s15, s10
.LBB29_3:
	s_add_i32 s11, s6, 1
	s_mov_b32 s16, 0
	s_mul_hi_i32 s17, s3, s11
	s_mul_i32 s11, s3, s11
	s_cmp_lg_u64 s[16:17], 0
	s_cbranch_scc0 .LBB29_22
; %bb.4:
	s_add_u32 s18, s9, 0
	s_addc_u32 s19, 0, 0
	s_xor_b64 s[18:19], s[18:19], 0
	v_cvt_f32_u32_e32 v1, s18
	v_cvt_f32_u32_e32 v2, s19
	s_sub_u32 s21, 0, s18
	s_subb_u32 s22, 0, s19
	v_fmamk_f32 v1, v2, 0x4f800000, v1
	v_rcp_f32_e32 v1, v1
	v_mul_f32_e32 v1, 0x5f7ffffc, v1
	v_mul_f32_e32 v2, 0x2f800000, v1
	v_trunc_f32_e32 v2, v2
	v_fmamk_f32 v1, v2, 0xcf800000, v1
	v_cvt_u32_f32_e32 v2, v2
	v_cvt_u32_f32_e32 v1, v1
	s_waitcnt lgkmcnt(0)
	v_readfirstlane_b32 s15, v2
	v_readfirstlane_b32 s20, v1
	s_mul_i32 s23, s21, s15
	s_mul_hi_u32 s25, s21, s20
	s_mul_i32 s24, s22, s20
	s_add_i32 s23, s25, s23
	s_mul_i32 s26, s21, s20
	s_add_i32 s23, s23, s24
	s_mul_hi_u32 s25, s20, s26
	s_mul_i32 s28, s20, s23
	s_mul_hi_u32 s27, s15, s26
	s_mul_i32 s24, s15, s26
	s_mul_hi_u32 s26, s20, s23
	s_add_u32 s25, s25, s28
	s_addc_u32 s26, 0, s26
	s_mul_hi_u32 s29, s15, s23
	s_add_u32 s24, s25, s24
	s_mul_i32 s23, s15, s23
	s_addc_u32 s24, s26, s27
	s_addc_u32 s25, s29, 0
	s_add_u32 s23, s24, s23
	s_addc_u32 s24, 0, s25
	s_add_u32 s20, s20, s23
	s_cselect_b32 s23, -1, 0
	s_mul_hi_u32 s25, s21, s20
	s_cmp_lg_u32 s23, 0
	s_mul_i32 s23, s21, s20
	s_addc_u32 s15, s15, s24
	s_mul_i32 s22, s22, s20
	s_mul_i32 s21, s21, s15
	s_mul_hi_u32 s24, s20, s23
	s_add_i32 s21, s25, s21
	s_mul_hi_u32 s25, s15, s23
	s_add_i32 s21, s21, s22
	s_mul_i32 s22, s15, s23
	s_mul_i32 s27, s20, s21
	s_mul_hi_u32 s26, s20, s21
	s_add_u32 s24, s24, s27
	s_addc_u32 s26, 0, s26
	s_mul_hi_u32 s23, s15, s21
	s_add_u32 s22, s24, s22
	s_mul_i32 s21, s15, s21
	s_addc_u32 s22, s26, s25
	s_addc_u32 s23, s23, 0
	s_add_u32 s21, s22, s21
	s_addc_u32 s22, 0, s23
	s_add_u32 s24, s20, s21
	s_cselect_b32 s20, -1, 0
	s_cmp_lg_u32 s20, 0
	s_addc_u32 s15, s15, s22
	s_ashr_i32 s20, s17, 31
	s_add_u32 s22, s11, s20
	s_mov_b32 s21, s20
	s_addc_u32 s23, s17, s20
	s_xor_b64 s[22:23], s[22:23], s[20:21]
	s_mul_i32 s25, s22, s15
	s_mul_hi_u32 s26, s22, s24
	s_mul_hi_u32 s17, s22, s15
	s_mul_hi_u32 s28, s23, s24
	s_mul_i32 s24, s23, s24
	s_add_u32 s25, s26, s25
	s_addc_u32 s17, 0, s17
	s_mul_hi_u32 s27, s23, s15
	s_add_u32 s24, s25, s24
	s_mul_i32 s15, s23, s15
	s_addc_u32 s17, s17, s28
	s_addc_u32 s24, s27, 0
	s_add_u32 s15, s17, s15
	s_addc_u32 s17, 0, s24
	s_mul_hi_u32 s24, s18, s15
	s_mul_i32 s25, s18, s17
	s_mul_i32 s26, s19, s15
	s_add_i32 s24, s24, s25
	s_mul_i32 s25, s18, s15
	s_add_i32 s24, s24, s26
	s_sub_i32 s26, s23, s24
	s_sub_u32 s22, s22, s25
	s_cselect_b32 s25, -1, 0
	s_cmp_lg_u32 s25, 0
	s_subb_u32 s26, s26, s19
	s_sub_u32 s27, s22, s18
	s_cselect_b32 s28, -1, 0
	s_cmp_lg_u32 s28, 0
	s_subb_u32 s26, s26, 0
	s_cmp_ge_u32 s26, s19
	s_cselect_b32 s28, -1, 0
	s_cmp_ge_u32 s27, s18
	s_cselect_b32 s27, -1, 0
	s_cmp_eq_u32 s26, s19
	s_cselect_b32 s26, s27, s28
	s_add_u32 s27, s15, 1
	s_addc_u32 s28, s17, 0
	s_add_u32 s29, s15, 2
	s_addc_u32 s30, s17, 0
	s_cmp_lg_u32 s26, 0
	s_cselect_b32 s26, s29, s27
	s_cselect_b32 s27, s30, s28
	s_cmp_lg_u32 s25, 0
	s_subb_u32 s23, s23, s24
	s_cmp_ge_u32 s23, s19
	s_cselect_b32 s24, -1, 0
	s_cmp_ge_u32 s22, s18
	s_cselect_b32 s18, -1, 0
	s_cmp_eq_u32 s23, s19
	s_cselect_b32 s18, s18, s24
	s_cmp_lg_u32 s18, 0
	s_cselect_b32 s19, s27, s17
	s_cselect_b32 s18, s26, s15
	s_xor_b64 s[20:21], s[20:21], 0
	s_xor_b64 s[18:19], s[18:19], s[20:21]
	s_sub_u32 s18, s18, s20
	s_andn2_b32 vcc_lo, exec_lo, s16
	s_cbranch_vccnz .LBB29_6
.LBB29_5:
	v_cvt_f32_u32_e32 v1, s9
	s_sub_i32 s16, 0, s9
	v_rcp_iflag_f32_e32 v1, v1
	v_mul_f32_e32 v1, 0x4f7ffffe, v1
	v_cvt_u32_f32_e32 v1, v1
	s_waitcnt lgkmcnt(0)
	v_readfirstlane_b32 s15, v1
	s_mul_i32 s16, s16, s15
	s_mul_hi_u32 s16, s15, s16
	s_add_i32 s15, s15, s16
	s_mul_hi_u32 s15, s11, s15
	s_mul_i32 s16, s15, s9
	s_sub_i32 s11, s11, s16
	s_add_i32 s16, s15, 1
	s_sub_i32 s17, s11, s9
	s_cmp_ge_u32 s11, s9
	s_cselect_b32 s15, s16, s15
	s_cselect_b32 s11, s17, s11
	s_add_i32 s16, s15, 1
	s_cmp_ge_u32 s11, s9
	s_cselect_b32 s18, s16, s15
.LBB29_6:
	s_cmp_eq_u32 s10, s18
	s_waitcnt lgkmcnt(0)
	s_mul_hi_u32 s11, s10, s12
	s_cselect_b32 s15, -1, 0
	s_add_i32 s11, s11, s10
	s_lshr_b32 s11, s11, s13
	s_mul_i32 s16, s11, s14
	s_cmp_eq_u32 s16, s10
	s_mul_hi_u32 s16, s18, s12
	s_cselect_b32 s17, -1, 0
	s_add_i32 s16, s16, s18
	s_lshr_b32 s16, s16, s13
	s_cmp_eq_u32 s11, s16
	s_mul_i32 s16, s16, s14
	s_cselect_b32 s19, -1, 0
	s_cmp_lg_u32 s16, s18
	s_cselect_b32 s16, -1, 0
	s_or_b32 s15, s15, s17
	s_and_b32 s16, s19, s16
	s_or_b32 s15, s15, s16
	s_and_b32 vcc_lo, exec_lo, s15
	s_cbranch_vccnz .LBB29_24
; %bb.7:
	s_clause 0x1
	s_load_dwordx8 s[20:27], s[4:5], 0x20
	s_load_dword s16, s[4:5], 0x40
	s_waitcnt lgkmcnt(0)
	s_mul_hi_u32 s15, s10, s20
	s_add_i32 s15, s15, s10
	s_lshr_b32 s15, s15, s21
	s_mul_i32 s17, s15, s22
	s_sub_i32 s17, s10, s17
	s_mul_hi_u32 s18, s17, s23
	s_add_i32 s18, s17, s18
	s_lshr_b32 s22, s18, s24
	s_mul_i32 s18, s22, s25
	s_sub_i32 s17, s17, s18
	s_mul_hi_u32 s18, s17, s26
	s_add_i32 s18, s17, s18
	s_lshr_b32 s18, s18, s27
	s_mul_i32 s16, s18, s16
	s_lshl_b32 s24, s18, 2
	s_sub_i32 s16, s17, s16
	s_mul_hi_u32 s17, s16, s12
	s_add_i32 s16, s16, s17
	s_lshr_b32 s23, s16, s13
	s_lshl_b32 s16, s23, 1
	s_add_i32 s16, s16, s7
	s_cmp_lt_i32 s16, s0
	s_cselect_b32 s16, -1, 0
	s_add_i32 s17, s24, s8
	s_cmp_lt_i32 s17, s2
	s_cselect_b32 s17, -1, 0
	s_and_b32 s16, s16, s17
	s_andn2_b32 vcc_lo, exec_lo, s16
	s_cbranch_vccnz .LBB29_24
; %bb.8:
	s_load_dwordx4 s[16:19], s[4:5], 0x0
	s_mov_b32 s4, 0
	s_lshl_b32 s20, s9, 5
	s_mov_b32 s21, s4
	s_lshl_b32 s5, s7, 2
	s_lshl_b64 s[20:21], s[20:21], 2
	s_mul_i32 s0, s15, s0
	s_add_i32 s15, s5, s8
	s_mul_i32 s22, s22, s2
	v_cvt_f32_u32_e32 v4, s9
	v_rcp_iflag_f32_e32 v4, v4
	s_waitcnt lgkmcnt(0)
	s_add_u32 s20, s18, s20
	s_addc_u32 s21, s19, s21
	s_add_i32 s0, s0, s7
	s_mul_i32 s0, s0, s1
	s_mul_i32 s1, s1, s23
	s_add_i32 s0, s0, s8
	s_lshl_b32 s1, s1, 7
	s_add_i32 s0, s0, s22
	v_mul_f32_e32 v4, 0x4f7ffffe, v4
	s_add_i32 s0, s0, s24
	s_lshl_b32 s0, s0, 6
	s_add_i32 s1, s1, s0
	s_lshl_b32 s0, s6, 3
	v_or_b32_e32 v1, s1, v0
	s_add_i32 s0, s15, s0
	v_lshl_or_b32 v0, s15, 6, v0
	s_ashr_i32 s1, s0, 31
	v_cvt_u32_f32_e32 v4, v4
	v_ashrrev_i32_e32 v2, 31, v1
	s_lshl_b64 s[0:1], s[0:1], 3
	s_add_u32 s0, s18, s0
	s_addc_u32 s1, s19, s1
	v_lshlrev_b64 v[1:2], 2, v[1:2]
	s_load_dwordx2 s[0:1], s[0:1], 0x0
	s_add_i32 s8, s6, -1
	s_sub_i32 s2, 0, s9
	v_add_co_u32 v1, vcc_lo, s16, v1
	v_add_co_ci_u32_e64 v2, null, s17, v2, vcc_lo
	global_load_dword v3, v[1:2], off
	s_waitcnt lgkmcnt(0)
	v_mov_b32_e32 v5, s1
	v_mov_b32_e32 v6, s0
.LBB29_9:                               ; =>This Inner Loop Header: Depth=1
	s_mul_hi_i32 s5, s8, s3
	s_mul_i32 s6, s8, s3
	s_cmp_lg_u64 s[4:5], 0
	s_mov_b32 s7, -1
                                        ; implicit-def: $sgpr0_sgpr1
	s_cbranch_scc0 .LBB29_11
; %bb.10:                               ;   in Loop: Header=BB29_9 Depth=1
	s_add_u32 s0, s9, 0
	s_addc_u32 s1, 0, 0
	s_xor_b64 s[0:1], s[0:1], 0
	v_cvt_f32_u32_e32 v7, s0
	v_cvt_f32_u32_e32 v8, s1
	s_sub_u32 s17, 0, s0
	s_subb_u32 s22, 0, s1
	v_fmac_f32_e32 v7, 0x4f800000, v8
	v_rcp_f32_e32 v7, v7
	v_mul_f32_e32 v7, 0x5f7ffffc, v7
	v_mul_f32_e32 v8, 0x2f800000, v7
	v_trunc_f32_e32 v8, v8
	v_fmac_f32_e32 v7, 0xcf800000, v8
	v_cvt_u32_f32_e32 v8, v8
	v_cvt_u32_f32_e32 v7, v7
	v_readfirstlane_b32 s7, v8
	v_readfirstlane_b32 s16, v7
	s_mul_i32 s23, s17, s7
	s_mul_hi_u32 s25, s17, s16
	s_mul_i32 s24, s22, s16
	s_add_i32 s23, s25, s23
	s_mul_i32 s26, s17, s16
	s_add_i32 s23, s23, s24
	s_mul_hi_u32 s25, s16, s26
	s_mul_i32 s28, s16, s23
	s_mul_hi_u32 s27, s7, s26
	s_mul_i32 s24, s7, s26
	s_mul_hi_u32 s26, s16, s23
	s_add_u32 s25, s25, s28
	s_addc_u32 s26, 0, s26
	s_mul_hi_u32 s29, s7, s23
	s_add_u32 s24, s25, s24
	s_mul_i32 s23, s7, s23
	s_addc_u32 s24, s26, s27
	s_addc_u32 s25, s29, 0
	s_add_u32 s23, s24, s23
	s_addc_u32 s24, 0, s25
	s_add_u32 s16, s16, s23
	s_cselect_b32 s23, -1, 0
	s_mul_hi_u32 s25, s17, s16
	s_cmp_lg_u32 s23, 0
	s_mul_i32 s23, s17, s16
	s_addc_u32 s7, s7, s24
	s_mul_i32 s22, s22, s16
	s_mul_i32 s17, s17, s7
	s_mul_hi_u32 s24, s16, s23
	s_add_i32 s17, s25, s17
	s_mul_hi_u32 s25, s7, s23
	s_add_i32 s17, s17, s22
	s_mul_i32 s22, s7, s23
	s_mul_i32 s27, s16, s17
	s_mul_hi_u32 s26, s16, s17
	s_add_u32 s24, s24, s27
	s_addc_u32 s26, 0, s26
	s_mul_hi_u32 s23, s7, s17
	s_add_u32 s22, s24, s22
	s_mul_i32 s17, s7, s17
	s_addc_u32 s22, s26, s25
	s_addc_u32 s23, s23, 0
	s_add_u32 s17, s22, s17
	s_addc_u32 s22, 0, s23
	s_add_u32 s24, s16, s17
	s_cselect_b32 s16, -1, 0
	s_cmp_lg_u32 s16, 0
	s_addc_u32 s7, s7, s22
	s_ashr_i32 s16, s5, 31
	s_add_u32 s22, s6, s16
	s_mov_b32 s17, s16
	s_addc_u32 s23, s5, s16
	s_xor_b64 s[22:23], s[22:23], s[16:17]
	s_mul_i32 s25, s22, s7
	s_mul_hi_u32 s26, s22, s24
	s_mul_hi_u32 s5, s22, s7
	;; [unrolled: 1-line block ×3, first 2 shown]
	s_mul_i32 s24, s23, s24
	s_add_u32 s25, s26, s25
	s_addc_u32 s5, 0, s5
	s_mul_hi_u32 s27, s23, s7
	s_add_u32 s24, s25, s24
	s_mul_i32 s7, s23, s7
	s_addc_u32 s5, s5, s28
	s_addc_u32 s24, s27, 0
	s_add_u32 s5, s5, s7
	s_addc_u32 s7, 0, s24
	s_mul_hi_u32 s24, s0, s5
	s_mul_i32 s25, s0, s7
	s_mul_i32 s26, s1, s5
	s_add_i32 s24, s24, s25
	s_mul_i32 s25, s0, s5
	s_add_i32 s24, s24, s26
	s_sub_i32 s26, s23, s24
	s_sub_u32 s22, s22, s25
	s_cselect_b32 s25, -1, 0
	s_cmp_lg_u32 s25, 0
	s_subb_u32 s26, s26, s1
	s_sub_u32 s27, s22, s0
	s_cselect_b32 s28, -1, 0
	s_cmp_lg_u32 s28, 0
	s_subb_u32 s26, s26, 0
	s_cmp_ge_u32 s26, s1
	s_cselect_b32 s28, -1, 0
	s_cmp_ge_u32 s27, s0
	s_cselect_b32 s27, -1, 0
	s_cmp_eq_u32 s26, s1
	s_cselect_b32 s26, s27, s28
	s_add_u32 s27, s5, 1
	s_addc_u32 s28, s7, 0
	s_add_u32 s29, s5, 2
	s_addc_u32 s30, s7, 0
	s_cmp_lg_u32 s26, 0
	s_cselect_b32 s26, s29, s27
	s_cselect_b32 s27, s30, s28
	s_cmp_lg_u32 s25, 0
	s_subb_u32 s23, s23, s24
	s_cmp_ge_u32 s23, s1
	s_cselect_b32 s24, -1, 0
	s_cmp_ge_u32 s22, s0
	s_cselect_b32 s0, -1, 0
	s_cmp_eq_u32 s23, s1
	s_cselect_b32 s0, s0, s24
	s_cmp_lg_u32 s0, 0
	s_cselect_b32 s1, s27, s7
	s_cselect_b32 s0, s26, s5
	s_xor_b64 s[16:17], s[16:17], 0
	s_mov_b32 s7, 0
	s_xor_b64 s[0:1], s[0:1], s[16:17]
	s_sub_u32 s0, s0, s16
.LBB29_11:                              ;   in Loop: Header=BB29_9 Depth=1
	s_andn2_b32 vcc_lo, exec_lo, s7
	s_cbranch_vccnz .LBB29_13
; %bb.12:                               ;   in Loop: Header=BB29_9 Depth=1
	v_readfirstlane_b32 s0, v4
	s_mul_i32 s1, s2, s0
	s_mul_hi_u32 s1, s0, s1
	s_add_i32 s0, s0, s1
	s_mul_hi_u32 s0, s6, s0
	s_mul_i32 s1, s0, s9
	s_add_i32 s5, s0, 1
	s_sub_i32 s1, s6, s1
	s_sub_i32 s6, s1, s9
	s_cmp_ge_u32 s1, s9
	s_cselect_b32 s0, s5, s0
	s_cselect_b32 s1, s6, s1
	s_add_i32 s5, s0, 1
	s_cmp_ge_u32 s1, s9
	s_cselect_b32 s0, s5, s0
.LBB29_13:                              ;   in Loop: Header=BB29_9 Depth=1
	s_cmp_lg_u32 s10, s0
	s_mov_b32 s6, -1
                                        ; implicit-def: $sgpr5
                                        ; implicit-def: $vgpr8
                                        ; implicit-def: $vgpr7
                                        ; implicit-def: $vgpr9
                                        ; implicit-def: $sgpr1
                                        ; implicit-def: $sgpr16
	s_cbranch_scc0 .LBB29_18
; %bb.14:                               ;   in Loop: Header=BB29_9 Depth=1
	s_add_i32 s1, s8, s9
	s_mov_b32 s7, s4
	s_lshl_b32 s1, s1, 3
	s_mov_b32 s16, s10
	s_add_i32 s6, s1, s15
	s_mul_hi_u32 s1, s0, s12
	s_lshl_b64 s[6:7], s[6:7], 3
	s_add_u32 s6, s18, s6
	s_addc_u32 s7, s19, s7
	s_add_i32 s1, s1, s0
	s_lshr_b32 s1, s1, s13
	s_mul_i32 s5, s1, s14
	s_cmp_eq_u32 s5, s0
	s_cselect_b32 s5, -1, 0
	s_cmp_lt_u32 s1, s11
	s_cselect_b32 s1, -1, 0
	s_or_b32 s1, s1, s5
	s_mov_b32 s5, -1
	s_and_b32 vcc_lo, exec_lo, s1
	s_mov_b32 s1, s8
	s_cbranch_vccnz .LBB29_16
; %bb.15:                               ;   in Loop: Header=BB29_9 Depth=1
	s_add_i32 s1, s8, -1
	s_mov_b32 s5, 0
	s_mov_b32 s16, s0
.LBB29_16:                              ;   in Loop: Header=BB29_9 Depth=1
	v_lshl_add_u32 v7, s8, 9, v0
	s_load_dwordx2 s[6:7], s[6:7], 0x0
	v_ashrrev_i32_e32 v8, 31, v7
	v_lshlrev_b64 v[7:8], 2, v[7:8]
	v_add_co_u32 v7, vcc_lo, s20, v7
	v_add_co_ci_u32_e64 v8, null, s21, v8, vcc_lo
	s_waitcnt lgkmcnt(0)
	v_max_f32_e64 v9, s6, s6
	global_load_dword v8, v[7:8], off
	v_max_f32_e32 v7, v6, v6
	v_max_f32_e32 v7, v7, v9
	v_sub_f32_e32 v9, s6, v7
	v_sub_f32_e32 v10, v6, v7
	v_mul_f32_e32 v11, 0x3fb8aa3b, v9
	v_mul_f32_e32 v12, 0x3fb8aa3b, v10
	v_cmp_ngt_f32_e32 vcc_lo, 0xc2ce8ed0, v9
	v_fma_f32 v13, 0x3fb8aa3b, v9, -v11
	v_rndne_f32_e32 v14, v11
	v_fma_f32 v15, 0x3fb8aa3b, v10, -v12
	v_rndne_f32_e32 v16, v12
	v_fmac_f32_e32 v13, 0x32a5705f, v9
	v_sub_f32_e32 v11, v11, v14
	v_fmac_f32_e32 v15, 0x32a5705f, v10
	v_sub_f32_e32 v12, v12, v16
	v_add_f32_e32 v11, v11, v13
	v_cvt_i32_f32_e32 v13, v14
	v_add_f32_e32 v12, v12, v15
	v_cvt_i32_f32_e32 v14, v16
	v_exp_f32_e32 v11, v11
	v_exp_f32_e32 v12, v12
	v_ldexp_f32 v11, v11, v13
	v_ldexp_f32 v12, v12, v14
	v_cndmask_b32_e32 v11, 0, v11, vcc_lo
	v_cmp_ngt_f32_e32 vcc_lo, 0xc2ce8ed0, v10
	v_cndmask_b32_e32 v12, 0, v12, vcc_lo
	v_cmp_nlt_f32_e32 vcc_lo, 0x42b17218, v9
	v_cndmask_b32_e32 v11, 0x7f800000, v11, vcc_lo
	v_cmp_nlt_f32_e32 vcc_lo, 0x42b17218, v10
	v_cndmask_b32_e32 v12, 0x7f800000, v12, vcc_lo
	v_cmp_le_f32_e32 vcc_lo, 0xc1a00000, v9
	v_cndmask_b32_e32 v9, 0, v11, vcc_lo
	v_cmp_le_f32_e32 vcc_lo, 0xc1a00000, v10
	v_cndmask_b32_e32 v10, 0, v12, vcc_lo
	s_waitcnt vmcnt(0)
	v_mul_f32_e32 v8, v8, v9
	v_mul_f32_e32 v9, s7, v9
	v_fmac_f32_e32 v8, v3, v10
	v_fmac_f32_e32 v9, v5, v10
	s_cbranch_execz .LBB29_19
.LBB29_17:                              ;   in Loop: Header=BB29_9 Depth=1
	s_andn2_b32 vcc_lo, exec_lo, s5
	s_cbranch_vccnz .LBB29_20
	s_branch .LBB29_23
.LBB29_18:                              ;   in Loop: Header=BB29_9 Depth=1
	s_andn2_b32 vcc_lo, exec_lo, s6
	s_cbranch_vccnz .LBB29_17
.LBB29_19:                              ;   in Loop: Header=BB29_9 Depth=1
	v_mov_b32_e32 v9, v5
	v_mov_b32_e32 v7, v6
	s_waitcnt vmcnt(0)
	v_mov_b32_e32 v8, v3
	s_add_i32 s1, s8, -1
	s_mov_b32 s16, s10
	s_cbranch_execz .LBB29_23
.LBB29_20:                              ;   in Loop: Header=BB29_9 Depth=1
	v_mov_b32_e32 v5, v9
	v_mov_b32_e32 v6, v7
	s_waitcnt vmcnt(0)
	v_mov_b32_e32 v3, v8
	s_mov_b32 s10, s16
	s_mov_b32 s8, s1
	s_branch .LBB29_9
.LBB29_21:
                                        ; implicit-def: $sgpr10_sgpr11
	s_load_dwordx4 s[12:15], s[4:5], 0x44
	s_branch .LBB29_2
.LBB29_22:
                                        ; implicit-def: $sgpr18_sgpr19
	s_branch .LBB29_5
.LBB29_23:
	v_div_scale_f32 v0, null, v9, v9, v8
	s_waitcnt vmcnt(0)
	v_rcp_f32_e32 v3, v0
	v_fma_f32 v4, -v0, v3, 1.0
	v_fmac_f32_e32 v3, v4, v3
	v_div_scale_f32 v4, vcc_lo, v8, v9, v8
	v_mul_f32_e32 v5, v4, v3
	v_fma_f32 v6, -v0, v5, v4
	v_fmac_f32_e32 v5, v6, v3
	v_fma_f32 v0, -v0, v5, v4
	v_div_fmas_f32 v0, v0, v3, v5
	v_div_fixup_f32 v0, v0, v9, v8
	global_store_dword v[1:2], v0, off
.LBB29_24:
	s_endpgm
	.section	.rodata,"a",@progbits
	.p2align	6, 0x0
	.amdhsa_kernel _ZL33flash_attn_stream_k_fixup_generalILi64ELi2ELi4EEvPfPK15HIP_vector_typeIfLj2EEiiiiS1_IjLj3EES5_S5_S5_
		.amdhsa_group_segment_fixed_size 0
		.amdhsa_private_segment_fixed_size 0
		.amdhsa_kernarg_size 336
		.amdhsa_user_sgpr_count 6
		.amdhsa_user_sgpr_private_segment_buffer 1
		.amdhsa_user_sgpr_dispatch_ptr 0
		.amdhsa_user_sgpr_queue_ptr 0
		.amdhsa_user_sgpr_kernarg_segment_ptr 1
		.amdhsa_user_sgpr_dispatch_id 0
		.amdhsa_user_sgpr_flat_scratch_init 0
		.amdhsa_user_sgpr_private_segment_size 0
		.amdhsa_wavefront_size32 1
		.amdhsa_uses_dynamic_stack 0
		.amdhsa_system_sgpr_private_segment_wavefront_offset 0
		.amdhsa_system_sgpr_workgroup_id_x 1
		.amdhsa_system_sgpr_workgroup_id_y 1
		.amdhsa_system_sgpr_workgroup_id_z 1
		.amdhsa_system_sgpr_workgroup_info 0
		.amdhsa_system_vgpr_workitem_id 0
		.amdhsa_next_free_vgpr 17
		.amdhsa_next_free_sgpr 31
		.amdhsa_reserve_vcc 1
		.amdhsa_reserve_flat_scratch 0
		.amdhsa_float_round_mode_32 0
		.amdhsa_float_round_mode_16_64 0
		.amdhsa_float_denorm_mode_32 3
		.amdhsa_float_denorm_mode_16_64 3
		.amdhsa_dx10_clamp 1
		.amdhsa_ieee_mode 1
		.amdhsa_fp16_overflow 0
		.amdhsa_workgroup_processor_mode 1
		.amdhsa_memory_ordered 1
		.amdhsa_forward_progress 1
		.amdhsa_shared_vgpr_count 0
		.amdhsa_exception_fp_ieee_invalid_op 0
		.amdhsa_exception_fp_denorm_src 0
		.amdhsa_exception_fp_ieee_div_zero 0
		.amdhsa_exception_fp_ieee_overflow 0
		.amdhsa_exception_fp_ieee_underflow 0
		.amdhsa_exception_fp_ieee_inexact 0
		.amdhsa_exception_int_div_zero 0
	.end_amdhsa_kernel
	.section	.text._ZL33flash_attn_stream_k_fixup_generalILi64ELi2ELi4EEvPfPK15HIP_vector_typeIfLj2EEiiiiS1_IjLj3EES5_S5_S5_,"axG",@progbits,_ZL33flash_attn_stream_k_fixup_generalILi64ELi2ELi4EEvPfPK15HIP_vector_typeIfLj2EEiiiiS1_IjLj3EES5_S5_S5_,comdat
.Lfunc_end29:
	.size	_ZL33flash_attn_stream_k_fixup_generalILi64ELi2ELi4EEvPfPK15HIP_vector_typeIfLj2EEiiiiS1_IjLj3EES5_S5_S5_, .Lfunc_end29-_ZL33flash_attn_stream_k_fixup_generalILi64ELi2ELi4EEvPfPK15HIP_vector_typeIfLj2EEiiiiS1_IjLj3EES5_S5_S5_
                                        ; -- End function
	.set _ZL33flash_attn_stream_k_fixup_generalILi64ELi2ELi4EEvPfPK15HIP_vector_typeIfLj2EEiiiiS1_IjLj3EES5_S5_S5_.num_vgpr, 17
	.set _ZL33flash_attn_stream_k_fixup_generalILi64ELi2ELi4EEvPfPK15HIP_vector_typeIfLj2EEiiiiS1_IjLj3EES5_S5_S5_.num_agpr, 0
	.set _ZL33flash_attn_stream_k_fixup_generalILi64ELi2ELi4EEvPfPK15HIP_vector_typeIfLj2EEiiiiS1_IjLj3EES5_S5_S5_.numbered_sgpr, 31
	.set _ZL33flash_attn_stream_k_fixup_generalILi64ELi2ELi4EEvPfPK15HIP_vector_typeIfLj2EEiiiiS1_IjLj3EES5_S5_S5_.num_named_barrier, 0
	.set _ZL33flash_attn_stream_k_fixup_generalILi64ELi2ELi4EEvPfPK15HIP_vector_typeIfLj2EEiiiiS1_IjLj3EES5_S5_S5_.private_seg_size, 0
	.set _ZL33flash_attn_stream_k_fixup_generalILi64ELi2ELi4EEvPfPK15HIP_vector_typeIfLj2EEiiiiS1_IjLj3EES5_S5_S5_.uses_vcc, 1
	.set _ZL33flash_attn_stream_k_fixup_generalILi64ELi2ELi4EEvPfPK15HIP_vector_typeIfLj2EEiiiiS1_IjLj3EES5_S5_S5_.uses_flat_scratch, 0
	.set _ZL33flash_attn_stream_k_fixup_generalILi64ELi2ELi4EEvPfPK15HIP_vector_typeIfLj2EEiiiiS1_IjLj3EES5_S5_S5_.has_dyn_sized_stack, 0
	.set _ZL33flash_attn_stream_k_fixup_generalILi64ELi2ELi4EEvPfPK15HIP_vector_typeIfLj2EEiiiiS1_IjLj3EES5_S5_S5_.has_recursion, 0
	.set _ZL33flash_attn_stream_k_fixup_generalILi64ELi2ELi4EEvPfPK15HIP_vector_typeIfLj2EEiiiiS1_IjLj3EES5_S5_S5_.has_indirect_call, 0
	.section	.AMDGPU.csdata,"",@progbits
; Kernel info:
; codeLenInByte = 2944
; TotalNumSgprs: 33
; NumVgprs: 17
; ScratchSize: 0
; MemoryBound: 0
; FloatMode: 240
; IeeeMode: 1
; LDSByteSize: 0 bytes/workgroup (compile time only)
; SGPRBlocks: 0
; VGPRBlocks: 2
; NumSGPRsForWavesPerEU: 33
; NumVGPRsForWavesPerEU: 17
; Occupancy: 16
; WaveLimiterHint : 0
; COMPUTE_PGM_RSRC2:SCRATCH_EN: 0
; COMPUTE_PGM_RSRC2:USER_SGPR: 6
; COMPUTE_PGM_RSRC2:TRAP_HANDLER: 0
; COMPUTE_PGM_RSRC2:TGID_X_EN: 1
; COMPUTE_PGM_RSRC2:TGID_Y_EN: 1
; COMPUTE_PGM_RSRC2:TGID_Z_EN: 1
; COMPUTE_PGM_RSRC2:TIDIG_COMP_CNT: 0
	.section	.text._ZL15flash_attn_tileILi64ELi64ELi1ELi4ELb0EEvPKcS1_S1_S1_S1_PKiPfP15HIP_vector_typeIfLj2EEffffjfiS5_IjLj3EEiiiiiiiiiiiliiliiiiil,"axG",@progbits,_ZL15flash_attn_tileILi64ELi64ELi1ELi4ELb0EEvPKcS1_S1_S1_S1_PKiPfP15HIP_vector_typeIfLj2EEffffjfiS5_IjLj3EEiiiiiiiiiiiliiliiiiil,comdat
	.globl	_ZL15flash_attn_tileILi64ELi64ELi1ELi4ELb0EEvPKcS1_S1_S1_S1_PKiPfP15HIP_vector_typeIfLj2EEffffjfiS5_IjLj3EEiiiiiiiiiiiliiliiiiil ; -- Begin function _ZL15flash_attn_tileILi64ELi64ELi1ELi4ELb0EEvPKcS1_S1_S1_S1_PKiPfP15HIP_vector_typeIfLj2EEffffjfiS5_IjLj3EEiiiiiiiiiiiliiliiiiil
	.p2align	8
	.type	_ZL15flash_attn_tileILi64ELi64ELi1ELi4ELb0EEvPKcS1_S1_S1_S1_PKiPfP15HIP_vector_typeIfLj2EEffffjfiS5_IjLj3EEiiiiiiiiiiiliiliiiiil,@function
_ZL15flash_attn_tileILi64ELi64ELi1ELi4ELb0EEvPKcS1_S1_S1_S1_PKiPfP15HIP_vector_typeIfLj2EEffffjfiS5_IjLj3EEiiiiiiiiiiiliiliiiiil: ; @_ZL15flash_attn_tileILi64ELi64ELi1ELi4ELb0EEvPKcS1_S1_S1_S1_PKiPfP15HIP_vector_typeIfLj2EEffffjfiS5_IjLj3EEiiiiiiiiiiiliiliiiiil
; %bb.0:
	s_clause 0x1
	s_load_dwordx4 s[24:27], s[4:5], 0x5c
	s_load_dwordx2 s[30:31], s[4:5], 0x80
	s_mov_b32 s28, s7
	s_mov_b64 s[34:35], 0
	s_waitcnt lgkmcnt(0)
	s_ashr_i32 s0, s27, 31
	s_lshr_b32 s0, s0, 30
	s_add_i32 s0, s27, s0
	s_ashr_i32 s0, s0, 2
	v_cvt_f32_u32_e32 v2, s0
	s_sub_i32 s2, 0, s0
	v_rcp_iflag_f32_e32 v2, v2
	v_mul_f32_e32 v2, 0x4f7ffffe, v2
	v_cvt_u32_f32_e32 v2, v2
	v_readfirstlane_b32 s1, v2
	s_mul_i32 s2, s2, s1
	s_mul_hi_u32 s2, s1, s2
	s_add_i32 s1, s1, s2
	s_mul_hi_u32 s1, s8, s1
	s_mul_i32 s2, s1, s0
	s_add_i32 s3, s1, 1
	s_sub_i32 s2, s8, s2
	s_sub_i32 s7, s2, s0
	s_cmp_ge_u32 s2, s0
	s_cselect_b32 s1, s3, s1
	s_cselect_b32 s2, s7, s2
	s_add_i32 s3, s1, 1
	s_cmp_ge_u32 s2, s0
	s_cselect_b32 s29, s3, s1
	s_abs_i32 s0, s31
	s_lshl_b32 s3, s8, 2
	v_cvt_f32_u32_e32 v2, s0
	s_sub_i32 s2, 0, s0
	s_abs_i32 s8, s27
	s_mul_i32 s7, s29, s27
	v_rcp_iflag_f32_e32 v2, v2
	s_sub_i32 s33, s3, s7
	v_mul_f32_e32 v2, 0x4f7ffffe, v2
	v_cvt_u32_f32_e32 v2, v2
	v_readfirstlane_b32 s1, v2
	s_mul_i32 s2, s2, s1
	s_mul_hi_u32 s2, s1, s2
	s_add_i32 s1, s1, s2
	s_xor_b32 s2, s27, s31
	s_mul_hi_u32 s1, s8, s1
	s_ashr_i32 s2, s2, 31
	s_mul_i32 s3, s1, s0
	s_add_i32 s7, s1, 1
	s_sub_i32 s3, s8, s3
	s_sub_i32 s8, s3, s0
	s_cmp_ge_u32 s3, s0
	s_cselect_b32 s1, s7, s1
	s_cselect_b32 s3, s8, s3
	s_add_i32 s7, s1, 1
	s_cmp_ge_u32 s3, s0
	s_clause 0x1
	s_load_dwordx16 s[8:23], s[4:5], 0x0
	s_load_dwordx2 s[36:37], s[4:5], 0xb8
	s_cselect_b32 s0, s7, s1
	s_xor_b32 s0, s0, s2
	s_sub_i32 s31, s0, s2
	s_abs_i32 s7, s31
	v_cvt_f32_u32_e32 v2, s7
	v_rcp_iflag_f32_e32 v2, v2
	s_waitcnt lgkmcnt(0)
	s_cmp_eq_u64 s[14:15], 0
	v_mul_f32_e32 v2, 0x4f7ffffe, v2
	v_cvt_u32_f32_e32 v2, v2
	v_readfirstlane_b32 s38, v2
	s_cbranch_scc1 .LBB30_2
; %bb.1:
	s_abs_i32 s2, s36
	s_abs_i32 s3, s29
	v_cvt_f32_u32_e32 v2, s2
	s_sub_i32 s1, 0, s2
	v_rcp_iflag_f32_e32 v2, v2
	v_mul_f32_e32 v2, 0x4f7ffffe, v2
	v_cvt_u32_f32_e32 v2, v2
	v_readfirstlane_b32 s0, v2
	s_mul_i32 s1, s1, s0
	s_mul_hi_u32 s1, s0, s1
	s_add_i32 s0, s0, s1
	s_mul_hi_u32 s34, s3, s0
	s_load_dwordx2 s[0:1], s[4:5], 0xc8
	s_mul_i32 s34, s34, s2
	s_sub_i32 s3, s3, s34
	s_ashr_i32 s34, s29, 31
	s_sub_i32 s35, s3, s2
	s_cmp_ge_u32 s3, s2
	s_cselect_b32 s3, s35, s3
	s_sub_i32 s35, s3, s2
	s_cmp_ge_u32 s3, s2
	s_cselect_b32 s2, s35, s3
	s_xor_b32 s2, s2, s34
	s_sub_i32 s2, s2, s34
	s_ashr_i32 s3, s2, 31
	s_waitcnt lgkmcnt(0)
	s_mul_hi_u32 s34, s0, s2
	s_mul_i32 s3, s0, s3
	s_mul_i32 s1, s1, s2
	s_add_i32 s3, s34, s3
	s_mul_i32 s0, s0, s2
	s_add_i32 s3, s3, s1
	s_add_u32 s34, s14, s0
	s_addc_u32 s35, s15, s3
.LBB30_2:
	v_lshrrev_b32_e32 v2, 1, v1
	s_load_dwordx4 s[0:3], s[4:5], 0x70
	v_lshlrev_b32_e32 v5, 1, v1
	v_add_nc_u32_e32 v17, s6, v2
	v_or_b32_e32 v11, 1, v5
	v_and_b32_e32 v37, 2, v5
	v_mul_hi_u32 v2, s24, v17
	v_and_b32_e32 v9, 3, v11
	v_add_nc_u32_e32 v2, v17, v2
	s_waitcnt lgkmcnt(0)
	s_mul_i32 s3, s29, s2
	s_mul_i32 s14, s33, s1
	v_lshrrev_b32_e32 v2, s25, v2
	s_ashr_i32 s15, s3, 31
	s_add_u32 s3, s8, s3
	s_addc_u32 s8, s9, s15
	s_ashr_i32 s9, s14, 31
	v_mul_lo_u32 v2, v2, s26
	s_add_u32 s14, s3, s14
	s_mov_b32 s2, s1
	s_addc_u32 s15, s8, s9
	s_ashr_i32 s3, s1, 31
	s_ashr_i32 s1, s0, 31
	s_lshr_b64 s[8:9], s[0:1], 2
	v_sub_nc_u32_e32 v2, v17, v2
	s_lshr_b32 s1, s1, 2
	s_lshr_b32 s0, s3, 2
	v_mul_lo_u32 v10, s0, v37
	v_mad_u64_u32 v[3:4], null, s8, v2, 0
	s_lshr_b64 s[8:9], s[2:3], 2
	s_cmp_eq_u64 s[18:19], 0
	v_mad_u64_u32 v[7:8], null, s8, v37, 0
	v_mad_u64_u32 v[4:5], null, s1, v2, v[4:5]
	v_mad_u64_u32 v[5:6], null, s8, v9, 0
	v_or_b32_e32 v8, v8, v10
	v_lshlrev_b64 v[3:4], 2, v[3:4]
	v_mad_u64_u32 v[9:10], null, s0, v9, v[6:7]
	v_lshlrev_b32_e32 v10, 3, v0
	v_lshlrev_b64 v[7:8], 2, v[7:8]
	v_add_co_u32 v3, vcc_lo, s14, v3
	v_add_co_ci_u32_e64 v4, null, s15, v4, vcc_lo
	v_mov_b32_e32 v6, v9
	v_add_co_u32 v9, vcc_lo, v3, v10
	v_add_co_ci_u32_e64 v10, null, 0, v4, vcc_lo
	v_lshlrev_b64 v[3:4], 2, v[5:6]
	v_add_co_u32 v5, vcc_lo, v9, v7
	v_add_co_ci_u32_e64 v6, null, v10, v8, vcc_lo
	s_load_dword s0, s[4:5], 0x40
	v_add_co_u32 v3, vcc_lo, v9, v3
	v_add_co_ci_u32_e64 v4, null, v10, v4, vcc_lo
	s_clause 0x1
	global_load_dwordx2 v[5:6], v[5:6], off
	global_load_dwordx2 v[7:8], v[3:4], off
	v_lshl_or_b32 v4, v0, 2, 0x1200
	v_lshlrev_b32_e32 v3, 8, v1
	v_add_nc_u32_e32 v9, v4, v3
	v_lshl_add_u32 v4, v11, 7, v4
	s_waitcnt vmcnt(1) lgkmcnt(0)
	v_fma_mixlo_f16 v6, s0, v6, 0
	s_waitcnt vmcnt(0)
	v_fma_mixlo_f16 v8, s0, v8, 0
	v_fma_mixlo_f16 v5, s0, v5, 0
	;; [unrolled: 1-line block ×3, first 2 shown]
	v_lshlrev_b32_e32 v6, 16, v6
	v_lshlrev_b32_e32 v8, 16, v8
	v_or_b32_sdwa v5, v6, v5 dst_sel:DWORD dst_unused:UNUSED_PAD src0_sel:DWORD src1_sel:WORD_0
	v_or_b32_sdwa v6, v8, v7 dst_sel:DWORD dst_unused:UNUSED_PAD src0_sel:DWORD src1_sel:WORD_0
	ds_write_b32 v9, v5
	ds_write_b32 v4, v6
	s_waitcnt lgkmcnt(0)
	s_barrier
	buffer_gl0_inv
	s_cbranch_scc1 .LBB30_4
; %bb.3:
	s_load_dword s0, s[4:5], 0xd0
	s_mov_b32 s1, 0
	s_waitcnt lgkmcnt(0)
	s_mul_i32 s0, s0, s29
	s_add_i32 s0, s0, s6
	s_lshl_b64 s[0:1], s[0:1], 2
	s_add_u32 s0, s18, s0
	s_addc_u32 s1, s19, s1
	s_load_dword s30, s[0:1], 0x0
.LBB30_4:
	v_mbcnt_lo_u32_b32 v38, -1, 0
	s_lshl_b32 s8, s28, 5
	s_waitcnt lgkmcnt(0)
	s_cmp_lt_i32 s8, s30
	s_cbranch_scc1 .LBB30_7
; %bb.5:
	v_mbcnt_lo_u32_b32 v4, -1, 0
	v_mov_b32_e32 v39, 32
	v_xor_b32_e32 v45, 16, v4
	v_xor_b32_e32 v43, 8, v4
	;; [unrolled: 1-line block ×5, first 2 shown]
	s_cbranch_execz .LBB30_8
; %bb.6:
	v_mov_b32_e32 v64, 0
	v_mov_b32_e32 v65, 0
	v_mov_b32_e32 v19, 0xfeffffff
	v_mov_b32_e32 v18, 0xfeffffff
	v_mov_b32_e32 v66, 0
	v_mov_b32_e32 v47, 0
	s_branch .LBB30_11
.LBB30_7:
                                        ; implicit-def: $vgpr4
                                        ; implicit-def: $vgpr39
                                        ; implicit-def: $vgpr45
                                        ; implicit-def: $vgpr43
                                        ; implicit-def: $vgpr42
                                        ; implicit-def: $vgpr41
                                        ; implicit-def: $vgpr40
.LBB30_8:
	s_clause 0x1
	s_load_dwordx4 s[0:3], s[4:5], 0x98
	s_load_dwordx2 s[14:15], s[4:5], 0x8c
	s_sub_i32 s6, 0, s7
	s_abs_i32 s24, s33
	s_mul_i32 s6, s6, s38
	s_ashr_i32 s25, s33, 31
	s_mul_hi_u32 s6, s38, s6
	s_ashr_i32 s31, s31, 31
	s_add_i32 s38, s38, s6
	s_ashr_i32 s6, s37, 1
	s_ashr_i32 s37, s29, 31
	s_mul_hi_u32 s36, s24, s38
	s_load_dwordx2 s[18:19], s[4:5], 0xa8
	s_mul_i32 s38, s36, s7
	v_lshrrev_b32_e32 v4, 3, v0
	v_lshlrev_b32_e32 v44, 2, v0
	v_mad_u64_u32 v[20:21], null, v2, s6, v[0:1]
	v_lshl_add_u32 v54, v1, 7, 0x1400
	v_lshl_add_u32 v11, v1, 2, v4
	s_waitcnt lgkmcnt(0)
	s_ashr_i32 s9, s2, 2
	s_mul_hi_u32 s2, s0, s29
	s_mul_i32 s39, s0, s37
	s_mul_i32 s1, s1, s29
	s_add_i32 s2, s2, s39
	s_mul_i32 s0, s0, s29
	s_ashr_i32 s14, s14, 2
	s_add_i32 s2, s2, s1
	s_add_u32 s0, s10, s0
	s_addc_u32 s1, s11, s2
	s_sub_i32 s10, s24, s38
	s_xor_b32 s2, s25, s31
	s_add_i32 s11, s36, 1
	s_sub_i32 s24, s10, s7
	s_cmp_ge_u32 s10, s7
	v_mul_lo_u32 v4, s14, v11
	s_cselect_b32 s11, s11, s36
	s_cselect_b32 s10, s24, s10
	s_add_i32 s24, s11, 1
	s_cmp_ge_u32 s10, s7
	v_mul_lo_u32 v10, s9, v11
	s_cselect_b32 s7, s24, s11
	s_mul_hi_u32 s24, s18, s29
	s_xor_b32 s7, s7, s2
	v_and_b32_e32 v16, 28, v44
	s_sub_i32 s2, s7, s2
	s_mul_i32 s7, s18, s37
	s_mul_i32 s10, s2, s15
	;; [unrolled: 1-line block ×3, first 2 shown]
	s_ashr_i32 s11, s10, 31
	s_add_u32 s10, s0, s10
	s_addc_u32 s11, s1, s11
	s_add_i32 s0, s24, s7
	s_mul_i32 s1, s18, s29
	s_add_i32 s0, s0, s15
	s_mul_i32 s2, s2, s3
	s_add_u32 s1, s12, s1
	s_addc_u32 s0, s13, s0
	s_ashr_i32 s7, s2, 31
	s_add_u32 s3, s1, s2
	s_addc_u32 s12, s0, s7
	s_lshl_b32 s0, s14, 3
	v_lshlrev_b32_e32 v15, 2, v16
	v_add_nc_u32_e32 v6, s0, v4
	v_ashrrev_i32_e32 v5, 31, v4
	v_mov_b32_e32 v47, 0
	v_mul_u32_u24_e32 v51, 0x90, v0
	v_mad_u32_u24 v46, 0x90, v11, v15
	v_add_nc_u32_e32 v8, s0, v6
	v_ashrrev_i32_e32 v7, 31, v6
	v_lshl_or_b32 v53, v11, 7, v15
	v_ashrrev_i32_e32 v11, 31, v10
	v_lshlrev_b64 v[21:22], 2, v[4:5]
	v_add_nc_u32_e32 v12, s0, v8
	s_lshl_b32 s0, s9, 3
	v_ashrrev_i32_e32 v9, 31, v8
	v_add_nc_u32_e32 v14, s0, v10
	v_lshlrev_b64 v[23:24], 2, v[6:7]
	v_ashrrev_i32_e32 v13, 31, v12
	v_lshlrev_b64 v[29:30], 2, v[10:11]
	v_lshlrev_b64 v[25:26], 2, v[8:9]
	v_add_nc_u32_e32 v33, s0, v14
	v_ashrrev_i32_e32 v15, 31, v14
	v_lshlrev_b64 v[27:28], 2, v[12:13]
	v_add_nc_u32_e32 v48, 0x480, v46
	v_add_nc_u32_e32 v49, 0x900, v46
	;; [unrolled: 1-line block ×3, first 2 shown]
	v_ashrrev_i32_e32 v34, 31, v33
	v_lshlrev_b64 v[31:32], 2, v[14:15]
	v_add_nc_u32_e32 v50, 0xd80, v46
	v_add_nc_u32_e32 v52, 0x1200, v3
	v_ashrrev_i32_e32 v2, 31, v1
	v_lshlrev_b64 v[33:34], 2, v[33:34]
	v_add_nc_u32_e32 v55, 0x400, v53
	v_add_nc_u32_e32 v56, 0x800, v53
	;; [unrolled: 1-line block ×3, first 2 shown]
	v_lshlrev_b64 v[35:36], 2, v[1:2]
	v_mov_b32_e32 v18, 0xfeffffff
	v_lshlrev_b32_e32 v58, 2, v16
	v_mov_b32_e32 v39, 32
	v_xor_b32_e32 v45, 16, v38
	v_xor_b32_e32 v43, 8, v38
	;; [unrolled: 1-line block ×5, first 2 shown]
	v_add_nc_u32_e32 v59, v54, v44
	v_mov_b32_e32 v60, 0x10001
	v_add_nc_u32_e32 v61, 0x400, v44
	v_add_nc_u32_e32 v62, 0x800, v44
	v_add_nc_u32_e32 v63, 0xc00, v44
	v_mov_b32_e32 v64, 0
	v_mov_b32_e32 v19, 0xfeffffff
	;; [unrolled: 1-line block ×4, first 2 shown]
	s_add_u32 s6, s4, 0xd0
	s_addc_u32 s7, s5, 0
.LBB30_9:                               ; =>This Inner Loop Header: Depth=1
	s_mul_hi_i32 s1, s8, s14
	s_mul_i32 s0, s8, s14
	v_mov_b32_e32 v68, 0
	s_lshl_b64 s[0:1], s[0:1], 2
	v_mov_b32_e32 v69, 0
	s_add_u32 s2, s10, s0
	s_addc_u32 s13, s11, s1
	v_add_co_u32 v1, vcc_lo, s2, v23
	v_add_co_u32 v2, s0, s2, v25
	v_add_co_u32 v3, s1, s2, v27
	;; [unrolled: 1-line block ×3, first 2 shown]
	v_add_co_ci_u32_e64 v6, null, s13, v22, s2
	v_add_co_ci_u32_e64 v7, null, s13, v24, vcc_lo
	v_add_co_ci_u32_e64 v8, null, s13, v26, s0
	v_add_co_ci_u32_e64 v11, null, s13, v28, s1
	v_add_co_u32 v5, vcc_lo, v1, v58
	v_add_co_u32 v1, s2, v4, v58
	v_add_co_u32 v9, s0, v2, v58
	v_add_co_ci_u32_e64 v2, null, 0, v6, s2
	v_add_co_u32 v13, s1, v3, v58
	v_add_co_ci_u32_e64 v6, null, 0, v7, vcc_lo
	v_add_co_ci_u32_e64 v10, null, 0, v8, s0
	v_add_co_ci_u32_e64 v14, null, 0, v11, s1
	s_clause 0x3
	global_load_dwordx4 v[1:4], v[1:2], off
	global_load_dwordx4 v[5:8], v[5:6], off
	;; [unrolled: 1-line block ×4, first 2 shown]
	v_add_nc_u32_e32 v70, s8, v20
	s_mul_hi_i32 s1, s8, s9
	s_mul_i32 s0, s8, s9
	v_mov_b32_e32 v72, v18
	s_lshl_b64 s[0:1], s[0:1], 2
	v_ashrrev_i32_e32 v71, 31, v70
	s_add_u32 s2, s3, s0
	s_addc_u32 s13, s12, s1
	v_mov_b32_e32 v67, v66
	s_waitcnt vmcnt(3)
	ds_write_b128 v46, v[1:4]
	s_waitcnt vmcnt(2)
	ds_write_b128 v48, v[5:8]
	;; [unrolled: 2-line block ×4, first 2 shown]
	s_waitcnt lgkmcnt(0)
	s_barrier
	buffer_gl0_inv
	ds_read_b128 v[1:4], v51
	ds_read_b128 v[5:8], v52
	ds_read_b128 v[9:12], v52 offset:128
	s_waitcnt lgkmcnt(1)
	;;#ASMSTART
	v_dot2_f32_f16 v68, v1, v5, v68
	;;#ASMEND
	;;#ASMSTART
	v_dot2_f32_f16 v68, v2, v6, v68
	;;#ASMEND
	;;#ASMSTART
	v_dot2_f32_f16 v68, v3, v7, v68
	;;#ASMEND
	;;#ASMSTART
	v_dot2_f32_f16 v68, v4, v8, v68
	;;#ASMEND
	s_waitcnt lgkmcnt(0)
	;;#ASMSTART
	v_dot2_f32_f16 v69, v1, v9, v69
	;;#ASMEND
	;;#ASMSTART
	v_dot2_f32_f16 v69, v2, v10, v69
	;;#ASMEND
	;;#ASMSTART
	v_dot2_f32_f16 v69, v3, v11, v69
	;;#ASMEND
	;;#ASMSTART
	v_dot2_f32_f16 v69, v4, v12, v69
	;;#ASMEND
	ds_read_b128 v[1:4], v51 offset:16
	ds_read_b128 v[5:8], v52 offset:16
	ds_read_b128 v[9:12], v52 offset:144
	s_waitcnt lgkmcnt(1)
	;;#ASMSTART
	v_dot2_f32_f16 v68, v1, v5, v68
	;;#ASMEND
	;;#ASMSTART
	v_dot2_f32_f16 v68, v2, v6, v68
	;;#ASMEND
	;;#ASMSTART
	v_dot2_f32_f16 v68, v3, v7, v68
	;;#ASMEND
	;;#ASMSTART
	v_dot2_f32_f16 v68, v4, v8, v68
	;;#ASMEND
	s_waitcnt lgkmcnt(0)
	;;#ASMSTART
	v_dot2_f32_f16 v69, v1, v9, v69
	;;#ASMEND
	;;#ASMSTART
	v_dot2_f32_f16 v69, v2, v10, v69
	;;#ASMEND
	;;#ASMSTART
	v_dot2_f32_f16 v69, v3, v11, v69
	;;#ASMEND
	;;#ASMSTART
	v_dot2_f32_f16 v69, v4, v12, v69
	;;#ASMEND
	ds_read_b128 v[1:4], v51 offset:32
	ds_read_b128 v[5:8], v52 offset:32
	;; [unrolled: 29-line block ×7, first 2 shown]
	ds_read_b128 v[9:12], v52 offset:240
	v_lshlrev_b64 v[70:71], 1, v[70:71]
	s_waitcnt lgkmcnt(1)
	;;#ASMSTART
	v_dot2_f32_f16 v68, v1, v5, v68
	;;#ASMEND
	v_add_co_u32 v70, vcc_lo, s34, v70
	v_add_co_ci_u32_e64 v71, null, s35, v71, vcc_lo
	;;#ASMSTART
	v_dot2_f32_f16 v68, v2, v6, v68
	;;#ASMEND
	;;#ASMSTART
	v_dot2_f32_f16 v68, v3, v7, v68
	;;#ASMEND
	;; [unrolled: 3-line block ×3, first 2 shown]
	s_waitcnt lgkmcnt(0)
	;;#ASMSTART
	v_dot2_f32_f16 v69, v1, v9, v69
	;;#ASMEND
	;;#ASMSTART
	v_dot2_f32_f16 v69, v2, v10, v69
	;;#ASMEND
	;; [unrolled: 3-line block ×4, first 2 shown]
	global_load_ushort v70, v[70:71], off
	v_add_co_u32 v1, vcc_lo, s2, v31
	v_add_co_u32 v2, s0, s2, v33
	v_add_co_u32 v3, s1, s2, v35
	;; [unrolled: 1-line block ×3, first 2 shown]
	v_add_co_ci_u32_e64 v6, null, s13, v30, s2
	v_add_co_ci_u32_e64 v7, null, s13, v32, vcc_lo
	v_add_co_ci_u32_e64 v8, null, s13, v34, s0
	v_add_co_ci_u32_e64 v11, null, s13, v36, s1
	v_add_co_u32 v5, vcc_lo, v1, v58
	v_add_co_u32 v1, s2, v4, v58
	v_add_co_u32 v9, s0, v2, v58
	v_add_co_ci_u32_e64 v2, null, 0, v6, s2
	v_add_co_u32 v13, s1, v3, v58
	v_add_co_ci_u32_e64 v6, null, 0, v7, vcc_lo
	v_add_co_ci_u32_e64 v10, null, 0, v8, s0
	v_add_co_ci_u32_e64 v14, null, 0, v11, s1
	s_waitcnt vmcnt(0)
	s_barrier
	buffer_gl0_inv
	s_clause 0x3
	global_load_dwordx4 v[1:4], v[1:2], off
	global_load_dwordx4 v[5:8], v[5:6], off
	;; [unrolled: 1-line block ×4, first 2 shown]
	v_cmp_gt_i32_e32 vcc_lo, 32, v45
	v_mov_b32_e32 v71, v19
	v_cndmask_b32_e32 v18, v38, v45, vcc_lo
	v_cmp_gt_i32_e32 vcc_lo, 32, v43
	v_max_f32_e32 v76, v71, v71
	v_lshlrev_b32_e32 v18, 2, v18
	v_cndmask_b32_e32 v19, v38, v43, vcc_lo
	v_cmp_gt_i32_e32 vcc_lo, 32, v42
	v_lshlrev_b32_e32 v19, 2, v19
	v_cndmask_b32_e32 v73, v38, v42, vcc_lo
	v_cmp_gt_i32_e32 vcc_lo, 32, v41
	;; [unrolled: 3-line block ×3, first 2 shown]
	v_lshlrev_b32_e32 v73, 2, v74
	v_cndmask_b32_e32 v75, v38, v40, vcc_lo
	v_lshlrev_b32_e32 v74, 2, v75
	v_max_f32_e32 v75, v72, v72
	v_cvt_f32_f16_e32 v70, v70
	v_add_f32_e32 v68, v68, v70
	v_add_f32_e32 v77, v69, v70
	v_add_f32_e32 v69, 0x40051340, v68
	v_add_f32_e32 v70, 0x40051340, v77
	v_max_f32_e32 v69, v75, v69
	v_max_f32_e32 v70, v76, v70
	ds_bpermute_b32 v75, v18, v69
	ds_bpermute_b32 v18, v18, v70
	s_waitcnt lgkmcnt(1)
	v_max_f32_e32 v75, v75, v75
	s_waitcnt lgkmcnt(0)
	v_max_f32_e32 v18, v18, v18
	v_max_f32_e32 v69, v69, v75
	v_max_f32_e32 v18, v70, v18
	ds_bpermute_b32 v70, v19, v69
	ds_bpermute_b32 v19, v19, v18
	s_waitcnt lgkmcnt(1)
	v_max_f32_e32 v70, v70, v70
	s_waitcnt lgkmcnt(0)
	v_max_f32_e32 v19, v19, v19
	;; [unrolled: 8-line block ×5, first 2 shown]
	v_max_f32_e32 v18, v19, v18
	v_max_f32_e32 v19, v66, v69
	v_sub_f32_e32 v66, v68, v18
	v_sub_f32_e32 v68, v77, v19
	;; [unrolled: 1-line block ×4, first 2 shown]
	v_mul_f32_e32 v72, 0x3fb8aa3b, v66
	v_mul_f32_e32 v74, 0x3fb8aa3b, v68
	;; [unrolled: 1-line block ×4, first 2 shown]
	v_cmp_ngt_f32_e32 vcc_lo, 0xc2ce8ed0, v68
	v_fma_f32 v77, 0x3fb8aa3b, v66, -v72
	v_rndne_f32_e32 v78, v72
	v_fma_f32 v81, 0x3fb8aa3b, v68, -v74
	v_rndne_f32_e32 v82, v74
	;; [unrolled: 2-line block ×3, first 2 shown]
	v_fmac_f32_e32 v77, 0x32a5705f, v66
	v_sub_f32_e32 v72, v72, v78
	v_fmac_f32_e32 v81, 0x32a5705f, v68
	v_sub_f32_e32 v74, v74, v82
	;; [unrolled: 2-line block ×3, first 2 shown]
	v_add_f32_e32 v72, v72, v77
	v_fma_f32 v75, 0x3fb8aa3b, v69, -v71
	v_add_f32_e32 v74, v74, v81
	v_rndne_f32_e32 v76, v71
	v_add_f32_e32 v73, v73, v79
	v_exp_f32_e32 v72, v72
	v_fmac_f32_e32 v75, 0x32a5705f, v69
	v_exp_f32_e32 v74, v74
	v_sub_f32_e32 v71, v71, v76
	v_cvt_i32_f32_e32 v78, v78
	v_cvt_i32_f32_e32 v82, v82
	v_exp_f32_e32 v73, v73
	v_cvt_i32_f32_e32 v80, v80
	v_add_f32_e32 v71, v71, v75
	v_cmp_ngt_f32_e64 s0, 0xc2ce8ed0, v66
	v_ldexp_f32 v75, v72, v78
	v_cvt_i32_f32_e32 v76, v76
	v_ldexp_f32 v74, v74, v82
	v_exp_f32_e32 v71, v71
	v_ldexp_f32 v72, v73, v80
	v_cndmask_b32_e64 v73, 0, v75, s0
	v_cndmask_b32_e32 v74, 0, v74, vcc_lo
	v_cmp_nlt_f32_e32 vcc_lo, 0x42b17218, v68
	v_cmp_nlt_f32_e64 s0, 0x42b17218, v66
	v_ldexp_f32 v71, v71, v76
	v_cndmask_b32_e32 v68, 0x7f800000, v74, vcc_lo
	v_cndmask_b32_e64 v66, 0x7f800000, v73, s0
	v_cmp_ngt_f32_e32 vcc_lo, 0xc2ce8ed0, v70
	v_cmp_ngt_f32_e64 s0, 0xc2ce8ed0, v69
	v_cvt_f16_f32_e32 v74, v68
	v_cvt_f16_f32_e32 v73, v66
	v_pack_b32_f16 v73, v73, v74
	ds_write_b32 v59, v73
	s_waitcnt vmcnt(3)
	ds_write_b128 v53, v[1:4]
	s_waitcnt vmcnt(2)
	ds_write_b128 v55, v[5:8]
	;; [unrolled: 2-line block ×4, first 2 shown]
	s_waitcnt lgkmcnt(0)
	s_barrier
	buffer_gl0_inv
	ds_read_b128 v[3:6], v54
	ds_read2_b32 v[11:12], v44 offset1:32
	v_cndmask_b32_e64 v1, 0, v71, s0
	v_cndmask_b32_e32 v7, 0, v72, vcc_lo
	v_cmp_nlt_f32_e32 vcc_lo, 0x42b17218, v70
	v_cmp_nlt_f32_e64 s0, 0x42b17218, v69
	v_cndmask_b32_e64 v2, 0x7f800000, v1, s0
	v_cndmask_b32_e32 v1, 0x7f800000, v7, vcc_lo
	ds_read_b128 v[7:10], v54 offset:16
	ds_read2_b32 v[13:14], v44 offset0:64 offset1:96
	ds_read2_b32 v[73:74], v63 offset1:32
	v_cvt_f16_f32_e32 v15, v2
	v_cvt_f16_f32_e32 v16, v1
	v_fmac_f32_e32 v66, v67, v2
	s_waitcnt lgkmcnt(4)
	v_mul_u32_u24_sdwa v69, v3, v60 dst_sel:DWORD dst_unused:UNUSED_PAD src0_sel:WORD_0 src1_sel:DWORD
	v_mul_u32_u24_sdwa v3, v3, v60 dst_sel:DWORD dst_unused:UNUSED_PAD src0_sel:WORD_1 src1_sel:DWORD
	v_mul_u32_u24_sdwa v70, v15, v60 dst_sel:DWORD dst_unused:UNUSED_PAD src0_sel:WORD_0 src1_sel:DWORD
	v_mul_u32_u24_sdwa v71, v16, v60 dst_sel:DWORD dst_unused:UNUSED_PAD src0_sel:WORD_0 src1_sel:DWORD
	ds_read2_b32 v[15:16], v44 offset0:128 offset1:160
	s_waitcnt lgkmcnt(4)
	v_pk_mul_f16 v69, v11, v69
	v_pk_mul_f16 v3, v11, v3
	v_mul_u32_u24_sdwa v11, v4, v60 dst_sel:DWORD dst_unused:UNUSED_PAD src0_sel:WORD_0 src1_sel:DWORD
	v_mul_u32_u24_sdwa v4, v4, v60 dst_sel:DWORD dst_unused:UNUSED_PAD src0_sel:WORD_1 src1_sel:DWORD
	v_pk_fma_f16 v64, v64, v70, v69
	v_pk_fma_f16 v3, v47, v71, v3
	v_mul_u32_u24_sdwa v47, v5, v60 dst_sel:DWORD dst_unused:UNUSED_PAD src0_sel:WORD_0 src1_sel:DWORD
	v_mul_u32_u24_sdwa v5, v5, v60 dst_sel:DWORD dst_unused:UNUSED_PAD src0_sel:WORD_1 src1_sel:DWORD
	v_mul_u32_u24_sdwa v69, v6, v60 dst_sel:DWORD dst_unused:UNUSED_PAD src0_sel:WORD_0 src1_sel:DWORD
	v_pk_fma_f16 v64, v12, v11, v64
	v_pk_fma_f16 v3, v12, v4, v3
	ds_read2_b32 v[11:12], v44 offset0:192 offset1:224
	v_mul_u32_u24_sdwa v70, v6, v60 dst_sel:DWORD dst_unused:UNUSED_PAD src0_sel:WORD_1 src1_sel:DWORD
	ds_read2_b32 v[71:72], v61 offset0:192 offset1:224
	s_waitcnt lgkmcnt(4)
	v_pk_fma_f16 v47, v13, v47, v64
	v_pk_fma_f16 v13, v13, v5, v3
	ds_read_b128 v[3:6], v54 offset:32
	v_mul_u32_u24_sdwa v64, v7, v60 dst_sel:DWORD dst_unused:UNUSED_PAD src0_sel:WORD_0 src1_sel:DWORD
	v_mul_u32_u24_sdwa v7, v7, v60 dst_sel:DWORD dst_unused:UNUSED_PAD src0_sel:WORD_1 src1_sel:DWORD
	v_pk_fma_f16 v47, v14, v69, v47
	v_pk_fma_f16 v69, v14, v70, v13
	ds_read2_b32 v[13:14], v61 offset1:32
	v_mul_u32_u24_sdwa v70, v8, v60 dst_sel:DWORD dst_unused:UNUSED_PAD src0_sel:WORD_0 src1_sel:DWORD
	v_mul_u32_u24_sdwa v8, v8, v60 dst_sel:DWORD dst_unused:UNUSED_PAD src0_sel:WORD_1 src1_sel:DWORD
	s_waitcnt lgkmcnt(4)
	v_pk_fma_f16 v47, v15, v64, v47
	v_pk_fma_f16 v7, v15, v7, v69
	v_mul_u32_u24_sdwa v64, v9, v60 dst_sel:DWORD dst_unused:UNUSED_PAD src0_sel:WORD_0 src1_sel:DWORD
	v_mul_u32_u24_sdwa v9, v9, v60 dst_sel:DWORD dst_unused:UNUSED_PAD src0_sel:WORD_1 src1_sel:DWORD
	v_mul_u32_u24_sdwa v69, v10, v60 dst_sel:DWORD dst_unused:UNUSED_PAD src0_sel:WORD_0 src1_sel:DWORD
	v_pk_fma_f16 v47, v16, v70, v47
	v_pk_fma_f16 v7, v16, v8, v7
	ds_read2_b32 v[15:16], v61 offset0:64 offset1:96
	v_mul_u32_u24_sdwa v70, v10, v60 dst_sel:DWORD dst_unused:UNUSED_PAD src0_sel:WORD_1 src1_sel:DWORD
	s_waitcnt lgkmcnt(4)
	v_pk_fma_f16 v47, v11, v64, v47
	v_pk_fma_f16 v11, v11, v9, v7
	ds_read_b128 v[7:10], v54 offset:48
	s_waitcnt lgkmcnt(3)
	v_mul_u32_u24_sdwa v64, v3, v60 dst_sel:DWORD dst_unused:UNUSED_PAD src0_sel:WORD_0 src1_sel:DWORD
	v_mul_u32_u24_sdwa v3, v3, v60 dst_sel:DWORD dst_unused:UNUSED_PAD src0_sel:WORD_1 src1_sel:DWORD
	v_pk_fma_f16 v47, v12, v69, v47
	v_pk_fma_f16 v11, v12, v70, v11
	ds_read2_b32 v[69:70], v61 offset0:128 offset1:160
	v_mul_u32_u24_sdwa v12, v4, v60 dst_sel:DWORD dst_unused:UNUSED_PAD src0_sel:WORD_0 src1_sel:DWORD
	v_mul_u32_u24_sdwa v4, v4, v60 dst_sel:DWORD dst_unused:UNUSED_PAD src0_sel:WORD_1 src1_sel:DWORD
	s_waitcnt lgkmcnt(3)
	v_pk_fma_f16 v47, v13, v64, v47
	v_pk_fma_f16 v3, v13, v3, v11
	v_mul_u32_u24_sdwa v11, v5, v60 dst_sel:DWORD dst_unused:UNUSED_PAD src0_sel:WORD_0 src1_sel:DWORD
	v_mul_u32_u24_sdwa v5, v5, v60 dst_sel:DWORD dst_unused:UNUSED_PAD src0_sel:WORD_1 src1_sel:DWORD
	v_pk_fma_f16 v12, v14, v12, v47
	v_pk_fma_f16 v3, v14, v4, v3
	v_mul_u32_u24_sdwa v4, v6, v60 dst_sel:DWORD dst_unused:UNUSED_PAD src0_sel:WORD_0 src1_sel:DWORD
	v_mul_u32_u24_sdwa v6, v6, v60 dst_sel:DWORD dst_unused:UNUSED_PAD src0_sel:WORD_1 src1_sel:DWORD
	s_waitcnt lgkmcnt(2)
	v_pk_fma_f16 v47, v15, v11, v12
	v_pk_fma_f16 v3, v15, v5, v3
	ds_read_b128 v[11:14], v54 offset:64
	s_waitcnt lgkmcnt(2)
	v_mul_u32_u24_sdwa v5, v7, v60 dst_sel:DWORD dst_unused:UNUSED_PAD src0_sel:WORD_0 src1_sel:DWORD
	v_mul_u32_u24_sdwa v7, v7, v60 dst_sel:DWORD dst_unused:UNUSED_PAD src0_sel:WORD_1 src1_sel:DWORD
	v_pk_fma_f16 v4, v16, v4, v47
	v_pk_fma_f16 v3, v16, v6, v3
	ds_read2_b32 v[15:16], v62 offset1:32
	v_mul_u32_u24_sdwa v6, v8, v60 dst_sel:DWORD dst_unused:UNUSED_PAD src0_sel:WORD_0 src1_sel:DWORD
	v_mul_u32_u24_sdwa v8, v8, v60 dst_sel:DWORD dst_unused:UNUSED_PAD src0_sel:WORD_1 src1_sel:DWORD
	s_waitcnt lgkmcnt(2)
	v_pk_fma_f16 v4, v69, v5, v4
	v_pk_fma_f16 v5, v69, v7, v3
	v_mul_u32_u24_sdwa v7, v9, v60 dst_sel:DWORD dst_unused:UNUSED_PAD src0_sel:WORD_0 src1_sel:DWORD
	v_mul_u32_u24_sdwa v9, v9, v60 dst_sel:DWORD dst_unused:UNUSED_PAD src0_sel:WORD_1 src1_sel:DWORD
	v_mov_b32_e32 v3, v65
	v_pk_fma_f16 v4, v70, v6, v4
	v_pk_fma_f16 v5, v70, v8, v5
	ds_read2_b32 v[64:65], v62 offset0:64 offset1:96
	v_mul_u32_u24_sdwa v8, v10, v60 dst_sel:DWORD dst_unused:UNUSED_PAD src0_sel:WORD_0 src1_sel:DWORD
	v_mul_u32_u24_sdwa v10, v10, v60 dst_sel:DWORD dst_unused:UNUSED_PAD src0_sel:WORD_1 src1_sel:DWORD
	v_pk_fma_f16 v47, v71, v7, v4
	v_pk_fma_f16 v9, v71, v9, v5
	ds_read_b128 v[4:7], v54 offset:80
	s_waitcnt lgkmcnt(3)
	v_mul_u32_u24_sdwa v71, v11, v60 dst_sel:DWORD dst_unused:UNUSED_PAD src0_sel:WORD_0 src1_sel:DWORD
	v_mul_u32_u24_sdwa v11, v11, v60 dst_sel:DWORD dst_unused:UNUSED_PAD src0_sel:WORD_1 src1_sel:DWORD
	v_pk_fma_f16 v8, v72, v8, v47
	v_pk_fma_f16 v9, v72, v10, v9
	ds_read2_b32 v[69:70], v62 offset0:128 offset1:160
	v_mul_u32_u24_sdwa v10, v12, v60 dst_sel:DWORD dst_unused:UNUSED_PAD src0_sel:WORD_0 src1_sel:DWORD
	v_mul_u32_u24_sdwa v12, v12, v60 dst_sel:DWORD dst_unused:UNUSED_PAD src0_sel:WORD_1 src1_sel:DWORD
	s_waitcnt lgkmcnt(3)
	v_pk_fma_f16 v8, v15, v71, v8
	v_pk_fma_f16 v9, v15, v11, v9
	v_mul_u32_u24_sdwa v11, v13, v60 dst_sel:DWORD dst_unused:UNUSED_PAD src0_sel:WORD_0 src1_sel:DWORD
	v_mul_u32_u24_sdwa v13, v13, v60 dst_sel:DWORD dst_unused:UNUSED_PAD src0_sel:WORD_1 src1_sel:DWORD
	ds_read2_b32 v[71:72], v62 offset0:192 offset1:224
	v_pk_fma_f16 v8, v16, v10, v8
	v_pk_fma_f16 v9, v16, v12, v9
	v_mul_u32_u24_sdwa v12, v14, v60 dst_sel:DWORD dst_unused:UNUSED_PAD src0_sel:WORD_0 src1_sel:DWORD
	v_mul_u32_u24_sdwa v14, v14, v60 dst_sel:DWORD dst_unused:UNUSED_PAD src0_sel:WORD_1 src1_sel:DWORD
	s_waitcnt lgkmcnt(3)
	v_pk_fma_f16 v15, v64, v11, v8
	v_pk_fma_f16 v13, v64, v13, v9
	ds_read_b128 v[8:11], v54 offset:96
	s_waitcnt lgkmcnt(3)
	v_mul_u32_u24_sdwa v16, v4, v60 dst_sel:DWORD dst_unused:UNUSED_PAD src0_sel:WORD_0 src1_sel:DWORD
	v_mul_u32_u24_sdwa v4, v4, v60 dst_sel:DWORD dst_unused:UNUSED_PAD src0_sel:WORD_1 src1_sel:DWORD
	v_pk_fma_f16 v12, v65, v12, v15
	v_pk_fma_f16 v13, v65, v14, v13
	v_mul_u32_u24_sdwa v14, v5, v60 dst_sel:DWORD dst_unused:UNUSED_PAD src0_sel:WORD_0 src1_sel:DWORD
	v_mul_u32_u24_sdwa v15, v5, v60 dst_sel:DWORD dst_unused:UNUSED_PAD src0_sel:WORD_1 src1_sel:DWORD
	ds_read2_b32 v[64:65], v63 offset0:64 offset1:96
	s_waitcnt lgkmcnt(3)
	v_pk_fma_f16 v12, v69, v16, v12
	v_pk_fma_f16 v13, v69, v4, v13
	v_mul_u32_u24_sdwa v16, v6, v60 dst_sel:DWORD dst_unused:UNUSED_PAD src0_sel:WORD_0 src1_sel:DWORD
	v_mul_u32_u24_sdwa v6, v6, v60 dst_sel:DWORD dst_unused:UNUSED_PAD src0_sel:WORD_1 src1_sel:DWORD
	v_mul_u32_u24_sdwa v75, v7, v60 dst_sel:DWORD dst_unused:UNUSED_PAD src0_sel:WORD_1 src1_sel:DWORD
	v_pk_fma_f16 v47, v70, v14, v12
	v_pk_fma_f16 v69, v70, v15, v13
	v_mul_u32_u24_sdwa v70, v7, v60 dst_sel:DWORD dst_unused:UNUSED_PAD src0_sel:WORD_0 src1_sel:DWORD
	ds_read_b128 v[12:15], v54 offset:112
	ds_read2_b32 v[4:5], v63 offset0:128 offset1:160
	s_waitcnt lgkmcnt(4)
	v_pk_fma_f16 v16, v71, v16, v47
	v_pk_fma_f16 v47, v71, v6, v69
	s_waitcnt lgkmcnt(3)
	v_mul_u32_u24_sdwa v69, v8, v60 dst_sel:DWORD dst_unused:UNUSED_PAD src0_sel:WORD_0 src1_sel:DWORD
	v_mul_u32_u24_sdwa v8, v8, v60 dst_sel:DWORD dst_unused:UNUSED_PAD src0_sel:WORD_1 src1_sel:DWORD
	ds_read2_b32 v[6:7], v63 offset0:192 offset1:224
	v_pk_fma_f16 v16, v72, v70, v16
	v_pk_fma_f16 v47, v72, v75, v47
	v_mul_u32_u24_sdwa v70, v9, v60 dst_sel:DWORD dst_unused:UNUSED_PAD src0_sel:WORD_0 src1_sel:DWORD
	v_mul_u32_u24_sdwa v9, v9, v60 dst_sel:DWORD dst_unused:UNUSED_PAD src0_sel:WORD_1 src1_sel:DWORD
	s_waitcnt lgkmcnt(0)
	v_pk_fma_f16 v16, v73, v69, v16
	v_pk_fma_f16 v8, v73, v8, v47
	v_mul_u32_u24_sdwa v47, v10, v60 dst_sel:DWORD dst_unused:UNUSED_PAD src0_sel:WORD_0 src1_sel:DWORD
	v_mul_u32_u24_sdwa v10, v10, v60 dst_sel:DWORD dst_unused:UNUSED_PAD src0_sel:WORD_1 src1_sel:DWORD
	s_barrier
	v_pk_fma_f16 v16, v74, v70, v16
	v_pk_fma_f16 v8, v74, v9, v8
	v_mul_u32_u24_sdwa v9, v11, v60 dst_sel:DWORD dst_unused:UNUSED_PAD src0_sel:WORD_0 src1_sel:DWORD
	v_mul_u32_u24_sdwa v11, v11, v60 dst_sel:DWORD dst_unused:UNUSED_PAD src0_sel:WORD_1 src1_sel:DWORD
	buffer_gl0_inv
	v_pk_fma_f16 v16, v64, v47, v16
	v_pk_fma_f16 v8, v64, v10, v8
	s_load_dword s0, s[6:7], 0x4
	v_mul_u32_u24_sdwa v10, v12, v60 dst_sel:DWORD dst_unused:UNUSED_PAD src0_sel:WORD_0 src1_sel:DWORD
	v_mul_u32_u24_sdwa v12, v12, v60 dst_sel:DWORD dst_unused:UNUSED_PAD src0_sel:WORD_1 src1_sel:DWORD
	v_pk_fma_f16 v9, v65, v9, v16
	v_pk_fma_f16 v8, v65, v11, v8
	v_mul_u32_u24_sdwa v2, v13, v60 dst_sel:DWORD dst_unused:UNUSED_PAD src0_sel:WORD_0 src1_sel:DWORD
	v_mul_u32_u24_sdwa v11, v13, v60 dst_sel:DWORD dst_unused:UNUSED_PAD src0_sel:WORD_1 src1_sel:DWORD
	v_mov_b32_e32 v65, v68
	v_pk_fma_f16 v9, v4, v10, v9
	v_pk_fma_f16 v4, v4, v12, v8
	v_mul_u32_u24_sdwa v8, v14, v60 dst_sel:DWORD dst_unused:UNUSED_PAD src0_sel:WORD_0 src1_sel:DWORD
	v_mul_u32_u24_sdwa v10, v14, v60 dst_sel:DWORD dst_unused:UNUSED_PAD src0_sel:WORD_1 src1_sel:DWORD
	v_fmac_f32_e32 v65, v3, v1
	v_pk_fma_f16 v2, v5, v2, v9
	v_pk_fma_f16 v4, v5, v11, v4
	v_mul_u32_u24_sdwa v1, v15, v60 dst_sel:DWORD dst_unused:UNUSED_PAD src0_sel:WORD_0 src1_sel:DWORD
	v_mul_u32_u24_sdwa v3, v15, v60 dst_sel:DWORD dst_unused:UNUSED_PAD src0_sel:WORD_1 src1_sel:DWORD
	v_pk_fma_f16 v2, v6, v8, v2
	v_pk_fma_f16 v4, v6, v10, v4
	s_waitcnt lgkmcnt(0)
	s_lshl_b32 s0, s0, 5
	s_add_i32 s8, s0, s8
	v_pk_fma_f16 v64, v7, v1, v2
	v_pk_fma_f16 v47, v7, v3, v4
	s_cmp_ge_i32 s8, s30
	s_cbranch_scc0 .LBB30_9
; %bb.10:
	v_mov_b32_e32 v4, v38
.LBB30_11:
	v_lshlrev_b32_e32 v8, 1, v0
	v_cmp_lt_i32_e32 vcc_lo, v45, v39
	s_cmp_lg_u64 s[16:17], 0
	s_cselect_b32 s0, -1, 0
	s_cmp_eq_u32 s28, 0
	v_cndmask_b32_e32 v1, v4, v45, vcc_lo
	v_cmp_lt_i32_e32 vcc_lo, v43, v39
	s_cselect_b32 s1, -1, 0
	s_and_b32 s0, s1, s0
	v_lshlrev_b32_e32 v1, 2, v1
	v_cndmask_b32_e32 v3, v4, v43, vcc_lo
	v_cmp_lt_i32_e32 vcc_lo, v42, v39
	ds_bpermute_b32 v2, v1, v66
	ds_bpermute_b32 v1, v1, v65
	v_lshlrev_b32_e32 v3, 2, v3
	v_cndmask_b32_e32 v6, v4, v42, vcc_lo
	v_cmp_lt_i32_e32 vcc_lo, v41, v39
	v_lshlrev_b32_e32 v6, 2, v6
	s_waitcnt lgkmcnt(1)
	v_add_f32_e32 v2, v66, v2
	s_waitcnt lgkmcnt(0)
	v_add_f32_e32 v1, v65, v1
	ds_bpermute_b32 v5, v3, v2
	ds_bpermute_b32 v3, v3, v1
	s_waitcnt lgkmcnt(1)
	v_add_f32_e32 v2, v2, v5
	s_waitcnt lgkmcnt(0)
	v_add_f32_e32 v1, v1, v3
	ds_bpermute_b32 v3, v6, v2
	ds_bpermute_b32 v5, v6, v1
	v_cndmask_b32_e32 v6, v4, v41, vcc_lo
	v_cmp_lt_i32_e32 vcc_lo, v40, v39
	v_lshlrev_b32_e32 v6, 2, v6
	v_cndmask_b32_e32 v4, v4, v40, vcc_lo
	s_and_b32 vcc_lo, exec_lo, s0
	s_mov_b32 s0, 0
	v_lshlrev_b32_e32 v4, 2, v4
	s_waitcnt lgkmcnt(1)
	v_add_f32_e32 v2, v2, v3
	s_waitcnt lgkmcnt(0)
	v_add_f32_e32 v1, v1, v5
	ds_bpermute_b32 v3, v6, v2
	ds_bpermute_b32 v5, v6, v1
	s_waitcnt lgkmcnt(1)
	v_add_f32_e32 v2, v2, v3
	s_waitcnt lgkmcnt(0)
	v_add_f32_e32 v3, v1, v5
	ds_bpermute_b32 v1, v4, v2
	ds_bpermute_b32 v4, v4, v3
	s_waitcnt lgkmcnt(1)
	v_add_f32_e32 v1, v2, v1
	s_waitcnt lgkmcnt(0)
	v_add_f32_e32 v2, v3, v4
	v_add_nc_u32_e32 v3, s33, v37
	s_cbranch_vccnz .LBB30_14
; %bb.12:
	v_mov_b32_e32 v5, v2
	v_add_nc_u32_e32 v6, s33, v37
	v_mov_b32_e32 v4, v1
	s_andn2_b32 vcc_lo, exec_lo, s0
	s_cbranch_vccz .LBB30_15
; %bb.13:
	v_mov_b32_e32 v3, v6
	s_branch .LBB30_16
.LBB30_14:
                                        ; implicit-def: $vgpr6
                                        ; implicit-def: $vgpr4_vgpr5
.LBB30_15:
	v_ashrrev_i32_e32 v4, 31, v3
	v_max_f32_e32 v6, v18, v18
	v_max_f32_e32 v9, v19, v19
	v_lshlrev_b64 v[4:5], 2, v[3:4]
	v_add_co_u32 v4, vcc_lo, s16, v4
	v_add_co_ci_u32_e64 v5, null, s17, v5, vcc_lo
	global_load_dwordx2 v[4:5], v[4:5], off
	s_waitcnt vmcnt(0)
	v_max_f32_e32 v7, v4, v4
	v_max_f32_e32 v10, v5, v5
	v_max_f32_e32 v6, v6, v7
	v_max_f32_e32 v7, v9, v10
	v_sub_f32_e32 v9, v18, v6
	v_sub_f32_e32 v10, v19, v7
	;; [unrolled: 1-line block ×4, first 2 shown]
	v_mul_f32_e32 v11, 0x3fb8aa3b, v9
	v_mul_f32_e32 v13, 0x3fb8aa3b, v10
	;; [unrolled: 1-line block ×4, first 2 shown]
	v_cmp_ngt_f32_e32 vcc_lo, 0xc2ce8ed0, v9
	v_fma_f32 v15, 0x3fb8aa3b, v9, -v11
	v_rndne_f32_e32 v16, v11
	v_fma_f32 v20, 0x3fb8aa3b, v10, -v13
	v_rndne_f32_e32 v21, v13
	v_fma_f32 v18, 0x3fb8aa3b, v4, -v12
	v_fmac_f32_e32 v15, 0x32a5705f, v9
	v_sub_f32_e32 v11, v11, v16
	v_rndne_f32_e32 v19, v12
	v_fmac_f32_e32 v20, 0x32a5705f, v10
	v_sub_f32_e32 v13, v13, v21
	v_fmac_f32_e32 v18, 0x32a5705f, v4
	v_add_f32_e32 v11, v11, v15
	v_sub_f32_e32 v12, v12, v19
	v_cvt_i32_f32_e32 v15, v16
	v_add_f32_e32 v13, v13, v20
	v_fma_f32 v22, 0x3fb8aa3b, v5, -v14
	v_exp_f32_e32 v11, v11
	v_add_f32_e32 v12, v12, v18
	v_rndne_f32_e32 v23, v14
	v_exp_f32_e32 v13, v13
	v_cvt_i32_f32_e32 v18, v21
	v_fmac_f32_e32 v22, 0x32a5705f, v5
	v_exp_f32_e32 v12, v12
	v_sub_f32_e32 v14, v14, v23
	v_cvt_i32_f32_e32 v16, v19
	v_cvt_i32_f32_e32 v19, v23
	v_ldexp_f32 v11, v11, v15
	v_mov_b32_e32 v20, 0x10001
	v_add_f32_e32 v14, v14, v22
	v_ldexp_f32 v13, v13, v18
	v_cndmask_b32_e32 v11, 0, v11, vcc_lo
	v_cmp_ngt_f32_e32 vcc_lo, 0xc2ce8ed0, v10
	v_ldexp_f32 v12, v12, v16
	v_exp_f32_e32 v14, v14
	v_cndmask_b32_e32 v13, 0, v13, vcc_lo
	v_cmp_ngt_f32_e32 vcc_lo, 0xc2ce8ed0, v4
	v_cndmask_b32_e32 v12, 0, v12, vcc_lo
	v_cmp_nlt_f32_e32 vcc_lo, 0x42b17218, v9
	v_ldexp_f32 v14, v14, v19
	v_mov_b32_e32 v19, v7
	v_mov_b32_e32 v18, v6
	v_cndmask_b32_e32 v9, 0x7f800000, v11, vcc_lo
	v_cmp_nlt_f32_e32 vcc_lo, 0x42b17218, v10
	v_cndmask_b32_e32 v10, 0x7f800000, v13, vcc_lo
	v_cmp_ngt_f32_e32 vcc_lo, 0xc2ce8ed0, v5
	v_cvt_f16_f32_e32 v13, v10
	v_cndmask_b32_e32 v11, 0, v14, vcc_lo
	v_cmp_nlt_f32_e32 vcc_lo, 0x42b17218, v4
	v_cndmask_b32_e32 v4, 0x7f800000, v12, vcc_lo
	v_cmp_nlt_f32_e32 vcc_lo, 0x42b17218, v5
	v_cvt_f16_f32_e32 v12, v9
	v_fmac_f32_e32 v4, v1, v9
	v_cndmask_b32_e32 v5, 0x7f800000, v11, vcc_lo
	v_mul_u32_u24_sdwa v9, v12, v20 dst_sel:DWORD dst_unused:UNUSED_PAD src0_sel:WORD_0 src1_sel:DWORD
	v_mul_u32_u24_sdwa v11, v13, v20 dst_sel:DWORD dst_unused:UNUSED_PAD src0_sel:WORD_0 src1_sel:DWORD
	v_mov_b32_e32 v1, v4
	v_fmac_f32_e32 v5, v2, v10
	v_pk_mul_f16 v64, v64, v9
	v_pk_mul_f16 v47, v47, v11
	v_mov_b32_e32 v2, v5
.LBB30_16:
	s_load_dword s1, s[4:5], 0xd4
	v_mov_b32_e32 v9, 1.0
	s_waitcnt lgkmcnt(0)
	s_cmp_lg_u32 s1, 1
	s_cselect_b32 s3, -1, 0
	s_cmp_eq_u32 s1, 1
	s_cselect_b32 s2, -1, 0
	s_and_b32 vcc_lo, exec_lo, s3
	s_cbranch_vccnz .LBB30_18
; %bb.17:
	v_div_scale_f32 v6, null, v1, v1, 1.0
	v_rcp_f32_e32 v7, v6
	v_fma_f32 v9, -v6, v7, 1.0
	v_fmac_f32_e32 v7, v9, v7
	v_div_scale_f32 v9, vcc_lo, 1.0, v1, 1.0
	v_mul_f32_e32 v10, v9, v7
	v_fma_f32 v11, -v6, v10, v9
	v_fmac_f32_e32 v10, v11, v7
	v_fma_f32 v6, -v6, v10, v9
	v_div_fmas_f32 v6, v6, v7, v10
	v_div_fixup_f32 v9, v6, v1, 1.0
.LBB30_18:
	v_mad_u64_u32 v[6:7], null, s29, s26, v[17:18]
	v_mov_b32_e32 v11, 0
	v_cvt_f32_f16_e32 v1, v64
	v_cmp_eq_u32_e32 vcc_lo, 0, v0
	v_mul_f32_e32 v0, v9, v1
	v_mad_u64_u32 v[6:7], null, v6, s27, v[3:4]
	v_cvt_f32_f16_sdwa v3, v64 dst_sel:DWORD dst_unused:UNUSED_PAD src0_sel:WORD_1
	v_mul_f32_e32 v1, v9, v3
	v_mad_u64_u32 v[6:7], null, s1, v6, s[28:29]
	v_lshl_add_u32 v10, v6, 6, v8
	v_lshlrev_b64 v[10:11], 2, v[10:11]
	v_add_co_u32 v9, s0, s20, v10
	v_add_co_ci_u32_e64 v10, null, s21, v11, s0
	s_and_b32 s0, vcc_lo, s3
	global_store_dwordx2 v[9:10], v[0:1], off
	s_and_saveexec_b32 s3, s0
	s_cbranch_execz .LBB30_20
; %bb.19:
	v_ashrrev_i32_e32 v7, 31, v6
	v_mov_b32_e32 v3, v18
	v_lshlrev_b64 v[0:1], 3, v[6:7]
	v_add_co_u32 v0, vcc_lo, s22, v0
	v_add_co_ci_u32_e64 v1, null, s23, v1, vcc_lo
	global_store_dwordx2 v[0:1], v[3:4], off
.LBB30_20:
	s_or_b32 exec_lo, exec_lo, s3
	v_mov_b32_e32 v1, 1.0
	s_andn2_b32 vcc_lo, exec_lo, s2
	s_cbranch_vccnz .LBB30_22
; %bb.21:
	v_div_scale_f32 v0, null, v2, v2, 1.0
	v_rcp_f32_e32 v1, v0
	v_fma_f32 v3, -v0, v1, 1.0
	v_fmac_f32_e32 v1, v3, v1
	v_div_scale_f32 v3, vcc_lo, 1.0, v2, 1.0
	v_mul_f32_e32 v4, v3, v1
	v_fma_f32 v7, -v0, v4, v3
	v_fmac_f32_e32 v4, v7, v1
	v_fma_f32 v0, -v0, v4, v3
	v_div_fmas_f32 v0, v0, v1, v4
	v_div_fixup_f32 v1, v0, v2, 1.0
.LBB30_22:
	v_add_nc_u32_e32 v0, s1, v6
	v_mov_b32_e32 v3, 0
	v_cvt_f32_f16_e32 v4, v47
	v_cvt_f32_f16_sdwa v7, v47 dst_sel:DWORD dst_unused:UNUSED_PAD src0_sel:WORD_1
	v_lshl_add_u32 v2, v0, 6, v8
	v_mul_f32_e32 v6, v1, v4
	v_mul_f32_e32 v7, v1, v7
	v_lshlrev_b64 v[2:3], 2, v[2:3]
	v_add_co_u32 v1, vcc_lo, s20, v2
	v_add_co_ci_u32_e64 v2, null, s21, v3, vcc_lo
	global_store_dwordx2 v[1:2], v[6:7], off
	s_and_saveexec_b32 s1, s0
	s_cbranch_execz .LBB30_24
; %bb.23:
	v_ashrrev_i32_e32 v1, 31, v0
	v_mov_b32_e32 v4, v19
	v_lshlrev_b64 v[0:1], 3, v[0:1]
	v_add_co_u32 v0, vcc_lo, s22, v0
	v_add_co_ci_u32_e64 v1, null, s23, v1, vcc_lo
	global_store_dwordx2 v[0:1], v[4:5], off
.LBB30_24:
	s_endpgm
	.section	.rodata,"a",@progbits
	.p2align	6, 0x0
	.amdhsa_kernel _ZL15flash_attn_tileILi64ELi64ELi1ELi4ELb0EEvPKcS1_S1_S1_S1_PKiPfP15HIP_vector_typeIfLj2EEffffjfiS5_IjLj3EEiiiiiiiiiiiliiliiiiil
		.amdhsa_group_segment_fixed_size 5376
		.amdhsa_private_segment_fixed_size 0
		.amdhsa_kernarg_size 464
		.amdhsa_user_sgpr_count 6
		.amdhsa_user_sgpr_private_segment_buffer 1
		.amdhsa_user_sgpr_dispatch_ptr 0
		.amdhsa_user_sgpr_queue_ptr 0
		.amdhsa_user_sgpr_kernarg_segment_ptr 1
		.amdhsa_user_sgpr_dispatch_id 0
		.amdhsa_user_sgpr_flat_scratch_init 0
		.amdhsa_user_sgpr_private_segment_size 0
		.amdhsa_wavefront_size32 1
		.amdhsa_uses_dynamic_stack 0
		.amdhsa_system_sgpr_private_segment_wavefront_offset 0
		.amdhsa_system_sgpr_workgroup_id_x 1
		.amdhsa_system_sgpr_workgroup_id_y 1
		.amdhsa_system_sgpr_workgroup_id_z 1
		.amdhsa_system_sgpr_workgroup_info 0
		.amdhsa_system_vgpr_workitem_id 1
		.amdhsa_next_free_vgpr 83
		.amdhsa_next_free_sgpr 40
		.amdhsa_reserve_vcc 1
		.amdhsa_reserve_flat_scratch 0
		.amdhsa_float_round_mode_32 0
		.amdhsa_float_round_mode_16_64 0
		.amdhsa_float_denorm_mode_32 3
		.amdhsa_float_denorm_mode_16_64 3
		.amdhsa_dx10_clamp 1
		.amdhsa_ieee_mode 1
		.amdhsa_fp16_overflow 0
		.amdhsa_workgroup_processor_mode 1
		.amdhsa_memory_ordered 1
		.amdhsa_forward_progress 1
		.amdhsa_shared_vgpr_count 0
		.amdhsa_exception_fp_ieee_invalid_op 0
		.amdhsa_exception_fp_denorm_src 0
		.amdhsa_exception_fp_ieee_div_zero 0
		.amdhsa_exception_fp_ieee_overflow 0
		.amdhsa_exception_fp_ieee_underflow 0
		.amdhsa_exception_fp_ieee_inexact 0
		.amdhsa_exception_int_div_zero 0
	.end_amdhsa_kernel
	.section	.text._ZL15flash_attn_tileILi64ELi64ELi1ELi4ELb0EEvPKcS1_S1_S1_S1_PKiPfP15HIP_vector_typeIfLj2EEffffjfiS5_IjLj3EEiiiiiiiiiiiliiliiiiil,"axG",@progbits,_ZL15flash_attn_tileILi64ELi64ELi1ELi4ELb0EEvPKcS1_S1_S1_S1_PKiPfP15HIP_vector_typeIfLj2EEffffjfiS5_IjLj3EEiiiiiiiiiiiliiliiiiil,comdat
.Lfunc_end30:
	.size	_ZL15flash_attn_tileILi64ELi64ELi1ELi4ELb0EEvPKcS1_S1_S1_S1_PKiPfP15HIP_vector_typeIfLj2EEffffjfiS5_IjLj3EEiiiiiiiiiiiliiliiiiil, .Lfunc_end30-_ZL15flash_attn_tileILi64ELi64ELi1ELi4ELb0EEvPKcS1_S1_S1_S1_PKiPfP15HIP_vector_typeIfLj2EEffffjfiS5_IjLj3EEiiiiiiiiiiiliiliiiiil
                                        ; -- End function
	.set _ZL15flash_attn_tileILi64ELi64ELi1ELi4ELb0EEvPKcS1_S1_S1_S1_PKiPfP15HIP_vector_typeIfLj2EEffffjfiS5_IjLj3EEiiiiiiiiiiiliiliiiiil.num_vgpr, 83
	.set _ZL15flash_attn_tileILi64ELi64ELi1ELi4ELb0EEvPKcS1_S1_S1_S1_PKiPfP15HIP_vector_typeIfLj2EEffffjfiS5_IjLj3EEiiiiiiiiiiiliiliiiiil.num_agpr, 0
	.set _ZL15flash_attn_tileILi64ELi64ELi1ELi4ELb0EEvPKcS1_S1_S1_S1_PKiPfP15HIP_vector_typeIfLj2EEffffjfiS5_IjLj3EEiiiiiiiiiiiliiliiiiil.numbered_sgpr, 40
	.set _ZL15flash_attn_tileILi64ELi64ELi1ELi4ELb0EEvPKcS1_S1_S1_S1_PKiPfP15HIP_vector_typeIfLj2EEffffjfiS5_IjLj3EEiiiiiiiiiiiliiliiiiil.num_named_barrier, 0
	.set _ZL15flash_attn_tileILi64ELi64ELi1ELi4ELb0EEvPKcS1_S1_S1_S1_PKiPfP15HIP_vector_typeIfLj2EEffffjfiS5_IjLj3EEiiiiiiiiiiiliiliiiiil.private_seg_size, 0
	.set _ZL15flash_attn_tileILi64ELi64ELi1ELi4ELb0EEvPKcS1_S1_S1_S1_PKiPfP15HIP_vector_typeIfLj2EEffffjfiS5_IjLj3EEiiiiiiiiiiiliiliiiiil.uses_vcc, 1
	.set _ZL15flash_attn_tileILi64ELi64ELi1ELi4ELb0EEvPKcS1_S1_S1_S1_PKiPfP15HIP_vector_typeIfLj2EEffffjfiS5_IjLj3EEiiiiiiiiiiiliiliiiiil.uses_flat_scratch, 0
	.set _ZL15flash_attn_tileILi64ELi64ELi1ELi4ELb0EEvPKcS1_S1_S1_S1_PKiPfP15HIP_vector_typeIfLj2EEffffjfiS5_IjLj3EEiiiiiiiiiiiliiliiiiil.has_dyn_sized_stack, 0
	.set _ZL15flash_attn_tileILi64ELi64ELi1ELi4ELb0EEvPKcS1_S1_S1_S1_PKiPfP15HIP_vector_typeIfLj2EEffffjfiS5_IjLj3EEiiiiiiiiiiiliiliiiiil.has_recursion, 0
	.set _ZL15flash_attn_tileILi64ELi64ELi1ELi4ELb0EEvPKcS1_S1_S1_S1_PKiPfP15HIP_vector_typeIfLj2EEffffjfiS5_IjLj3EEiiiiiiiiiiiliiliiiiil.has_indirect_call, 0
	.section	.AMDGPU.csdata,"",@progbits
; Kernel info:
; codeLenInByte = 7084
; TotalNumSgprs: 42
; NumVgprs: 83
; ScratchSize: 0
; MemoryBound: 0
; FloatMode: 240
; IeeeMode: 1
; LDSByteSize: 5376 bytes/workgroup (compile time only)
; SGPRBlocks: 0
; VGPRBlocks: 10
; NumSGPRsForWavesPerEU: 42
; NumVGPRsForWavesPerEU: 83
; Occupancy: 10
; WaveLimiterHint : 1
; COMPUTE_PGM_RSRC2:SCRATCH_EN: 0
; COMPUTE_PGM_RSRC2:USER_SGPR: 6
; COMPUTE_PGM_RSRC2:TRAP_HANDLER: 0
; COMPUTE_PGM_RSRC2:TGID_X_EN: 1
; COMPUTE_PGM_RSRC2:TGID_Y_EN: 1
; COMPUTE_PGM_RSRC2:TGID_Z_EN: 1
; COMPUTE_PGM_RSRC2:TIDIG_COMP_CNT: 1
	.section	.text._ZL33flash_attn_stream_k_fixup_uniformILi64ELi1ELi4EEvPfPK15HIP_vector_typeIfLj2EEiiiiiiS1_IjLj3EES5_S5_,"axG",@progbits,_ZL33flash_attn_stream_k_fixup_uniformILi64ELi1ELi4EEvPfPK15HIP_vector_typeIfLj2EEiiiiiiS1_IjLj3EES5_S5_,comdat
	.globl	_ZL33flash_attn_stream_k_fixup_uniformILi64ELi1ELi4EEvPfPK15HIP_vector_typeIfLj2EEiiiiiiS1_IjLj3EES5_S5_ ; -- Begin function _ZL33flash_attn_stream_k_fixup_uniformILi64ELi1ELi4EEvPfPK15HIP_vector_typeIfLj2EEiiiiiiS1_IjLj3EES5_S5_
	.p2align	8
	.type	_ZL33flash_attn_stream_k_fixup_uniformILi64ELi1ELi4EEvPfPK15HIP_vector_typeIfLj2EEiiiiiiS1_IjLj3EES5_S5_,@function
_ZL33flash_attn_stream_k_fixup_uniformILi64ELi1ELi4EEvPfPK15HIP_vector_typeIfLj2EEiiiiiiS1_IjLj3EES5_S5_: ; @_ZL33flash_attn_stream_k_fixup_uniformILi64ELi1ELi4EEvPfPK15HIP_vector_typeIfLj2EEiiiiiiS1_IjLj3EES5_S5_
; %bb.0:
	s_clause 0x1
	s_load_dwordx8 s[12:19], s[4:5], 0x1c
	s_load_dwordx4 s[0:3], s[4:5], 0x3c
	s_waitcnt lgkmcnt(0)
	s_mul_hi_u32 s9, s15, s6
	s_add_i32 s9, s6, s9
	s_lshr_b32 s9, s9, s16
	s_mul_i32 s10, s9, s17
	s_sub_i32 s16, s6, s10
	s_load_dwordx2 s[10:11], s[4:5], 0x10
	s_mul_hi_u32 s15, s16, s18
	s_add_i32 s15, s16, s15
	s_lshr_b32 s15, s15, s19
	s_mul_i32 s0, s15, s0
	s_sub_i32 s0, s16, s0
	s_mul_hi_u32 s1, s0, s1
	s_add_i32 s1, s0, s1
	s_lshr_b32 s1, s1, s2
	s_mul_i32 s2, s1, s3
	s_lshl_b32 s17, s1, 2
	s_sub_i32 s16, s0, s2
	s_add_i32 s16, s16, s7
	s_waitcnt lgkmcnt(0)
	s_cmp_lt_i32 s16, s10
	s_cselect_b32 s0, -1, 0
	s_add_i32 s17, s17, s8
	s_cmp_lt_i32 s17, s13
	s_cselect_b32 s1, -1, 0
	s_and_b32 s0, s0, s1
	s_andn2_b32 vcc_lo, exec_lo, s0
	s_cbranch_vccnz .LBB31_6
; %bb.1:
	s_mul_i32 s9, s9, s10
	s_load_dwordx4 s[0:3], s[4:5], 0x0
	s_mul_i32 s15, s15, s13
	s_add_i32 s4, s16, s9
	s_add_i32 s5, s17, s15
	s_mul_i32 s4, s4, s11
	s_add_i32 s5, s5, s4
	s_mul_i32 s4, s14, s6
	v_lshl_or_b32 v1, s5, 6, v0
	s_add_i32 s10, s4, s14
	v_ashrrev_i32_e32 v2, 31, v1
	v_lshlrev_b64 v[1:2], 2, v[1:2]
	s_waitcnt lgkmcnt(0)
	v_add_co_u32 v1, vcc_lo, s0, v1
	v_add_co_ci_u32_e64 v2, null, s1, v2, vcc_lo
	s_add_i32 s0, s7, s10
	s_lshl_b32 s0, s0, 2
	global_load_dword v5, v[1:2], off
	s_add_i32 s0, s0, s8
	s_add_i32 s0, s0, -4
	s_ashr_i32 s1, s0, 31
	s_lshl_b64 s[0:1], s[0:1], 3
	s_add_u32 s0, s2, s0
	s_addc_u32 s1, s3, s1
	s_add_i32 s5, s10, -2
	s_load_dword s11, s[0:1], 0x4
	s_cmp_lt_i32 s5, s4
	s_cbranch_scc1 .LBB31_4
; %bb.2:
	s_lshl_b32 s16, s12, 4
	s_load_dword s13, s[0:1], 0x0
	s_ashr_i32 s17, s16, 31
	s_waitcnt lgkmcnt(0)
	v_mov_b32_e32 v6, s11
	s_lshl_b64 s[0:1], s[16:17], 2
	s_add_u32 s5, s2, s0
	s_addc_u32 s9, s3, s1
	s_add_i32 s6, s6, 1
	s_lshl_b32 s0, s8, 6
	s_lshl_b32 s1, s7, 8
	s_mul_i32 s6, s14, s6
	s_add_i32 s0, s0, s1
	s_lshl_b32 s1, s6, 8
	s_add_i32 s6, s10, -1
	s_add_i32 s0, s0, s1
	s_add_i32 s1, s7, s12
	v_or_b32_e32 v0, s0, v0
	s_add_i32 s1, s1, s10
	s_lshl_b32 s0, s1, 2
	v_add_nc_u32_e32 v3, 0xfffffe00, v0
	v_mov_b32_e32 v0, s13
	s_add_i32 s0, s8, s0
	s_add_i32 s0, s0, -8
.LBB31_3:                               ; =>This Inner Loop Header: Depth=1
	v_ashrrev_i32_e32 v4, 31, v3
	s_ashr_i32 s1, s0, 31
	s_lshl_b64 s[10:11], s[0:1], 3
	s_add_u32 s10, s2, s10
	v_lshlrev_b64 v[7:8], 2, v[3:4]
	s_addc_u32 s11, s3, s11
	v_add_nc_u32_e32 v3, 0xffffff00, v3
	s_add_i32 s6, s6, -1
	s_add_i32 s0, s0, -4
	s_cmp_le_i32 s6, s4
	v_add_co_u32 v7, vcc_lo, s5, v7
	v_add_co_ci_u32_e64 v8, null, s9, v8, vcc_lo
	s_load_dwordx2 s[10:11], s[10:11], 0x0
	global_load_dword v4, v[7:8], off
	v_max_f32_e32 v7, v0, v0
	s_waitcnt lgkmcnt(0)
	v_max_f32_e64 v8, s10, s10
	v_max_f32_e32 v7, v7, v8
	v_sub_f32_e32 v8, s10, v7
	v_sub_f32_e32 v0, v0, v7
	v_mul_f32_e32 v9, 0x3fb8aa3b, v8
	v_mul_f32_e32 v12, 0x3fb8aa3b, v0
	v_cmp_ngt_f32_e32 vcc_lo, 0xc2ce8ed0, v8
	v_fma_f32 v10, 0x3fb8aa3b, v8, -v9
	v_rndne_f32_e32 v11, v9
	v_fma_f32 v13, 0x3fb8aa3b, v0, -v12
	v_rndne_f32_e32 v14, v12
	v_fmac_f32_e32 v10, 0x32a5705f, v8
	v_sub_f32_e32 v9, v9, v11
	v_fmac_f32_e32 v13, 0x32a5705f, v0
	v_cvt_i32_f32_e32 v11, v11
	v_add_f32_e32 v9, v9, v10
	v_sub_f32_e32 v10, v12, v14
	v_exp_f32_e32 v9, v9
	v_add_f32_e32 v10, v10, v13
	v_exp_f32_e32 v10, v10
	v_ldexp_f32 v9, v9, v11
	v_cvt_i32_f32_e32 v11, v14
	v_cndmask_b32_e32 v9, 0, v9, vcc_lo
	v_cmp_nlt_f32_e32 vcc_lo, 0x42b17218, v8
	v_ldexp_f32 v10, v10, v11
	v_mov_b32_e32 v11, v6
	v_cndmask_b32_e32 v9, 0x7f800000, v9, vcc_lo
	v_cmp_ngt_f32_e32 vcc_lo, 0xc2ce8ed0, v0
	v_cndmask_b32_e32 v10, 0, v10, vcc_lo
	v_cmp_le_f32_e32 vcc_lo, 0xc1a00000, v8
	v_cndmask_b32_e32 v8, 0, v9, vcc_lo
	v_cmp_nlt_f32_e32 vcc_lo, 0x42b17218, v0
	s_waitcnt vmcnt(1)
	v_mov_b32_e32 v9, v5
	v_cndmask_b32_e32 v5, 0x7f800000, v10, vcc_lo
	v_mul_f32_e32 v10, s11, v8
	v_cmp_le_f32_e32 vcc_lo, 0xc1a00000, v0
	v_mov_b32_e32 v0, v7
	v_mov_b32_e32 v6, v10
	v_cndmask_b32_e32 v12, 0, v5, vcc_lo
	v_fmac_f32_e32 v6, v11, v12
	s_waitcnt vmcnt(0)
	v_mul_f32_e32 v5, v4, v8
	v_fmac_f32_e32 v5, v9, v12
	s_cbranch_scc0 .LBB31_3
	s_branch .LBB31_5
.LBB31_4:
	s_waitcnt lgkmcnt(0)
	v_mov_b32_e32 v6, s11
.LBB31_5:
	s_waitcnt vmcnt(0)
	v_div_scale_f32 v0, null, v6, v6, v5
	v_rcp_f32_e32 v3, v0
	v_fma_f32 v4, -v0, v3, 1.0
	v_fmac_f32_e32 v3, v4, v3
	v_div_scale_f32 v4, vcc_lo, v5, v6, v5
	v_mul_f32_e32 v7, v4, v3
	v_fma_f32 v8, -v0, v7, v4
	v_fmac_f32_e32 v7, v8, v3
	v_fma_f32 v0, -v0, v7, v4
	v_div_fmas_f32 v0, v0, v3, v7
	v_div_fixup_f32 v0, v0, v6, v5
	global_store_dword v[1:2], v0, off
.LBB31_6:
	s_endpgm
	.section	.rodata,"a",@progbits
	.p2align	6, 0x0
	.amdhsa_kernel _ZL33flash_attn_stream_k_fixup_uniformILi64ELi1ELi4EEvPfPK15HIP_vector_typeIfLj2EEiiiiiiS1_IjLj3EES5_S5_
		.amdhsa_group_segment_fixed_size 0
		.amdhsa_private_segment_fixed_size 0
		.amdhsa_kernarg_size 76
		.amdhsa_user_sgpr_count 6
		.amdhsa_user_sgpr_private_segment_buffer 1
		.amdhsa_user_sgpr_dispatch_ptr 0
		.amdhsa_user_sgpr_queue_ptr 0
		.amdhsa_user_sgpr_kernarg_segment_ptr 1
		.amdhsa_user_sgpr_dispatch_id 0
		.amdhsa_user_sgpr_flat_scratch_init 0
		.amdhsa_user_sgpr_private_segment_size 0
		.amdhsa_wavefront_size32 1
		.amdhsa_uses_dynamic_stack 0
		.amdhsa_system_sgpr_private_segment_wavefront_offset 0
		.amdhsa_system_sgpr_workgroup_id_x 1
		.amdhsa_system_sgpr_workgroup_id_y 1
		.amdhsa_system_sgpr_workgroup_id_z 1
		.amdhsa_system_sgpr_workgroup_info 0
		.amdhsa_system_vgpr_workitem_id 0
		.amdhsa_next_free_vgpr 15
		.amdhsa_next_free_sgpr 20
		.amdhsa_reserve_vcc 1
		.amdhsa_reserve_flat_scratch 0
		.amdhsa_float_round_mode_32 0
		.amdhsa_float_round_mode_16_64 0
		.amdhsa_float_denorm_mode_32 3
		.amdhsa_float_denorm_mode_16_64 3
		.amdhsa_dx10_clamp 1
		.amdhsa_ieee_mode 1
		.amdhsa_fp16_overflow 0
		.amdhsa_workgroup_processor_mode 1
		.amdhsa_memory_ordered 1
		.amdhsa_forward_progress 1
		.amdhsa_shared_vgpr_count 0
		.amdhsa_exception_fp_ieee_invalid_op 0
		.amdhsa_exception_fp_denorm_src 0
		.amdhsa_exception_fp_ieee_div_zero 0
		.amdhsa_exception_fp_ieee_overflow 0
		.amdhsa_exception_fp_ieee_underflow 0
		.amdhsa_exception_fp_ieee_inexact 0
		.amdhsa_exception_int_div_zero 0
	.end_amdhsa_kernel
	.section	.text._ZL33flash_attn_stream_k_fixup_uniformILi64ELi1ELi4EEvPfPK15HIP_vector_typeIfLj2EEiiiiiiS1_IjLj3EES5_S5_,"axG",@progbits,_ZL33flash_attn_stream_k_fixup_uniformILi64ELi1ELi4EEvPfPK15HIP_vector_typeIfLj2EEiiiiiiS1_IjLj3EES5_S5_,comdat
.Lfunc_end31:
	.size	_ZL33flash_attn_stream_k_fixup_uniformILi64ELi1ELi4EEvPfPK15HIP_vector_typeIfLj2EEiiiiiiS1_IjLj3EES5_S5_, .Lfunc_end31-_ZL33flash_attn_stream_k_fixup_uniformILi64ELi1ELi4EEvPfPK15HIP_vector_typeIfLj2EEiiiiiiS1_IjLj3EES5_S5_
                                        ; -- End function
	.set _ZL33flash_attn_stream_k_fixup_uniformILi64ELi1ELi4EEvPfPK15HIP_vector_typeIfLj2EEiiiiiiS1_IjLj3EES5_S5_.num_vgpr, 15
	.set _ZL33flash_attn_stream_k_fixup_uniformILi64ELi1ELi4EEvPfPK15HIP_vector_typeIfLj2EEiiiiiiS1_IjLj3EES5_S5_.num_agpr, 0
	.set _ZL33flash_attn_stream_k_fixup_uniformILi64ELi1ELi4EEvPfPK15HIP_vector_typeIfLj2EEiiiiiiS1_IjLj3EES5_S5_.numbered_sgpr, 20
	.set _ZL33flash_attn_stream_k_fixup_uniformILi64ELi1ELi4EEvPfPK15HIP_vector_typeIfLj2EEiiiiiiS1_IjLj3EES5_S5_.num_named_barrier, 0
	.set _ZL33flash_attn_stream_k_fixup_uniformILi64ELi1ELi4EEvPfPK15HIP_vector_typeIfLj2EEiiiiiiS1_IjLj3EES5_S5_.private_seg_size, 0
	.set _ZL33flash_attn_stream_k_fixup_uniformILi64ELi1ELi4EEvPfPK15HIP_vector_typeIfLj2EEiiiiiiS1_IjLj3EES5_S5_.uses_vcc, 1
	.set _ZL33flash_attn_stream_k_fixup_uniformILi64ELi1ELi4EEvPfPK15HIP_vector_typeIfLj2EEiiiiiiS1_IjLj3EES5_S5_.uses_flat_scratch, 0
	.set _ZL33flash_attn_stream_k_fixup_uniformILi64ELi1ELi4EEvPfPK15HIP_vector_typeIfLj2EEiiiiiiS1_IjLj3EES5_S5_.has_dyn_sized_stack, 0
	.set _ZL33flash_attn_stream_k_fixup_uniformILi64ELi1ELi4EEvPfPK15HIP_vector_typeIfLj2EEiiiiiiS1_IjLj3EES5_S5_.has_recursion, 0
	.set _ZL33flash_attn_stream_k_fixup_uniformILi64ELi1ELi4EEvPfPK15HIP_vector_typeIfLj2EEiiiiiiS1_IjLj3EES5_S5_.has_indirect_call, 0
	.section	.AMDGPU.csdata,"",@progbits
; Kernel info:
; codeLenInByte = 824
; TotalNumSgprs: 22
; NumVgprs: 15
; ScratchSize: 0
; MemoryBound: 0
; FloatMode: 240
; IeeeMode: 1
; LDSByteSize: 0 bytes/workgroup (compile time only)
; SGPRBlocks: 0
; VGPRBlocks: 1
; NumSGPRsForWavesPerEU: 22
; NumVGPRsForWavesPerEU: 15
; Occupancy: 16
; WaveLimiterHint : 0
; COMPUTE_PGM_RSRC2:SCRATCH_EN: 0
; COMPUTE_PGM_RSRC2:USER_SGPR: 6
; COMPUTE_PGM_RSRC2:TRAP_HANDLER: 0
; COMPUTE_PGM_RSRC2:TGID_X_EN: 1
; COMPUTE_PGM_RSRC2:TGID_Y_EN: 1
; COMPUTE_PGM_RSRC2:TGID_Z_EN: 1
; COMPUTE_PGM_RSRC2:TIDIG_COMP_CNT: 0
	.section	.text._ZL33flash_attn_stream_k_fixup_generalILi64ELi1ELi4EEvPfPK15HIP_vector_typeIfLj2EEiiiiS1_IjLj3EES5_S5_S5_,"axG",@progbits,_ZL33flash_attn_stream_k_fixup_generalILi64ELi1ELi4EEvPfPK15HIP_vector_typeIfLj2EEiiiiS1_IjLj3EES5_S5_S5_,comdat
	.globl	_ZL33flash_attn_stream_k_fixup_generalILi64ELi1ELi4EEvPfPK15HIP_vector_typeIfLj2EEiiiiS1_IjLj3EES5_S5_S5_ ; -- Begin function _ZL33flash_attn_stream_k_fixup_generalILi64ELi1ELi4EEvPfPK15HIP_vector_typeIfLj2EEiiiiS1_IjLj3EES5_S5_S5_
	.p2align	8
	.type	_ZL33flash_attn_stream_k_fixup_generalILi64ELi1ELi4EEvPfPK15HIP_vector_typeIfLj2EEiiiiS1_IjLj3EES5_S5_S5_,@function
_ZL33flash_attn_stream_k_fixup_generalILi64ELi1ELi4EEvPfPK15HIP_vector_typeIfLj2EEiiiiS1_IjLj3EES5_S5_S5_: ; @_ZL33flash_attn_stream_k_fixup_generalILi64ELi1ELi4EEvPfPK15HIP_vector_typeIfLj2EEiiiiS1_IjLj3EES5_S5_S5_
; %bb.0:
	s_clause 0x1
	s_load_dwordx4 s[0:3], s[4:5], 0x10
	s_load_dword s9, s[4:5], 0x50
	s_mov_b32 s16, 0
	s_waitcnt lgkmcnt(0)
	s_mul_hi_i32 s17, s3, s6
	s_mul_i32 s18, s3, s6
	s_cmp_lg_u64 s[16:17], 0
	s_cbranch_scc0 .LBB32_21
; %bb.1:
	s_add_u32 s10, s9, 0
	s_addc_u32 s11, 0, 0
	s_xor_b64 s[10:11], s[10:11], 0
	v_cvt_f32_u32_e32 v1, s10
	v_cvt_f32_u32_e32 v2, s11
	s_sub_u32 s14, 0, s10
	s_subb_u32 s15, 0, s11
	v_fmamk_f32 v1, v2, 0x4f800000, v1
	v_rcp_f32_e32 v1, v1
	v_mul_f32_e32 v1, 0x5f7ffffc, v1
	v_mul_f32_e32 v2, 0x2f800000, v1
	v_trunc_f32_e32 v2, v2
	v_fmamk_f32 v1, v2, 0xcf800000, v1
	v_cvt_u32_f32_e32 v2, v2
	v_cvt_u32_f32_e32 v1, v1
	v_readfirstlane_b32 s12, v2
	v_readfirstlane_b32 s13, v1
	s_mul_i32 s19, s14, s12
	s_mul_hi_u32 s21, s14, s13
	s_mul_i32 s20, s15, s13
	s_add_i32 s19, s21, s19
	s_mul_i32 s22, s14, s13
	s_add_i32 s19, s19, s20
	s_mul_hi_u32 s21, s13, s22
	s_mul_i32 s24, s13, s19
	s_mul_hi_u32 s23, s12, s22
	s_mul_i32 s20, s12, s22
	s_mul_hi_u32 s22, s13, s19
	s_add_u32 s21, s21, s24
	s_addc_u32 s22, 0, s22
	s_mul_hi_u32 s25, s12, s19
	s_add_u32 s20, s21, s20
	s_mul_i32 s19, s12, s19
	s_addc_u32 s20, s22, s23
	s_addc_u32 s21, s25, 0
	s_add_u32 s19, s20, s19
	s_addc_u32 s20, 0, s21
	s_add_u32 s13, s13, s19
	s_cselect_b32 s19, -1, 0
	s_mul_hi_u32 s21, s14, s13
	s_cmp_lg_u32 s19, 0
	s_mul_i32 s19, s14, s13
	s_addc_u32 s12, s12, s20
	s_mul_i32 s15, s15, s13
	s_mul_i32 s14, s14, s12
	s_mul_hi_u32 s20, s13, s19
	s_add_i32 s14, s21, s14
	s_mul_hi_u32 s21, s12, s19
	s_add_i32 s14, s14, s15
	s_mul_i32 s15, s12, s19
	s_mul_i32 s23, s13, s14
	s_mul_hi_u32 s22, s13, s14
	s_add_u32 s20, s20, s23
	s_addc_u32 s22, 0, s22
	s_mul_hi_u32 s19, s12, s14
	s_add_u32 s15, s20, s15
	s_mul_i32 s14, s12, s14
	s_addc_u32 s15, s22, s21
	s_addc_u32 s19, s19, 0
	s_add_u32 s14, s15, s14
	s_addc_u32 s15, 0, s19
	s_add_u32 s19, s13, s14
	s_cselect_b32 s13, -1, 0
	s_cmp_lg_u32 s13, 0
	s_addc_u32 s20, s12, s15
	s_ashr_i32 s12, s17, 31
	s_add_u32 s14, s18, s12
	s_mov_b32 s13, s12
	s_addc_u32 s15, s17, s12
	s_xor_b64 s[14:15], s[14:15], s[12:13]
	s_mul_i32 s21, s14, s20
	s_mul_hi_u32 s22, s14, s19
	s_mul_hi_u32 s17, s14, s20
	;; [unrolled: 1-line block ×3, first 2 shown]
	s_mul_i32 s19, s15, s19
	s_add_u32 s21, s22, s21
	s_addc_u32 s17, 0, s17
	s_mul_hi_u32 s23, s15, s20
	s_add_u32 s19, s21, s19
	s_mul_i32 s20, s15, s20
	s_addc_u32 s17, s17, s24
	s_addc_u32 s19, s23, 0
	s_add_u32 s17, s17, s20
	s_addc_u32 s19, 0, s19
	s_mul_hi_u32 s20, s10, s17
	s_mul_i32 s21, s10, s19
	s_mul_i32 s22, s11, s17
	s_add_i32 s20, s20, s21
	s_mul_i32 s21, s10, s17
	s_add_i32 s20, s20, s22
	s_sub_i32 s22, s15, s20
	s_sub_u32 s14, s14, s21
	s_cselect_b32 s21, -1, 0
	s_cmp_lg_u32 s21, 0
	s_subb_u32 s22, s22, s11
	s_sub_u32 s23, s14, s10
	s_cselect_b32 s24, -1, 0
	s_cmp_lg_u32 s24, 0
	s_subb_u32 s22, s22, 0
	s_cmp_ge_u32 s22, s11
	s_cselect_b32 s24, -1, 0
	s_cmp_ge_u32 s23, s10
	s_cselect_b32 s23, -1, 0
	s_cmp_eq_u32 s22, s11
	s_cselect_b32 s22, s23, s24
	s_add_u32 s23, s17, 1
	s_addc_u32 s24, s19, 0
	s_add_u32 s25, s17, 2
	s_addc_u32 s26, s19, 0
	s_cmp_lg_u32 s22, 0
	s_cselect_b32 s22, s25, s23
	s_cselect_b32 s23, s26, s24
	s_cmp_lg_u32 s21, 0
	s_subb_u32 s15, s15, s20
	s_cmp_ge_u32 s15, s11
	s_cselect_b32 s20, -1, 0
	s_cmp_ge_u32 s14, s10
	s_cselect_b32 s10, -1, 0
	s_cmp_eq_u32 s15, s11
	s_cselect_b32 s10, s10, s20
	s_cmp_lg_u32 s10, 0
	s_cselect_b32 s11, s23, s19
	s_cselect_b32 s10, s22, s17
	s_xor_b64 s[12:13], s[12:13], 0
	s_xor_b64 s[10:11], s[10:11], s[12:13]
	s_sub_u32 s10, s10, s12
	s_load_dwordx4 s[12:15], s[4:5], 0x44
	s_andn2_b32 vcc_lo, exec_lo, s16
	s_cbranch_vccnz .LBB32_3
.LBB32_2:
	v_cvt_f32_u32_e32 v1, s9
	s_sub_i32 s11, 0, s9
	v_rcp_iflag_f32_e32 v1, v1
	v_mul_f32_e32 v1, 0x4f7ffffe, v1
	v_cvt_u32_f32_e32 v1, v1
	v_readfirstlane_b32 s10, v1
	s_mul_i32 s11, s11, s10
	s_mul_hi_u32 s11, s10, s11
	s_add_i32 s10, s10, s11
	s_mul_hi_u32 s10, s18, s10
	s_mul_i32 s11, s10, s9
	s_waitcnt lgkmcnt(0)
	s_add_i32 s15, s10, 1
	s_sub_i32 s11, s18, s11
	s_sub_i32 s16, s11, s9
	s_cmp_ge_u32 s11, s9
	s_cselect_b32 s10, s15, s10
	s_cselect_b32 s11, s16, s11
	s_add_i32 s15, s10, 1
	s_cmp_ge_u32 s11, s9
	s_cselect_b32 s10, s15, s10
.LBB32_3:
	s_add_i32 s11, s6, 1
	s_mov_b32 s16, 0
	s_mul_hi_i32 s17, s3, s11
	s_mul_i32 s11, s3, s11
	s_cmp_lg_u64 s[16:17], 0
	s_cbranch_scc0 .LBB32_22
; %bb.4:
	s_add_u32 s18, s9, 0
	s_addc_u32 s19, 0, 0
	s_xor_b64 s[18:19], s[18:19], 0
	v_cvt_f32_u32_e32 v1, s18
	v_cvt_f32_u32_e32 v2, s19
	s_sub_u32 s21, 0, s18
	s_subb_u32 s22, 0, s19
	v_fmamk_f32 v1, v2, 0x4f800000, v1
	v_rcp_f32_e32 v1, v1
	v_mul_f32_e32 v1, 0x5f7ffffc, v1
	v_mul_f32_e32 v2, 0x2f800000, v1
	v_trunc_f32_e32 v2, v2
	v_fmamk_f32 v1, v2, 0xcf800000, v1
	v_cvt_u32_f32_e32 v2, v2
	v_cvt_u32_f32_e32 v1, v1
	s_waitcnt lgkmcnt(0)
	v_readfirstlane_b32 s15, v2
	v_readfirstlane_b32 s20, v1
	s_mul_i32 s23, s21, s15
	s_mul_hi_u32 s25, s21, s20
	s_mul_i32 s24, s22, s20
	s_add_i32 s23, s25, s23
	s_mul_i32 s26, s21, s20
	s_add_i32 s23, s23, s24
	s_mul_hi_u32 s25, s20, s26
	s_mul_i32 s28, s20, s23
	s_mul_hi_u32 s27, s15, s26
	s_mul_i32 s24, s15, s26
	s_mul_hi_u32 s26, s20, s23
	s_add_u32 s25, s25, s28
	s_addc_u32 s26, 0, s26
	s_mul_hi_u32 s29, s15, s23
	s_add_u32 s24, s25, s24
	s_mul_i32 s23, s15, s23
	s_addc_u32 s24, s26, s27
	s_addc_u32 s25, s29, 0
	s_add_u32 s23, s24, s23
	s_addc_u32 s24, 0, s25
	s_add_u32 s20, s20, s23
	s_cselect_b32 s23, -1, 0
	s_mul_hi_u32 s25, s21, s20
	s_cmp_lg_u32 s23, 0
	s_mul_i32 s23, s21, s20
	s_addc_u32 s15, s15, s24
	s_mul_i32 s22, s22, s20
	s_mul_i32 s21, s21, s15
	s_mul_hi_u32 s24, s20, s23
	s_add_i32 s21, s25, s21
	s_mul_hi_u32 s25, s15, s23
	s_add_i32 s21, s21, s22
	s_mul_i32 s22, s15, s23
	s_mul_i32 s27, s20, s21
	s_mul_hi_u32 s26, s20, s21
	s_add_u32 s24, s24, s27
	s_addc_u32 s26, 0, s26
	s_mul_hi_u32 s23, s15, s21
	s_add_u32 s22, s24, s22
	s_mul_i32 s21, s15, s21
	s_addc_u32 s22, s26, s25
	s_addc_u32 s23, s23, 0
	s_add_u32 s21, s22, s21
	s_addc_u32 s22, 0, s23
	s_add_u32 s24, s20, s21
	s_cselect_b32 s20, -1, 0
	s_cmp_lg_u32 s20, 0
	s_addc_u32 s15, s15, s22
	s_ashr_i32 s20, s17, 31
	s_add_u32 s22, s11, s20
	s_mov_b32 s21, s20
	s_addc_u32 s23, s17, s20
	s_xor_b64 s[22:23], s[22:23], s[20:21]
	s_mul_i32 s25, s22, s15
	s_mul_hi_u32 s26, s22, s24
	s_mul_hi_u32 s17, s22, s15
	;; [unrolled: 1-line block ×3, first 2 shown]
	s_mul_i32 s24, s23, s24
	s_add_u32 s25, s26, s25
	s_addc_u32 s17, 0, s17
	s_mul_hi_u32 s27, s23, s15
	s_add_u32 s24, s25, s24
	s_mul_i32 s15, s23, s15
	s_addc_u32 s17, s17, s28
	s_addc_u32 s24, s27, 0
	s_add_u32 s15, s17, s15
	s_addc_u32 s17, 0, s24
	s_mul_hi_u32 s24, s18, s15
	s_mul_i32 s25, s18, s17
	s_mul_i32 s26, s19, s15
	s_add_i32 s24, s24, s25
	s_mul_i32 s25, s18, s15
	s_add_i32 s24, s24, s26
	s_sub_i32 s26, s23, s24
	s_sub_u32 s22, s22, s25
	s_cselect_b32 s25, -1, 0
	s_cmp_lg_u32 s25, 0
	s_subb_u32 s26, s26, s19
	s_sub_u32 s27, s22, s18
	s_cselect_b32 s28, -1, 0
	s_cmp_lg_u32 s28, 0
	s_subb_u32 s26, s26, 0
	s_cmp_ge_u32 s26, s19
	s_cselect_b32 s28, -1, 0
	s_cmp_ge_u32 s27, s18
	s_cselect_b32 s27, -1, 0
	s_cmp_eq_u32 s26, s19
	s_cselect_b32 s26, s27, s28
	s_add_u32 s27, s15, 1
	s_addc_u32 s28, s17, 0
	s_add_u32 s29, s15, 2
	s_addc_u32 s30, s17, 0
	s_cmp_lg_u32 s26, 0
	s_cselect_b32 s26, s29, s27
	s_cselect_b32 s27, s30, s28
	s_cmp_lg_u32 s25, 0
	s_subb_u32 s23, s23, s24
	s_cmp_ge_u32 s23, s19
	s_cselect_b32 s24, -1, 0
	s_cmp_ge_u32 s22, s18
	s_cselect_b32 s18, -1, 0
	s_cmp_eq_u32 s23, s19
	s_cselect_b32 s18, s18, s24
	s_cmp_lg_u32 s18, 0
	s_cselect_b32 s19, s27, s17
	s_cselect_b32 s18, s26, s15
	s_xor_b64 s[20:21], s[20:21], 0
	s_xor_b64 s[18:19], s[18:19], s[20:21]
	s_sub_u32 s18, s18, s20
	s_andn2_b32 vcc_lo, exec_lo, s16
	s_cbranch_vccnz .LBB32_6
.LBB32_5:
	v_cvt_f32_u32_e32 v1, s9
	s_sub_i32 s16, 0, s9
	v_rcp_iflag_f32_e32 v1, v1
	v_mul_f32_e32 v1, 0x4f7ffffe, v1
	v_cvt_u32_f32_e32 v1, v1
	s_waitcnt lgkmcnt(0)
	v_readfirstlane_b32 s15, v1
	s_mul_i32 s16, s16, s15
	s_mul_hi_u32 s16, s15, s16
	s_add_i32 s15, s15, s16
	s_mul_hi_u32 s15, s11, s15
	s_mul_i32 s16, s15, s9
	s_sub_i32 s11, s11, s16
	s_add_i32 s16, s15, 1
	s_sub_i32 s17, s11, s9
	s_cmp_ge_u32 s11, s9
	s_cselect_b32 s15, s16, s15
	s_cselect_b32 s11, s17, s11
	s_add_i32 s16, s15, 1
	s_cmp_ge_u32 s11, s9
	s_cselect_b32 s18, s16, s15
.LBB32_6:
	s_cmp_eq_u32 s10, s18
	s_waitcnt lgkmcnt(0)
	s_mul_hi_u32 s11, s10, s12
	s_cselect_b32 s15, -1, 0
	s_add_i32 s11, s11, s10
	s_lshr_b32 s11, s11, s13
	s_mul_i32 s16, s11, s14
	s_cmp_eq_u32 s16, s10
	s_mul_hi_u32 s16, s18, s12
	s_cselect_b32 s17, -1, 0
	s_add_i32 s16, s16, s18
	s_lshr_b32 s16, s16, s13
	s_cmp_eq_u32 s11, s16
	s_mul_i32 s16, s16, s14
	s_cselect_b32 s19, -1, 0
	s_cmp_lg_u32 s16, s18
	s_cselect_b32 s16, -1, 0
	s_or_b32 s15, s15, s17
	s_and_b32 s16, s19, s16
	s_or_b32 s15, s15, s16
	s_and_b32 vcc_lo, exec_lo, s15
	s_cbranch_vccnz .LBB32_24
; %bb.7:
	s_load_dwordx8 s[16:23], s[4:5], 0x20
	s_waitcnt lgkmcnt(0)
	s_mul_hi_u32 s15, s10, s16
	s_load_dword s16, s[4:5], 0x40
	s_add_i32 s15, s15, s10
	s_lshr_b32 s15, s15, s17
	s_mul_i32 s17, s15, s18
	s_sub_i32 s17, s10, s17
	s_mul_hi_u32 s18, s17, s19
	s_add_i32 s18, s17, s18
	s_lshr_b32 s20, s18, s20
	s_mul_i32 s18, s20, s21
	s_sub_i32 s17, s17, s18
	s_mul_hi_u32 s18, s17, s22
	s_add_i32 s18, s17, s18
	s_lshr_b32 s18, s18, s23
	s_waitcnt lgkmcnt(0)
	s_mul_i32 s16, s18, s16
	s_lshl_b32 s22, s18, 2
	s_sub_i32 s16, s17, s16
	s_mul_hi_u32 s17, s16, s12
	s_add_i32 s16, s16, s17
	s_lshr_b32 s21, s16, s13
	s_add_i32 s21, s21, s7
	s_cmp_lt_i32 s21, s0
	s_cselect_b32 s16, -1, 0
	s_add_i32 s22, s22, s8
	s_cmp_lt_i32 s22, s2
	s_cselect_b32 s17, -1, 0
	s_and_b32 s16, s16, s17
	s_andn2_b32 vcc_lo, exec_lo, s16
	s_cbranch_vccnz .LBB32_24
; %bb.8:
	s_load_dwordx4 s[16:19], s[4:5], 0x0
	s_mov_b32 s4, 0
	s_lshl_b32 s24, s9, 4
	s_mov_b32 s25, s4
	s_mul_i32 s0, s15, s0
	s_lshl_b64 s[24:25], s[24:25], 2
	s_mul_i32 s20, s20, s2
	v_cvt_f32_u32_e32 v4, s9
	v_rcp_iflag_f32_e32 v4, v4
	s_waitcnt lgkmcnt(0)
	s_add_u32 s2, s18, s24
	s_addc_u32 s15, s19, s25
	s_add_i32 s0, s21, s0
	s_add_i32 s5, s22, s20
	s_mul_i32 s0, s0, s1
	v_mul_f32_e32 v4, 0x4f7ffffe, v4
	s_add_i32 s5, s5, s0
	s_add_i32 s0, s7, s6
	v_lshl_or_b32 v1, s5, 6, v0
	s_lshl_b32 s0, s0, 2
	v_lshl_or_b32 v0, s8, 6, v0
	s_add_i32 s0, s0, s8
	v_cvt_u32_f32_e32 v4, v4
	v_ashrrev_i32_e32 v2, 31, v1
	s_ashr_i32 s1, s0, 31
	s_lshl_b64 s[0:1], s[0:1], 3
	v_lshlrev_b64 v[1:2], 2, v[1:2]
	s_add_u32 s0, s18, s0
	s_addc_u32 s1, s19, s1
	s_add_i32 s20, s6, -1
	s_load_dwordx2 s[0:1], s[0:1], 0x0
	s_sub_i32 s6, 0, s9
	v_add_co_u32 v1, vcc_lo, s16, v1
	v_add_co_ci_u32_e64 v2, null, s17, v2, vcc_lo
	global_load_dword v3, v[1:2], off
	s_waitcnt lgkmcnt(0)
	v_mov_b32_e32 v5, s1
	v_mov_b32_e32 v6, s0
.LBB32_9:                               ; =>This Inner Loop Header: Depth=1
	s_mul_hi_i32 s5, s20, s3
	s_mul_i32 s16, s20, s3
	s_cmp_lg_u64 s[4:5], 0
	s_mov_b32 s17, -1
                                        ; implicit-def: $sgpr0_sgpr1
	s_cbranch_scc0 .LBB32_11
; %bb.10:                               ;   in Loop: Header=BB32_9 Depth=1
	s_add_u32 s0, s9, 0
	s_addc_u32 s1, 0, 0
	s_xor_b64 s[0:1], s[0:1], 0
	v_cvt_f32_u32_e32 v7, s0
	v_cvt_f32_u32_e32 v8, s1
	s_sub_u32 s22, 0, s0
	s_subb_u32 s23, 0, s1
	v_fmac_f32_e32 v7, 0x4f800000, v8
	v_rcp_f32_e32 v7, v7
	v_mul_f32_e32 v7, 0x5f7ffffc, v7
	v_mul_f32_e32 v8, 0x2f800000, v7
	v_trunc_f32_e32 v8, v8
	v_fmac_f32_e32 v7, 0xcf800000, v8
	v_cvt_u32_f32_e32 v8, v8
	v_cvt_u32_f32_e32 v7, v7
	v_readfirstlane_b32 s17, v8
	v_readfirstlane_b32 s21, v7
	s_mul_i32 s24, s22, s17
	s_mul_hi_u32 s26, s22, s21
	s_mul_i32 s25, s23, s21
	s_add_i32 s24, s26, s24
	s_mul_i32 s27, s22, s21
	s_add_i32 s24, s24, s25
	s_mul_hi_u32 s26, s21, s27
	s_mul_i32 s29, s21, s24
	s_mul_hi_u32 s28, s17, s27
	s_mul_i32 s25, s17, s27
	s_mul_hi_u32 s27, s21, s24
	s_add_u32 s26, s26, s29
	s_addc_u32 s27, 0, s27
	s_mul_hi_u32 s30, s17, s24
	s_add_u32 s25, s26, s25
	s_mul_i32 s24, s17, s24
	s_addc_u32 s25, s27, s28
	s_addc_u32 s26, s30, 0
	s_add_u32 s24, s25, s24
	s_addc_u32 s25, 0, s26
	s_add_u32 s21, s21, s24
	s_cselect_b32 s24, -1, 0
	s_mul_hi_u32 s26, s22, s21
	s_cmp_lg_u32 s24, 0
	s_mul_i32 s24, s22, s21
	s_addc_u32 s17, s17, s25
	s_mul_i32 s23, s23, s21
	s_mul_i32 s22, s22, s17
	s_mul_hi_u32 s25, s21, s24
	s_add_i32 s22, s26, s22
	s_mul_hi_u32 s26, s17, s24
	s_add_i32 s22, s22, s23
	s_mul_i32 s23, s17, s24
	s_mul_i32 s28, s21, s22
	s_mul_hi_u32 s27, s21, s22
	s_add_u32 s25, s25, s28
	s_addc_u32 s27, 0, s27
	s_mul_hi_u32 s24, s17, s22
	s_add_u32 s23, s25, s23
	s_mul_i32 s22, s17, s22
	s_addc_u32 s23, s27, s26
	s_addc_u32 s24, s24, 0
	s_add_u32 s22, s23, s22
	s_addc_u32 s23, 0, s24
	s_add_u32 s21, s21, s22
	s_cselect_b32 s22, -1, 0
	s_cmp_lg_u32 s22, 0
	s_addc_u32 s17, s17, s23
	s_ashr_i32 s22, s5, 31
	s_add_u32 s24, s16, s22
	s_mov_b32 s23, s22
	s_addc_u32 s25, s5, s22
	s_xor_b64 s[24:25], s[24:25], s[22:23]
	s_mul_i32 s26, s24, s17
	s_mul_hi_u32 s27, s24, s21
	s_mul_hi_u32 s5, s24, s17
	;; [unrolled: 1-line block ×3, first 2 shown]
	s_mul_i32 s21, s25, s21
	s_add_u32 s26, s27, s26
	s_addc_u32 s5, 0, s5
	s_mul_hi_u32 s28, s25, s17
	s_add_u32 s21, s26, s21
	s_mul_i32 s17, s25, s17
	s_addc_u32 s5, s5, s29
	s_addc_u32 s21, s28, 0
	s_add_u32 s5, s5, s17
	s_addc_u32 s17, 0, s21
	s_mul_hi_u32 s21, s0, s5
	s_mul_i32 s26, s0, s17
	s_mul_i32 s27, s1, s5
	s_add_i32 s21, s21, s26
	s_mul_i32 s26, s0, s5
	s_add_i32 s21, s21, s27
	s_sub_i32 s27, s25, s21
	s_sub_u32 s24, s24, s26
	s_cselect_b32 s26, -1, 0
	s_cmp_lg_u32 s26, 0
	s_subb_u32 s27, s27, s1
	s_sub_u32 s28, s24, s0
	s_cselect_b32 s29, -1, 0
	s_cmp_lg_u32 s29, 0
	s_subb_u32 s27, s27, 0
	s_cmp_ge_u32 s27, s1
	s_cselect_b32 s29, -1, 0
	s_cmp_ge_u32 s28, s0
	s_cselect_b32 s28, -1, 0
	s_cmp_eq_u32 s27, s1
	s_cselect_b32 s27, s28, s29
	s_add_u32 s28, s5, 1
	s_addc_u32 s29, s17, 0
	s_add_u32 s30, s5, 2
	s_addc_u32 s31, s17, 0
	s_cmp_lg_u32 s27, 0
	s_cselect_b32 s27, s30, s28
	s_cselect_b32 s28, s31, s29
	s_cmp_lg_u32 s26, 0
	s_subb_u32 s21, s25, s21
	s_cmp_ge_u32 s21, s1
	s_cselect_b32 s25, -1, 0
	s_cmp_ge_u32 s24, s0
	s_cselect_b32 s0, -1, 0
	s_cmp_eq_u32 s21, s1
	s_cselect_b32 s0, s0, s25
	s_cmp_lg_u32 s0, 0
	s_cselect_b32 s1, s28, s17
	s_cselect_b32 s0, s27, s5
	s_xor_b64 s[22:23], s[22:23], 0
	s_mov_b32 s17, 0
	s_xor_b64 s[0:1], s[0:1], s[22:23]
	s_sub_u32 s0, s0, s22
.LBB32_11:                              ;   in Loop: Header=BB32_9 Depth=1
	s_andn2_b32 vcc_lo, exec_lo, s17
	s_cbranch_vccnz .LBB32_13
; %bb.12:                               ;   in Loop: Header=BB32_9 Depth=1
	v_readfirstlane_b32 s0, v4
	s_mul_i32 s1, s6, s0
	s_mul_hi_u32 s1, s0, s1
	s_add_i32 s0, s0, s1
	s_mul_hi_u32 s0, s16, s0
	s_mul_i32 s1, s0, s9
	s_add_i32 s5, s0, 1
	s_sub_i32 s1, s16, s1
	s_sub_i32 s16, s1, s9
	s_cmp_ge_u32 s1, s9
	s_cselect_b32 s0, s5, s0
	s_cselect_b32 s1, s16, s1
	s_add_i32 s5, s0, 1
	s_cmp_ge_u32 s1, s9
	s_cselect_b32 s0, s5, s0
.LBB32_13:                              ;   in Loop: Header=BB32_9 Depth=1
	s_cmp_lg_u32 s10, s0
	s_mov_b32 s16, -1
                                        ; implicit-def: $sgpr5
                                        ; implicit-def: $vgpr8
                                        ; implicit-def: $vgpr7
                                        ; implicit-def: $vgpr9
                                        ; implicit-def: $sgpr1
                                        ; implicit-def: $sgpr21
	s_cbranch_scc0 .LBB32_18
; %bb.14:                               ;   in Loop: Header=BB32_9 Depth=1
	s_add_i32 s22, s20, s7
	s_mov_b32 s17, s4
	s_add_i32 s1, s22, s9
	s_mov_b32 s21, s10
	s_lshl_b32 s1, s1, 2
	s_add_i32 s16, s1, s8
	s_mul_hi_u32 s1, s0, s12
	s_lshl_b64 s[16:17], s[16:17], 3
	s_add_u32 s16, s18, s16
	s_addc_u32 s17, s19, s17
	s_add_i32 s1, s1, s0
	s_lshr_b32 s1, s1, s13
	s_mul_i32 s5, s1, s14
	s_cmp_eq_u32 s5, s0
	s_cselect_b32 s5, -1, 0
	s_cmp_lt_u32 s1, s11
	s_cselect_b32 s1, -1, 0
	s_or_b32 s1, s1, s5
	s_mov_b32 s5, -1
	s_and_b32 vcc_lo, exec_lo, s1
	s_mov_b32 s1, s20
	s_cbranch_vccnz .LBB32_16
; %bb.15:                               ;   in Loop: Header=BB32_9 Depth=1
	s_add_i32 s1, s20, -1
	s_mov_b32 s5, 0
	s_mov_b32 s21, s0
.LBB32_16:                              ;   in Loop: Header=BB32_9 Depth=1
	v_lshl_add_u32 v7, s22, 8, v0
	s_load_dwordx2 s[16:17], s[16:17], 0x0
	v_ashrrev_i32_e32 v8, 31, v7
	v_lshlrev_b64 v[7:8], 2, v[7:8]
	v_add_co_u32 v7, vcc_lo, s2, v7
	v_add_co_ci_u32_e64 v8, null, s15, v8, vcc_lo
	s_waitcnt lgkmcnt(0)
	v_max_f32_e64 v9, s16, s16
	global_load_dword v8, v[7:8], off
	v_max_f32_e32 v7, v6, v6
	v_max_f32_e32 v7, v7, v9
	v_sub_f32_e32 v9, s16, v7
	v_sub_f32_e32 v10, v6, v7
	v_mul_f32_e32 v11, 0x3fb8aa3b, v9
	v_mul_f32_e32 v12, 0x3fb8aa3b, v10
	v_cmp_ngt_f32_e32 vcc_lo, 0xc2ce8ed0, v9
	v_fma_f32 v13, 0x3fb8aa3b, v9, -v11
	v_rndne_f32_e32 v14, v11
	v_fma_f32 v15, 0x3fb8aa3b, v10, -v12
	v_rndne_f32_e32 v16, v12
	v_fmac_f32_e32 v13, 0x32a5705f, v9
	v_sub_f32_e32 v11, v11, v14
	v_fmac_f32_e32 v15, 0x32a5705f, v10
	v_sub_f32_e32 v12, v12, v16
	v_add_f32_e32 v11, v11, v13
	v_cvt_i32_f32_e32 v13, v14
	v_add_f32_e32 v12, v12, v15
	v_cvt_i32_f32_e32 v14, v16
	v_exp_f32_e32 v11, v11
	v_exp_f32_e32 v12, v12
	v_ldexp_f32 v11, v11, v13
	v_ldexp_f32 v12, v12, v14
	v_cndmask_b32_e32 v11, 0, v11, vcc_lo
	v_cmp_ngt_f32_e32 vcc_lo, 0xc2ce8ed0, v10
	v_cndmask_b32_e32 v12, 0, v12, vcc_lo
	v_cmp_nlt_f32_e32 vcc_lo, 0x42b17218, v9
	v_cndmask_b32_e32 v11, 0x7f800000, v11, vcc_lo
	v_cmp_nlt_f32_e32 vcc_lo, 0x42b17218, v10
	v_cndmask_b32_e32 v12, 0x7f800000, v12, vcc_lo
	v_cmp_le_f32_e32 vcc_lo, 0xc1a00000, v9
	v_cndmask_b32_e32 v9, 0, v11, vcc_lo
	v_cmp_le_f32_e32 vcc_lo, 0xc1a00000, v10
	v_cndmask_b32_e32 v10, 0, v12, vcc_lo
	s_waitcnt vmcnt(0)
	v_mul_f32_e32 v8, v8, v9
	v_mul_f32_e32 v9, s17, v9
	v_fmac_f32_e32 v8, v3, v10
	v_fmac_f32_e32 v9, v5, v10
	s_cbranch_execz .LBB32_19
.LBB32_17:                              ;   in Loop: Header=BB32_9 Depth=1
	s_andn2_b32 vcc_lo, exec_lo, s5
	s_cbranch_vccnz .LBB32_20
	s_branch .LBB32_23
.LBB32_18:                              ;   in Loop: Header=BB32_9 Depth=1
	s_andn2_b32 vcc_lo, exec_lo, s16
	s_cbranch_vccnz .LBB32_17
.LBB32_19:                              ;   in Loop: Header=BB32_9 Depth=1
	v_mov_b32_e32 v9, v5
	v_mov_b32_e32 v7, v6
	s_waitcnt vmcnt(0)
	v_mov_b32_e32 v8, v3
	s_add_i32 s1, s20, -1
	s_mov_b32 s21, s10
	s_cbranch_execz .LBB32_23
.LBB32_20:                              ;   in Loop: Header=BB32_9 Depth=1
	v_mov_b32_e32 v5, v9
	v_mov_b32_e32 v6, v7
	s_waitcnt vmcnt(0)
	v_mov_b32_e32 v3, v8
	s_mov_b32 s10, s21
	s_mov_b32 s20, s1
	s_branch .LBB32_9
.LBB32_21:
                                        ; implicit-def: $sgpr10_sgpr11
	s_load_dwordx4 s[12:15], s[4:5], 0x44
	s_branch .LBB32_2
.LBB32_22:
                                        ; implicit-def: $sgpr18_sgpr19
	s_branch .LBB32_5
.LBB32_23:
	v_div_scale_f32 v0, null, v9, v9, v8
	s_waitcnt vmcnt(0)
	v_rcp_f32_e32 v3, v0
	v_fma_f32 v4, -v0, v3, 1.0
	v_fmac_f32_e32 v3, v4, v3
	v_div_scale_f32 v4, vcc_lo, v8, v9, v8
	v_mul_f32_e32 v5, v4, v3
	v_fma_f32 v6, -v0, v5, v4
	v_fmac_f32_e32 v5, v6, v3
	v_fma_f32 v0, -v0, v5, v4
	v_div_fmas_f32 v0, v0, v3, v5
	v_div_fixup_f32 v0, v0, v9, v8
	global_store_dword v[1:2], v0, off
.LBB32_24:
	s_endpgm
	.section	.rodata,"a",@progbits
	.p2align	6, 0x0
	.amdhsa_kernel _ZL33flash_attn_stream_k_fixup_generalILi64ELi1ELi4EEvPfPK15HIP_vector_typeIfLj2EEiiiiS1_IjLj3EES5_S5_S5_
		.amdhsa_group_segment_fixed_size 0
		.amdhsa_private_segment_fixed_size 0
		.amdhsa_kernarg_size 336
		.amdhsa_user_sgpr_count 6
		.amdhsa_user_sgpr_private_segment_buffer 1
		.amdhsa_user_sgpr_dispatch_ptr 0
		.amdhsa_user_sgpr_queue_ptr 0
		.amdhsa_user_sgpr_kernarg_segment_ptr 1
		.amdhsa_user_sgpr_dispatch_id 0
		.amdhsa_user_sgpr_flat_scratch_init 0
		.amdhsa_user_sgpr_private_segment_size 0
		.amdhsa_wavefront_size32 1
		.amdhsa_uses_dynamic_stack 0
		.amdhsa_system_sgpr_private_segment_wavefront_offset 0
		.amdhsa_system_sgpr_workgroup_id_x 1
		.amdhsa_system_sgpr_workgroup_id_y 1
		.amdhsa_system_sgpr_workgroup_id_z 1
		.amdhsa_system_sgpr_workgroup_info 0
		.amdhsa_system_vgpr_workitem_id 0
		.amdhsa_next_free_vgpr 17
		.amdhsa_next_free_sgpr 32
		.amdhsa_reserve_vcc 1
		.amdhsa_reserve_flat_scratch 0
		.amdhsa_float_round_mode_32 0
		.amdhsa_float_round_mode_16_64 0
		.amdhsa_float_denorm_mode_32 3
		.amdhsa_float_denorm_mode_16_64 3
		.amdhsa_dx10_clamp 1
		.amdhsa_ieee_mode 1
		.amdhsa_fp16_overflow 0
		.amdhsa_workgroup_processor_mode 1
		.amdhsa_memory_ordered 1
		.amdhsa_forward_progress 1
		.amdhsa_shared_vgpr_count 0
		.amdhsa_exception_fp_ieee_invalid_op 0
		.amdhsa_exception_fp_denorm_src 0
		.amdhsa_exception_fp_ieee_div_zero 0
		.amdhsa_exception_fp_ieee_overflow 0
		.amdhsa_exception_fp_ieee_underflow 0
		.amdhsa_exception_fp_ieee_inexact 0
		.amdhsa_exception_int_div_zero 0
	.end_amdhsa_kernel
	.section	.text._ZL33flash_attn_stream_k_fixup_generalILi64ELi1ELi4EEvPfPK15HIP_vector_typeIfLj2EEiiiiS1_IjLj3EES5_S5_S5_,"axG",@progbits,_ZL33flash_attn_stream_k_fixup_generalILi64ELi1ELi4EEvPfPK15HIP_vector_typeIfLj2EEiiiiS1_IjLj3EES5_S5_S5_,comdat
.Lfunc_end32:
	.size	_ZL33flash_attn_stream_k_fixup_generalILi64ELi1ELi4EEvPfPK15HIP_vector_typeIfLj2EEiiiiS1_IjLj3EES5_S5_S5_, .Lfunc_end32-_ZL33flash_attn_stream_k_fixup_generalILi64ELi1ELi4EEvPfPK15HIP_vector_typeIfLj2EEiiiiS1_IjLj3EES5_S5_S5_
                                        ; -- End function
	.set _ZL33flash_attn_stream_k_fixup_generalILi64ELi1ELi4EEvPfPK15HIP_vector_typeIfLj2EEiiiiS1_IjLj3EES5_S5_S5_.num_vgpr, 17
	.set _ZL33flash_attn_stream_k_fixup_generalILi64ELi1ELi4EEvPfPK15HIP_vector_typeIfLj2EEiiiiS1_IjLj3EES5_S5_S5_.num_agpr, 0
	.set _ZL33flash_attn_stream_k_fixup_generalILi64ELi1ELi4EEvPfPK15HIP_vector_typeIfLj2EEiiiiS1_IjLj3EES5_S5_S5_.numbered_sgpr, 32
	.set _ZL33flash_attn_stream_k_fixup_generalILi64ELi1ELi4EEvPfPK15HIP_vector_typeIfLj2EEiiiiS1_IjLj3EES5_S5_S5_.num_named_barrier, 0
	.set _ZL33flash_attn_stream_k_fixup_generalILi64ELi1ELi4EEvPfPK15HIP_vector_typeIfLj2EEiiiiS1_IjLj3EES5_S5_S5_.private_seg_size, 0
	.set _ZL33flash_attn_stream_k_fixup_generalILi64ELi1ELi4EEvPfPK15HIP_vector_typeIfLj2EEiiiiS1_IjLj3EES5_S5_S5_.uses_vcc, 1
	.set _ZL33flash_attn_stream_k_fixup_generalILi64ELi1ELi4EEvPfPK15HIP_vector_typeIfLj2EEiiiiS1_IjLj3EES5_S5_S5_.uses_flat_scratch, 0
	.set _ZL33flash_attn_stream_k_fixup_generalILi64ELi1ELi4EEvPfPK15HIP_vector_typeIfLj2EEiiiiS1_IjLj3EES5_S5_S5_.has_dyn_sized_stack, 0
	.set _ZL33flash_attn_stream_k_fixup_generalILi64ELi1ELi4EEvPfPK15HIP_vector_typeIfLj2EEiiiiS1_IjLj3EES5_S5_S5_.has_recursion, 0
	.set _ZL33flash_attn_stream_k_fixup_generalILi64ELi1ELi4EEvPfPK15HIP_vector_typeIfLj2EEiiiiS1_IjLj3EES5_S5_S5_.has_indirect_call, 0
	.section	.AMDGPU.csdata,"",@progbits
; Kernel info:
; codeLenInByte = 2924
; TotalNumSgprs: 34
; NumVgprs: 17
; ScratchSize: 0
; MemoryBound: 0
; FloatMode: 240
; IeeeMode: 1
; LDSByteSize: 0 bytes/workgroup (compile time only)
; SGPRBlocks: 0
; VGPRBlocks: 2
; NumSGPRsForWavesPerEU: 34
; NumVGPRsForWavesPerEU: 17
; Occupancy: 16
; WaveLimiterHint : 0
; COMPUTE_PGM_RSRC2:SCRATCH_EN: 0
; COMPUTE_PGM_RSRC2:USER_SGPR: 6
; COMPUTE_PGM_RSRC2:TRAP_HANDLER: 0
; COMPUTE_PGM_RSRC2:TGID_X_EN: 1
; COMPUTE_PGM_RSRC2:TGID_Y_EN: 1
; COMPUTE_PGM_RSRC2:TGID_Z_EN: 1
; COMPUTE_PGM_RSRC2:TIDIG_COMP_CNT: 0
	.section	.text._ZL15flash_attn_tileILi64ELi64ELi32ELi2ELb0EEvPKcS1_S1_S1_S1_PKiPfP15HIP_vector_typeIfLj2EEffffjfiS5_IjLj3EEiiiiiiiiiiiliiliiiiil,"axG",@progbits,_ZL15flash_attn_tileILi64ELi64ELi32ELi2ELb0EEvPKcS1_S1_S1_S1_PKiPfP15HIP_vector_typeIfLj2EEffffjfiS5_IjLj3EEiiiiiiiiiiiliiliiiiil,comdat
	.globl	_ZL15flash_attn_tileILi64ELi64ELi32ELi2ELb0EEvPKcS1_S1_S1_S1_PKiPfP15HIP_vector_typeIfLj2EEffffjfiS5_IjLj3EEiiiiiiiiiiiliiliiiiil ; -- Begin function _ZL15flash_attn_tileILi64ELi64ELi32ELi2ELb0EEvPKcS1_S1_S1_S1_PKiPfP15HIP_vector_typeIfLj2EEffffjfiS5_IjLj3EEiiiiiiiiiiiliiliiiiil
	.p2align	8
	.type	_ZL15flash_attn_tileILi64ELi64ELi32ELi2ELb0EEvPKcS1_S1_S1_S1_PKiPfP15HIP_vector_typeIfLj2EEffffjfiS5_IjLj3EEiiiiiiiiiiiliiliiiiil,@function
_ZL15flash_attn_tileILi64ELi64ELi32ELi2ELb0EEvPKcS1_S1_S1_S1_PKiPfP15HIP_vector_typeIfLj2EEffffjfiS5_IjLj3EEiiiiiiiiiiiliiliiiiil: ; @_ZL15flash_attn_tileILi64ELi64ELi32ELi2ELb0EEvPKcS1_S1_S1_S1_PKiPfP15HIP_vector_typeIfLj2EEffffjfiS5_IjLj3EEiiiiiiiiiiiliiliiiiil
; %bb.0:
	s_mov_b64 s[46:47], s[2:3]
	s_mov_b64 s[44:45], s[0:1]
	s_clause 0x1
	s_load_dwordx4 s[0:3], s[4:5], 0x5c
	s_load_dwordx2 s[34:35], s[4:5], 0x80
	s_add_u32 s44, s44, s9
	s_addc_u32 s45, s45, 0
	s_mov_b32 s28, s7
	v_mov_b32_e32 v78, v0
	s_mov_b64 s[36:37], 0
	s_waitcnt lgkmcnt(0)
	s_lshr_b32 s7, s3, 31
	s_add_i32 s7, s3, s7
	s_ashr_i32 s7, s7, 1
	v_cvt_f32_u32_e32 v0, s7
	s_sub_i32 s10, 0, s7
	v_rcp_iflag_f32_e32 v0, v0
	v_mul_f32_e32 v0, 0x4f7ffffe, v0
	v_cvt_u32_f32_e32 v0, v0
	v_readfirstlane_b32 s9, v0
	s_mul_i32 s10, s10, s9
	s_mul_hi_u32 s10, s9, s10
	s_add_i32 s9, s9, s10
	s_mul_hi_u32 s9, s8, s9
	s_mul_i32 s10, s9, s7
	s_add_i32 s11, s9, 1
	s_sub_i32 s10, s8, s10
	s_sub_i32 s12, s10, s7
	s_cmp_ge_u32 s10, s7
	s_cselect_b32 s9, s11, s9
	s_cselect_b32 s10, s12, s10
	s_add_i32 s11, s9, 1
	s_cmp_ge_u32 s10, s7
	s_cselect_b32 s7, s11, s9
	s_abs_i32 s9, s35
	s_lshl_b32 s8, s8, 1
	v_cvt_f32_u32_e32 v0, s9
	s_sub_i32 s11, 0, s9
	s_mul_i32 s12, s7, s3
	s_abs_i32 s13, s3
	s_sub_i32 s30, s8, s12
	v_rcp_iflag_f32_e32 v0, v0
	v_mul_f32_e32 v0, 0x4f7ffffe, v0
	v_cvt_u32_f32_e32 v0, v0
	v_readfirstlane_b32 s10, v0
	s_mul_i32 s11, s11, s10
	s_mul_hi_u32 s11, s10, s11
	s_add_i32 s10, s10, s11
	s_mul_hi_u32 s8, s13, s10
	s_xor_b32 s10, s3, s35
	s_mul_i32 s11, s8, s9
	s_ashr_i32 s10, s10, 31
	s_sub_i32 s11, s13, s11
	s_add_i32 s12, s8, 1
	s_sub_i32 s13, s11, s9
	s_cmp_ge_u32 s11, s9
	s_cselect_b32 s8, s12, s8
	s_cselect_b32 s11, s13, s11
	s_add_i32 s12, s8, 1
	s_cmp_ge_u32 s11, s9
	s_cselect_b32 s8, s12, s8
	s_xor_b32 s8, s8, s10
	s_sub_i32 s31, s8, s10
	s_clause 0x1
	s_load_dwordx16 s[8:23], s[4:5], 0x0
	s_load_dwordx2 s[38:39], s[4:5], 0xb8
	s_abs_i32 s29, s31
	v_cvt_f32_u32_e32 v0, s29
	v_rcp_iflag_f32_e32 v0, v0
	v_mul_f32_e32 v0, 0x4f7ffffe, v0
	s_waitcnt lgkmcnt(0)
	s_cmp_eq_u64 s[14:15], 0
	v_cvt_u32_f32_e32 v0, v0
	v_readfirstlane_b32 s33, v0
	s_cbranch_scc1 .LBB33_2
; %bb.1:
	s_abs_i32 s26, s38
	s_abs_i32 s27, s7
	v_cvt_f32_u32_e32 v0, s26
	s_sub_i32 s25, 0, s26
	v_rcp_iflag_f32_e32 v0, v0
	v_mul_f32_e32 v0, 0x4f7ffffe, v0
	v_cvt_u32_f32_e32 v0, v0
	v_readfirstlane_b32 s24, v0
	s_mul_i32 s25, s25, s24
	s_mul_hi_u32 s25, s24, s25
	s_add_i32 s24, s24, s25
	s_mul_hi_u32 s35, s27, s24
	s_load_dwordx2 s[24:25], s[4:5], 0xc8
	s_mul_i32 s35, s35, s26
	s_sub_i32 s27, s27, s35
	s_ashr_i32 s35, s7, 31
	s_sub_i32 s36, s27, s26
	s_cmp_ge_u32 s27, s26
	s_cselect_b32 s27, s36, s27
	s_sub_i32 s36, s27, s26
	s_cmp_ge_u32 s27, s26
	s_cselect_b32 s26, s36, s27
	s_xor_b32 s26, s26, s35
	s_sub_i32 s26, s26, s35
	s_ashr_i32 s27, s26, 31
	s_waitcnt lgkmcnt(0)
	s_mul_hi_u32 s35, s24, s26
	s_mul_i32 s27, s24, s27
	s_mul_i32 s25, s25, s26
	s_add_i32 s27, s35, s27
	s_mul_i32 s24, s24, s26
	s_add_i32 s27, s27, s25
	s_add_u32 s36, s14, s24
	s_addc_u32 s37, s15, s27
.LBB33_2:
	v_lshlrev_b32_e32 v178, 3, v1
	v_lshlrev_b32_e32 v9, 4, v1
	s_lshl_b32 s14, s6, 5
	s_load_dwordx4 s[24:27], s[4:5], 0x70
	v_lshlrev_b32_e32 v11, 3, v78
	v_add_nc_u32_e32 v179, s14, v178
	v_or_b32_e32 v7, 2, v9
	v_or_b32_e32 v8, 3, v9
	;; [unrolled: 1-line block ×4, first 2 shown]
	v_mul_hi_u32 v0, v179, s0
	v_lshrrev_b32_e32 v176, 1, v7
	v_lshrrev_b32_e32 v173, 1, v8
	;; [unrolled: 1-line block ×4, first 2 shown]
	v_or_b32_e32 v48, 9, v9
	v_add_nc_u32_e32 v177, s14, v176
	v_add_nc_u32_e32 v175, s14, v173
	;; [unrolled: 1-line block ×5, first 2 shown]
	v_mul_hi_u32 v2, v177, s0
	v_mul_hi_u32 v3, v175, s0
	v_lshrrev_b32_e32 v0, s1, v0
	s_waitcnt lgkmcnt(0)
	s_mul_i32 s15, s7, s26
	s_mul_i32 s26, s30, s25
	s_ashr_i32 s27, s15, 31
	s_add_u32 s8, s8, s15
	v_mul_lo_u32 v0, v0, s2
	v_add_nc_u32_e32 v2, v177, v2
	s_addc_u32 s9, s9, s27
	s_ashr_i32 s27, s26, 31
	s_add_u32 s15, s8, s26
	s_mov_b32 s40, s24
	v_lshrrev_b32_e32 v2, s1, v2
	s_addc_u32 s26, s9, s27
	v_sub_nc_u32_e32 v6, v179, v0
	s_ashr_i32 s41, s24, 31
	v_add_nc_u32_e32 v0, v175, v3
	s_lshr_b64 s[8:9], s[40:41], 2
	v_mul_lo_u32 v4, v2, s2
	v_mad_u64_u32 v[2:3], null, s8, v6, 0
	v_lshrrev_b32_e32 v0, s1, v0
	s_lshr_b32 s24, s41, 2
	v_mul_hi_u32 v19, v174, s0
	s_and_b32 s9, s25, -4
	s_ashr_i32 s25, s25, 31
	v_sub_nc_u32_e32 v16, v177, v4
	v_mul_lo_u32 v15, v0, s2
	v_mov_b32_e32 v0, v3
	s_add_u32 s9, s15, s9
	s_addc_u32 s25, s26, s25
	v_mad_u64_u32 v[4:5], null, s8, v16, 0
	v_mad_u64_u32 v[13:14], null, s24, v6, v[0:1]
	v_sub_nc_u32_e32 v18, v175, v15
	v_lshrrev_b32_e32 v145, 1, v48
	v_or_b32_e32 v49, 10, v9
	v_or_b32_e32 v50, 11, v9
	v_mov_b32_e32 v0, v5
	v_mad_u64_u32 v[14:15], null, s8, v18, 0
	v_mov_b32_e32 v3, v13
	v_add_nc_u32_e32 v147, s14, v145
	v_mad_u64_u32 v[16:17], null, s24, v16, v[0:1]
	v_add_nc_u32_e32 v0, v174, v19
	v_lshlrev_b64 v[2:3], 2, v[2:3]
	v_lshrrev_b32_e32 v143, 1, v49
	v_lshrrev_b32_e32 v140, 1, v50
	v_or_b32_e32 v51, 12, v9
	v_lshrrev_b32_e32 v13, s1, v0
	v_mov_b32_e32 v0, v15
	v_add_co_u32 v15, vcc_lo, s15, v2
	v_mov_b32_e32 v5, v16
	v_add_co_ci_u32_e64 v16, null, s26, v3, vcc_lo
	v_add_co_u32 v17, vcc_lo, s9, v2
	v_add_co_ci_u32_e64 v19, null, s25, v3, vcc_lo
	v_add_co_u32 v2, vcc_lo, v15, v11
	v_add_co_ci_u32_e64 v3, null, 0, v16, vcc_lo
	v_mad_u64_u32 v[15:16], null, s24, v18, v[0:1]
	v_mul_lo_u32 v0, v13, s2
	v_lshlrev_b64 v[4:5], 2, v[4:5]
	v_or_b32_e32 v13, 6, v9
	v_add_co_u32 v16, vcc_lo, v17, v11
	v_add_co_ci_u32_e64 v17, null, 0, v19, vcc_lo
	v_lshrrev_b32_e32 v163, 1, v13
	v_sub_nc_u32_e32 v22, v174, v0
	v_mul_hi_u32 v0, v168, s0
	v_add_co_u32 v20, vcc_lo, s15, v4
	v_add_co_ci_u32_e64 v21, null, s26, v5, vcc_lo
	v_mad_u64_u32 v[18:19], null, s8, v22, 0
	v_lshlrev_b64 v[4:5], 2, v[14:15]
	v_add_nc_u32_e32 v14, v168, v0
	v_add_nc_u32_e32 v165, s14, v163
	v_add_co_u32 v20, vcc_lo, v20, v11
	v_add_co_ci_u32_e64 v21, null, 0, v21, vcc_lo
	v_lshrrev_b32_e32 v15, s1, v14
	v_mov_b32_e32 v0, v19
	v_mul_hi_u32 v19, v165, s0
	v_or_b32_e32 v14, 7, v9
	v_add_co_u32 v23, vcc_lo, s9, v4
	v_mul_lo_u32 v15, v15, s2
	v_add_co_ci_u32_e64 v24, null, s25, v5, vcc_lo
	v_mad_u64_u32 v[4:5], null, s24, v22, v[0:1]
	v_add_nc_u32_e32 v0, v165, v19
	v_lshrrev_b32_e32 v148, 1, v14
	v_add_co_u32 v22, vcc_lo, v23, v11
	v_sub_nc_u32_e32 v28, v168, v15
	v_lshrrev_b32_e32 v0, s1, v0
	v_add_nc_u32_e32 v150, s14, v148
	v_add_co_ci_u32_e64 v23, null, 0, v24, vcc_lo
	v_mad_u64_u32 v[24:25], null, s8, v28, 0
	v_mul_lo_u32 v15, v0, s2
	v_mul_hi_u32 v29, v150, s0
	v_mov_b32_e32 v19, v4
	s_clause 0x3
	global_load_dwordx2 v[26:27], v[2:3], off
	global_load_dwordx2 v[16:17], v[16:17], off
	;; [unrolled: 1-line block ×4, first 2 shown]
	v_add_nc_u32_e32 v144, s14, v143
	v_add_nc_u32_e32 v142, s14, v140
	v_mov_b32_e32 v0, v25
	v_lshlrev_b64 v[18:19], 2, v[18:19]
	v_sub_nc_u32_e32 v30, v165, v15
	v_add_nc_u32_e32 v23, v150, v29
	v_or_b32_e32 v15, 8, v9
	v_mad_u64_u32 v[20:21], null, s24, v28, v[0:1]
	v_mad_u64_u32 v[21:22], null, s8, v30, 0
	v_lshrrev_b32_e32 v23, s1, v23
	v_lshrrev_b32_e32 v146, 1, v15
	v_add_co_u32 v18, vcc_lo, s15, v18
	v_mov_b32_e32 v25, v20
	v_mul_lo_u32 v20, v23, s2
	v_add_nc_u32_e32 v149, s14, v146
	v_mov_b32_e32 v0, v22
	v_add_co_ci_u32_e64 v19, null, s26, v19, vcc_lo
	v_lshlrev_b64 v[22:23], 2, v[24:25]
	v_mul_hi_u32 v28, v149, s0
	v_mad_u64_u32 v[24:25], null, s24, v30, v[0:1]
	v_sub_nc_u32_e32 v25, v150, v20
	v_add_co_u32 v18, vcc_lo, v18, v11
	v_add_co_ci_u32_e64 v19, null, 0, v19, vcc_lo
	v_add_co_u32 v0, vcc_lo, s9, v22
	v_add_co_ci_u32_e64 v20, null, s25, v23, vcc_lo
	v_add_nc_u32_e32 v23, v149, v28
	v_mad_u64_u32 v[28:29], null, s8, v25, 0
	v_mov_b32_e32 v22, v24
	v_mul_hi_u32 v36, v142, s0
	v_lshrrev_b32_e32 v30, s1, v23
	v_add_co_u32 v23, vcc_lo, v0, v11
	v_add_co_ci_u32_e64 v24, null, 0, v20, vcc_lo
	v_mov_b32_e32 v0, v29
	v_lshlrev_b64 v[20:21], 2, v[21:22]
	v_mul_lo_u32 v22, v30, s2
	v_lshrrev_b32_e32 v139, 1, v51
	v_or_b32_e32 v52, 13, v9
	v_mad_u64_u32 v[29:30], null, s24, v25, v[0:1]
	v_mul_hi_u32 v0, v147, s0
	v_add_co_u32 v25, vcc_lo, s15, v20
	v_sub_nc_u32_e32 v22, v149, v22
	v_add_co_ci_u32_e64 v31, null, s26, v21, vcc_lo
	v_add_co_u32 v30, vcc_lo, v25, v11
	v_add_nc_u32_e32 v0, v147, v0
	v_mad_u64_u32 v[20:21], null, s8, v22, 0
	v_lshlrev_b64 v[28:29], 2, v[28:29]
	v_add_co_ci_u32_e64 v31, null, 0, v31, vcc_lo
	v_lshrrev_b32_e32 v32, s1, v0
	v_add_nc_u32_e32 v141, s14, v139
	v_lshrrev_b32_e32 v137, 1, v52
	v_mov_b32_e32 v0, v21
	v_add_co_u32 v28, vcc_lo, s9, v28
	v_mul_lo_u32 v25, v32, s2
	v_mul_hi_u32 v32, v144, s0
	v_mad_u64_u32 v[21:22], null, s24, v22, v[0:1]
	v_add_co_ci_u32_e64 v29, null, s25, v29, vcc_lo
	v_add_co_u32 v28, vcc_lo, v28, v11
	v_sub_nc_u32_e32 v34, v147, v25
	v_add_nc_u32_e32 v0, v144, v32
	v_add_co_ci_u32_e64 v29, null, 0, v29, vcc_lo
	s_clause 0x3
	global_load_dwordx2 v[18:19], v[18:19], off
	global_load_dwordx2 v[22:23], v[23:24], off
	;; [unrolled: 1-line block ×4, first 2 shown]
	v_mad_u64_u32 v[32:33], null, s8, v34, 0
	v_lshrrev_b32_e32 v0, s1, v0
	v_lshlrev_b64 v[20:21], 2, v[20:21]
	v_or_b32_e32 v53, 14, v9
	v_add_nc_u32_e32 v138, s14, v137
	v_or_b32_e32 v54, 15, v9
	v_mul_lo_u32 v35, v0, s2
	v_mov_b32_e32 v0, v33
	v_add_nc_u32_e32 v33, v142, v36
	v_add_co_u32 v20, vcc_lo, s15, v20
	v_add_co_ci_u32_e64 v21, null, s26, v21, vcc_lo
	v_mad_u64_u32 v[30:31], null, s24, v34, v[0:1]
	v_sub_nc_u32_e32 v37, v144, v35
	v_lshrrev_b32_e32 v31, s1, v33
	v_add_co_u32 v20, vcc_lo, v20, v11
	v_add_co_ci_u32_e64 v21, null, 0, v21, vcc_lo
	v_mad_u64_u32 v[34:35], null, s8, v37, 0
	v_mov_b32_e32 v33, v30
	v_lshrrev_b32_e32 v135, 1, v53
	v_lshrrev_b32_e32 v40, 1, v54
	s_cmp_eq_u64 s[18:19], 0
	v_mov_b32_e32 v0, v35
	v_mul_lo_u32 v35, v31, s2
	v_lshlrev_b64 v[30:31], 2, v[32:33]
	v_add_nc_u32_e32 v136, s14, v135
	v_add_nc_u32_e32 v44, s14, v40
	v_mad_u64_u32 v[32:33], null, s24, v37, v[0:1]
	v_mul_hi_u32 v0, v141, s0
	v_add_co_u32 v33, vcc_lo, s9, v30
	v_sub_nc_u32_e32 v36, v142, v35
	v_add_co_ci_u32_e64 v37, null, s25, v31, vcc_lo
	v_mov_b32_e32 v35, v32
	v_add_co_u32 v32, vcc_lo, v33, v11
	v_add_nc_u32_e32 v0, v141, v0
	v_mad_u64_u32 v[30:31], null, s8, v36, 0
	v_add_co_ci_u32_e64 v33, null, 0, v37, vcc_lo
	v_lshrrev_b32_e32 v37, s1, v0
	v_lshlrev_b64 v[34:35], 2, v[34:35]
	v_mul_hi_u32 v9, v136, s0
	buffer_store_dword v40, off, s[44:47], 0 offset:64 ; 4-byte Folded Spill
	v_mov_b32_e32 v0, v31
	v_mul_lo_u32 v31, v37, s2
	v_mul_hi_u32 v40, v44, s0
	buffer_store_dword v44, off, s[44:47], 0 offset:60 ; 4-byte Folded Spill
	v_mad_u64_u32 v[36:37], null, s24, v36, v[0:1]
	v_mul_hi_u32 v0, v138, s0
	v_add_co_u32 v37, vcc_lo, s15, v34
	v_sub_nc_u32_e32 v39, v141, v31
	v_add_co_ci_u32_e64 v38, null, s26, v35, vcc_lo
	v_mov_b32_e32 v31, v36
	v_add_co_u32 v36, vcc_lo, v37, v11
	v_mad_u64_u32 v[34:35], null, s8, v39, 0
	v_add_nc_u32_e32 v0, v138, v0
	v_add_co_ci_u32_e64 v37, null, 0, v38, vcc_lo
	v_add_nc_u32_e32 v9, v136, v9
	v_add_nc_u32_e32 v40, v44, v40
	v_lshrrev_b32_e32 v38, s1, v0
	v_mov_b32_e32 v0, v35
	v_lshlrev_b64 v[30:31], 2, v[30:31]
	v_lshrrev_b32_e32 v40, s1, v40
	v_mul_lo_u32 v35, v38, s2
	v_mad_u64_u32 v[38:39], null, s24, v39, v[0:1]
	v_lshrrev_b32_e32 v0, s1, v9
	v_add_co_u32 v9, vcc_lo, s9, v30
	v_add_co_ci_u32_e64 v39, null, s25, v31, vcc_lo
	v_sub_nc_u32_e32 v42, v138, v35
	v_mul_lo_u32 v0, v0, s2
	v_mov_b32_e32 v35, v38
	v_mul_lo_u32 v43, v40, s2
	v_add_co_u32 v38, vcc_lo, v9, v11
	v_mad_u64_u32 v[30:31], null, s8, v42, 0
	v_lshlrev_b64 v[34:35], 2, v[34:35]
	v_sub_nc_u32_e32 v9, v136, v0
	v_add_co_ci_u32_e64 v39, null, 0, v39, vcc_lo
	v_sub_nc_u32_e32 v46, v44, v43
	v_mov_b32_e32 v0, v31
	v_mad_u64_u32 v[40:41], null, s8, v9, 0
	v_add_co_u32 v31, vcc_lo, s15, v34
	v_add_co_ci_u32_e64 v45, null, s26, v35, vcc_lo
	v_mad_u64_u32 v[34:35], null, s24, v42, v[0:1]
	v_mad_u64_u32 v[42:43], null, s8, v46, 0
	v_mov_b32_e32 v0, v41
	v_add_co_u32 v44, vcc_lo, v31, v11
	v_add_co_ci_u32_e64 v45, null, 0, v45, vcc_lo
	v_mov_b32_e32 v31, v34
	v_mad_u64_u32 v[34:35], null, s24, v9, v[0:1]
	v_mov_b32_e32 v0, v43
	s_clause 0x3
	global_load_dwordx2 v[20:21], v[20:21], off
	global_load_dwordx2 v[32:33], v[32:33], off
	;; [unrolled: 1-line block ×4, first 2 shown]
	v_lshlrev_b64 v[30:31], 2, v[30:31]
	global_load_dwordx2 v[44:45], v[44:45], off
	s_load_dword s8, s[4:5], 0x40
	v_mad_u64_u32 v[46:47], null, s24, v46, v[0:1]
	v_mov_b32_e32 v41, v34
	v_add_co_u32 v0, vcc_lo, s9, v30
	v_add_co_ci_u32_e64 v9, null, s25, v31, vcc_lo
	v_lshlrev_b64 v[30:31], 2, v[40:41]
	v_mov_b32_e32 v43, v46
	v_add_co_u32 v39, vcc_lo, v0, v11
	v_add_co_ci_u32_e64 v40, null, 0, v9, vcc_lo
	v_lshlrev_b64 v[41:42], 2, v[42:43]
	v_add_co_u32 v0, vcc_lo, s15, v30
	v_add_co_ci_u32_e64 v9, null, s26, v31, vcc_lo
	v_add_co_u32 v34, vcc_lo, s9, v41
	v_add_co_ci_u32_e64 v42, null, s25, v42, vcc_lo
	;; [unrolled: 2-line block ×4, first 2 shown]
	s_clause 0x2
	global_load_dwordx2 v[39:40], v[39:40], off
	global_load_dwordx2 v[30:31], v[30:31], off
	;; [unrolled: 1-line block ×3, first 2 shown]
	v_lshl_or_b32 v0, v78, 2, 0x4400
	v_lshlrev_b32_e32 v9, 11, v1
	v_lshl_add_u32 v7, v7, 7, v0
	v_add_nc_u32_e32 v11, v0, v9
	v_lshl_add_u32 v8, v8, 7, v0
	v_lshl_add_u32 v10, v10, 7, v0
	;; [unrolled: 1-line block ×4, first 2 shown]
	s_waitcnt vmcnt(15) lgkmcnt(0)
	v_fma_mixlo_f16 v27, s8, v27, 0
	s_waitcnt vmcnt(14)
	v_fma_mixlo_f16 v17, s8, v17, 0
	v_fma_mixlo_f16 v26, s8, v26, 0
	;; [unrolled: 1-line block ×3, first 2 shown]
	s_waitcnt vmcnt(13)
	v_fma_mixlo_f16 v5, s8, v5, 0
	v_lshlrev_b32_e32 v27, 16, v27
	v_lshlrev_b32_e32 v17, 16, v17
	s_waitcnt vmcnt(12)
	v_fma_mixlo_f16 v3, s8, v3, 0
	v_fma_mixlo_f16 v4, s8, v4, 0
	;; [unrolled: 1-line block ×3, first 2 shown]
	v_or_b32_sdwa v26, v27, v26 dst_sel:DWORD dst_unused:UNUSED_PAD src0_sel:DWORD src1_sel:WORD_0
	v_or_b32_sdwa v16, v17, v16 dst_sel:DWORD dst_unused:UNUSED_PAD src0_sel:DWORD src1_sel:WORD_0
	v_lshlrev_b32_e32 v5, 16, v5
	v_lshlrev_b32_e32 v3, 16, v3
	ds_write2_b32 v11, v26, v16 offset1:32
	v_or_b32_sdwa v4, v5, v4 dst_sel:DWORD dst_unused:UNUSED_PAD src0_sel:DWORD src1_sel:WORD_0
	v_or_b32_sdwa v2, v3, v2 dst_sel:DWORD dst_unused:UNUSED_PAD src0_sel:DWORD src1_sel:WORD_0
	s_waitcnt vmcnt(11)
	v_fma_mixlo_f16 v17, s8, v18, 0
	v_fma_mixlo_f16 v18, s8, v19, 0
	s_waitcnt vmcnt(10)
	v_fma_mixlo_f16 v19, s8, v22, 0
	v_fma_mixlo_f16 v22, s8, v23, 0
	;; [unrolled: 3-line block ×3, first 2 shown]
	v_lshlrev_b32_e32 v11, 16, v18
	v_lshlrev_b32_e32 v16, 16, v22
	;; [unrolled: 1-line block ×3, first 2 shown]
	v_or_b32_sdwa v3, v11, v17 dst_sel:DWORD dst_unused:UNUSED_PAD src0_sel:DWORD src1_sel:WORD_0
	ds_write_b32 v7, v4
	ds_write_b32 v8, v2
	ds_write_b32 v10, v3
	s_waitcnt vmcnt(8)
	v_fma_mixlo_f16 v2, s8, v29, 0
	v_or_b32_sdwa v5, v16, v19 dst_sel:DWORD dst_unused:UNUSED_PAD src0_sel:DWORD src1_sel:WORD_0
	v_or_b32_sdwa v11, v18, v23 dst_sel:DWORD dst_unused:UNUSED_PAD src0_sel:DWORD src1_sel:WORD_0
	v_fma_mixlo_f16 v3, s8, v28, 0
	ds_write_b32 v12, v5
	ds_write_b32 v13, v11
	v_lshlrev_b32_e32 v2, 16, v2
	v_lshl_add_u32 v5, v14, 7, v0
	v_lshl_add_u32 v10, v15, 7, v0
	v_or_b32_sdwa v2, v2, v3 dst_sel:DWORD dst_unused:UNUSED_PAD src0_sel:DWORD src1_sel:WORD_0
	s_waitcnt vmcnt(7)
	v_fma_mixlo_f16 v4, s8, v21, 0
	s_waitcnt vmcnt(6)
	v_fma_mixlo_f16 v7, s8, v33, 0
	v_fma_mixlo_f16 v8, s8, v20, 0
	;; [unrolled: 1-line block ×3, first 2 shown]
	s_waitcnt vmcnt(5)
	v_fma_mixlo_f16 v11, s8, v36, 0
	v_lshlrev_b32_e32 v4, 16, v4
	v_lshlrev_b32_e32 v7, 16, v7
	v_or_b32_sdwa v4, v4, v8 dst_sel:DWORD dst_unused:UNUSED_PAD src0_sel:DWORD src1_sel:WORD_0
	v_lshl_add_u32 v8, v48, 7, v0
	v_or_b32_sdwa v3, v7, v3 dst_sel:DWORD dst_unused:UNUSED_PAD src0_sel:DWORD src1_sel:WORD_0
	ds_write_b32 v5, v2
	ds_write_b32 v10, v4
	v_fma_mixlo_f16 v2, s8, v35, 0
	v_lshlrev_b32_e32 v4, 16, v11
	s_waitcnt vmcnt(3)
	v_fma_mixlo_f16 v7, s8, v45, 0
	ds_write_b32 v8, v3
	v_lshl_add_u32 v5, v49, 7, v0
	v_fma_mixlo_f16 v8, s8, v44, 0
	v_or_b32_sdwa v2, v4, v2 dst_sel:DWORD dst_unused:UNUSED_PAD src0_sel:DWORD src1_sel:WORD_0
	v_lshlrev_b32_e32 v7, 16, v7
	v_fma_mixlo_f16 v3, s8, v38, 0
	v_fma_mixlo_f16 v4, s8, v37, 0
	ds_write_b32 v5, v2
	v_or_b32_sdwa v5, v7, v8 dst_sel:DWORD dst_unused:UNUSED_PAD src0_sel:DWORD src1_sel:WORD_0
	v_lshlrev_b32_e32 v3, 16, v3
	v_lshl_add_u32 v2, v50, 7, v0
	v_lshl_add_u32 v8, v52, 7, v0
	v_or_b32_sdwa v3, v3, v4 dst_sel:DWORD dst_unused:UNUSED_PAD src0_sel:DWORD src1_sel:WORD_0
	v_lshl_add_u32 v4, v51, 7, v0
	s_waitcnt vmcnt(2)
	v_fma_mixlo_f16 v7, s8, v40, 0
	s_waitcnt vmcnt(1)
	v_fma_mixlo_f16 v10, s8, v31, 0
	;; [unrolled: 2-line block ×3, first 2 shown]
	v_fma_mixlo_f16 v11, s8, v39, 0
	v_fma_mixlo_f16 v13, s8, v30, 0
	v_lshlrev_b32_e32 v7, 16, v7
	v_lshlrev_b32_e32 v10, 16, v10
	v_fma_mixlo_f16 v14, s8, v41, 0
	v_lshlrev_b32_e32 v12, 16, v12
	v_or_b32_sdwa v7, v7, v11 dst_sel:DWORD dst_unused:UNUSED_PAD src0_sel:DWORD src1_sel:WORD_0
	v_lshl_add_u32 v11, v53, 7, v0
	v_or_b32_sdwa v10, v10, v13 dst_sel:DWORD dst_unused:UNUSED_PAD src0_sel:DWORD src1_sel:WORD_0
	v_lshl_add_u32 v0, v54, 7, v0
	v_or_b32_sdwa v12, v12, v14 dst_sel:DWORD dst_unused:UNUSED_PAD src0_sel:DWORD src1_sel:WORD_0
	ds_write_b32 v2, v3
	ds_write_b32 v4, v5
	;; [unrolled: 1-line block ×5, first 2 shown]
	s_waitcnt lgkmcnt(0)
	s_waitcnt_vscnt null, 0x0
	s_barrier
	buffer_gl0_inv
	s_cbranch_scc1 .LBB33_4
; %bb.3:
	s_load_dword s8, s[4:5], 0xd0
	s_mov_b32 s9, 0
	s_waitcnt lgkmcnt(0)
	s_mul_i32 s8, s8, s7
	s_add_i32 s8, s8, s6
	s_lshl_b64 s[8:9], s[8:9], 2
	s_add_u32 s8, s18, s8
	s_addc_u32 s9, s19, s9
	s_load_dword s34, s[8:9], 0x0
.LBB33_4:
	v_mbcnt_lo_u32_b32 v119, -1, 0
	s_lshl_b32 s6, s28, 6
	s_waitcnt lgkmcnt(0)
	s_cmp_lt_i32 s6, s34
	s_cbranch_scc1 .LBB33_7
; %bb.5:
	v_mbcnt_lo_u32_b32 v17, -1, 0
	v_mov_b32_e32 v23, 32
	v_xor_b32_e32 v126, 16, v17
	v_xor_b32_e32 v127, 8, v17
	;; [unrolled: 1-line block ×5, first 2 shown]
	s_cbranch_execz .LBB33_8
; %bb.6:
	v_mov_b32_e32 v1, 0xfeffffff
	v_mov_b32_e32 v172, 0
	;; [unrolled: 1-line block ×48, first 2 shown]
	s_branch .LBB33_11
.LBB33_7:
                                        ; implicit-def: $vgpr17
                                        ; implicit-def: $vgpr23
                                        ; implicit-def: $vgpr126
                                        ; implicit-def: $vgpr127
                                        ; implicit-def: $vgpr124
                                        ; implicit-def: $vgpr125
                                        ; implicit-def: $vgpr122
.LBB33_8:
	v_lshrrev_b32_e32 v0, 3, v78
	v_add_nc_u32_e32 v12, 2, v179
	v_add_nc_u32_e32 v14, 3, v179
	buffer_store_dword v178, off, s[44:47], 0 offset:172 ; 4-byte Folded Spill
	buffer_store_dword v177, off, s[44:47], 0 offset:168 ; 4-byte Folded Spill
	;; [unrolled: 1-line block ×27, first 2 shown]
	s_clause 0x1
	s_load_dwordx4 s[24:27], s[4:5], 0x98
	s_load_dwordx2 s[18:19], s[4:5], 0x8c
	v_lshl_add_u32 v0, v1, 2, v0
	v_add_nc_u32_e32 v1, 1, v179
	v_mul_hi_u32 v11, s0, v12
	v_mul_hi_u32 v16, s0, v14
	s_ashr_i32 s15, s39, 1
	v_add_nc_u32_e32 v18, 4, v179
	v_mul_hi_u32 v5, s0, v1
	v_add_nc_u32_e32 v19, 5, v179
	v_mul_lo_u32 v6, v6, s15
	v_add_nc_u32_e32 v21, 6, v179
	v_add_nc_u32_e32 v17, v12, v11
	;; [unrolled: 1-line block ×3, first 2 shown]
	v_mul_hi_u32 v23, s0, v18
	v_mul_hi_u32 v24, s0, v19
	v_add_nc_u32_e32 v15, v1, v5
	v_lshrrev_b32_e32 v17, s1, v17
	v_lshrrev_b32_e32 v16, s1, v16
	buffer_store_dword v6, off, s[44:47], 0 ; 4-byte Folded Spill
	s_sub_i32 s8, 0, s29
	v_lshrrev_b32_e32 v15, s1, v15
	v_mul_lo_u32 v17, v17, s2
	v_mul_lo_u32 v6, v16, s2
	s_mul_i32 s8, s8, s33
	v_mul_hi_u32 v25, s0, v21
	v_mul_lo_u32 v15, v15, s2
	v_add_nc_u32_e32 v16, v19, v24
	s_mul_hi_u32 s8, s33, s8
	s_ashr_i32 s39, s7, 31
	v_sub_nc_u32_e32 v17, v12, v17
	v_add_nc_u32_e32 v22, 7, v179
	s_abs_i32 s35, s30
	s_add_i32 s33, s33, s8
	v_sub_nc_u32_e32 v1, v1, v15
	v_add_nc_u32_e32 v15, v18, v23
	s_waitcnt lgkmcnt(0)
	s_ashr_i32 s8, s26, 2
	s_ashr_i32 s9, s18, 2
	s_mul_hi_u32 s18, s24, s7
	v_mul_lo_u32 v1, v1, s15
	s_mul_i32 s26, s24, s39
	v_lshrrev_b32_e32 v12, s1, v15
	v_lshrrev_b32_e32 v15, s1, v16
	v_sub_nc_u32_e32 v6, v14, v6
	s_mul_hi_u32 s33, s35, s33
	s_mul_i32 s25, s25, s7
	s_add_i32 s18, s18, s26
	buffer_store_dword v1, off, s[44:47], 0 offset:4 ; 4-byte Folded Spill
	v_mul_lo_u32 v1, v17, s15
	s_mul_i32 s24, s24, s7
	s_ashr_i32 s38, s30, 31
	s_ashr_i32 s31, s31, 31
	s_load_dwordx2 s[40:41], s[4:5], 0xa8
	s_mul_i32 s42, s33, s29
	s_add_i32 s18, s18, s25
	v_mul_hi_u32 v26, s0, v22
	v_add_nc_u32_e32 v23, v21, v25
	s_add_u32 s10, s10, s24
	s_addc_u32 s11, s11, s18
	s_sub_i32 s24, s35, s42
	v_mul_lo_u32 v14, v12, s2
	v_mul_lo_u32 v15, v15, s2
	buffer_store_dword v1, off, s[44:47], 0 offset:8 ; 4-byte Folded Spill
	v_mul_lo_u32 v1, v6, s15
	s_xor_b32 s18, s38, s31
	s_add_i32 s25, s33, 1
	s_sub_i32 s26, s24, s29
	s_cmp_ge_u32 s24, s29
	v_lshrrev_b32_e32 v16, s1, v23
	s_cselect_b32 s25, s25, s33
	s_cselect_b32 s24, s26, s24
	v_add_nc_u32_e32 v24, v22, v26
	s_add_i32 s26, s25, 1
	s_cmp_ge_u32 s24, s29
	v_mul_lo_u32 v16, v16, s2
	buffer_store_dword v1, off, s[44:47], 0 offset:12 ; 4-byte Folded Spill
	v_sub_nc_u32_e32 v1, v18, v14
	v_sub_nc_u32_e32 v6, v19, v15
	s_cselect_b32 s24, s26, s25
	v_lshrrev_b32_e32 v23, s1, v24
	s_xor_b32 s24, s24, s18
	v_mul_lo_u32 v86, v1, s15
	v_mul_lo_u32 v1, v6, s15
	s_sub_i32 s18, s24, s18
	v_mul_lo_u32 v23, v23, s2
	s_mul_i32 s19, s18, s19
	v_sub_nc_u32_e32 v15, v21, v16
	s_waitcnt lgkmcnt(0)
	s_mul_hi_u32 s25, s40, s7
	s_mul_i32 s24, s40, s39
	s_ashr_i32 s29, s19, 31
	v_mul_lo_u32 v2, s9, v0
	s_add_u32 s10, s10, s19
	s_mul_i32 s26, s41, s7
	s_addc_u32 s11, s11, s29
	s_add_i32 s19, s25, s24
	s_mul_i32 s24, s40, s7
	buffer_store_dword v1, off, s[44:47], 0 offset:16 ; 4-byte Folded Spill
	v_mul_lo_u32 v1, v15, s15
	s_add_i32 s19, s19, s26
	s_mul_i32 s18, s18, s27
	s_add_u32 s12, s12, s24
	s_addc_u32 s13, s13, s19
	s_ashr_i32 s19, s18, 31
	v_sub_nc_u32_e32 v17, v22, v23
	s_add_u32 s12, s12, s18
	s_addc_u32 s13, s13, s19
	s_lshl_b32 s18, s9, 4
	v_ashrrev_i32_e32 v3, 31, v2
	v_add_nc_u32_e32 v4, s18, v2
	buffer_store_dword v1, off, s[44:47], 0 offset:20 ; 4-byte Folded Spill
	v_mul_lo_u32 v1, v17, s15
	v_mul_lo_u32 v12, s8, v0
	v_lshlrev_b64 v[2:3], 2, v[2:3]
	v_ashrrev_i32_e32 v5, 31, v4
	v_add_nc_u32_e32 v7, s18, v4
	s_lshl_b32 s0, s8, 4
	buffer_store_dword v179, off, s[44:47], 0 offset:176 ; 4-byte Folded Spill
	v_lshlrev_b32_e32 v123, 2, v78
	buffer_store_dword v1, off, s[44:47], 0 offset:24 ; 4-byte Folded Spill
	buffer_store_dword v2, off, s[44:47], 0 offset:28 ; 4-byte Folded Spill
	;; [unrolled: 1-line block ×3, first 2 shown]
	v_add_nc_u32_e32 v14, s0, v12
	v_lshlrev_b64 v[2:3], 2, v[4:5]
	v_ashrrev_i32_e32 v8, 31, v7
	v_add_nc_u32_e32 v10, s18, v7
	v_and_b32_e32 v20, 28, v123
	v_add_nc_u32_e32 v16, s0, v14
	buffer_store_dword v2, off, s[44:47], 0 offset:36 ; 4-byte Folded Spill
	buffer_store_dword v3, off, s[44:47], 0 offset:40 ; 4-byte Folded Spill
	v_lshlrev_b64 v[2:3], 2, v[7:8]
	v_ashrrev_i32_e32 v11, 31, v10
	v_lshlrev_b32_e32 v13, 2, v20
	v_add_nc_u32_e32 v18, s0, v16
	buffer_store_dword v2, off, s[44:47], 0 offset:44 ; 4-byte Folded Spill
	buffer_store_dword v3, off, s[44:47], 0 offset:48 ; 4-byte Folded Spill
	v_lshlrev_b64 v[2:3], 2, v[10:11]
	v_mad_u32_u24 v128, 0x90, v0, v13
	v_lshl_or_b32 v139, v0, 7, v13
	v_ashrrev_i32_e32 v13, 31, v12
	v_ashrrev_i32_e32 v15, 31, v14
	;; [unrolled: 1-line block ×4, first 2 shown]
	v_add_nc_u32_e32 v140, 0x2400, v9
	v_lshlrev_b32_e32 v0, 4, v78
	buffer_store_dword v2, off, s[44:47], 0 offset:52 ; 4-byte Folded Spill
	buffer_store_dword v3, off, s[44:47], 0 offset:56 ; 4-byte Folded Spill
	v_lshlrev_b64 v[105:106], 2, v[12:13]
	v_lshlrev_b64 v[148:149], 2, v[14:15]
	;; [unrolled: 1-line block ×4, first 2 shown]
	v_mov_b32_e32 v151, 0
	v_add_nc_u32_e32 v129, 0x4400, v9
	v_mul_u32_u24_e32 v130, 0x90, v78
	v_mov_b32_e32 v1, 0xfeffffff
	v_lshlrev_b32_e32 v141, 2, v20
	v_xor_b32_e32 v126, 16, v119
	v_xor_b32_e32 v127, 8, v119
	;; [unrolled: 1-line block ×5, first 2 shown]
	v_add_nc_u32_e32 v142, v140, v0
	v_mov_b32_e32 v143, 0x10001
	v_add_nc_u32_e32 v0, 0x400, v123
	v_add_nc_u32_e32 v111, 0x800, v123
	;; [unrolled: 1-line block ×7, first 2 shown]
	v_mov_b32_e32 v152, 0
	v_mov_b32_e32 v153, 0
	;; [unrolled: 1-line block ×46, first 2 shown]
	s_add_u32 s0, s4, 0xd0
	s_addc_u32 s1, s5, 0
.LBB33_9:                               ; =>This Inner Loop Header: Depth=1
	v_mov_b32_e32 v96, v2
	v_mov_b32_e32 v99, v1
	s_clause 0x1
	buffer_load_dword v1, off, s[44:47], 0 offset:28
	buffer_load_dword v2, off, s[44:47], 0 offset:32
	s_mul_hi_i32 s19, s6, s9
	s_mul_i32 s18, s6, s9
	v_mov_b32_e32 v89, v4
	s_lshl_b64 s[18:19], s[18:19], 2
	v_mov_b32_e32 v93, v3
	s_add_u32 s15, s10, s18
	s_addc_u32 s18, s11, s19
	v_mov_b32_e32 v190, v5
	v_add_nc_u32_e32 v5, 0x900, v128
	v_mov_b32_e32 v163, v39
	v_mov_b32_e32 v165, v38
	;; [unrolled: 1-line block ×42, first 2 shown]
	s_mul_hi_i32 s19, s6, s8
	s_waitcnt vmcnt(1)
	v_add_co_u32 v1, vcc_lo, s15, v1
	s_waitcnt vmcnt(0)
	v_add_co_ci_u32_e64 v2, null, s18, v2, vcc_lo
	v_add_co_u32 v1, vcc_lo, v1, v141
	v_add_co_ci_u32_e64 v2, null, 0, v2, vcc_lo
	global_load_dwordx4 v[1:4], v[1:2], off
	s_waitcnt vmcnt(0)
	ds_write_b128 v128, v[1:4]
	s_clause 0x1
	buffer_load_dword v1, off, s[44:47], 0 offset:36
	buffer_load_dword v2, off, s[44:47], 0 offset:40
	s_waitcnt vmcnt(1)
	v_add_co_u32 v1, vcc_lo, s15, v1
	s_waitcnt vmcnt(0)
	v_add_co_ci_u32_e64 v2, null, s18, v2, vcc_lo
	v_add_co_u32 v1, vcc_lo, v1, v141
	v_add_co_ci_u32_e64 v2, null, 0, v2, vcc_lo
	global_load_dwordx4 v[1:4], v[1:2], off
	s_waitcnt vmcnt(0)
	ds_write_b128 v5, v[1:4]
	s_clause 0x1
	buffer_load_dword v1, off, s[44:47], 0 offset:44
	buffer_load_dword v2, off, s[44:47], 0 offset:48
	v_add_nc_u32_e32 v5, 0x1200, v128
	s_waitcnt vmcnt(1)
	v_add_co_u32 v1, vcc_lo, s15, v1
	s_waitcnt vmcnt(0)
	v_add_co_ci_u32_e64 v2, null, s18, v2, vcc_lo
	v_add_co_u32 v1, vcc_lo, v1, v141
	v_add_co_ci_u32_e64 v2, null, 0, v2, vcc_lo
	global_load_dwordx4 v[1:4], v[1:2], off
	s_waitcnt vmcnt(0)
	ds_write_b128 v5, v[1:4]
	s_clause 0x1
	buffer_load_dword v1, off, s[44:47], 0 offset:52
	buffer_load_dword v2, off, s[44:47], 0 offset:56
	v_add_nc_u32_e32 v5, 0x1b00, v128
	s_waitcnt vmcnt(1)
	v_add_co_u32 v1, vcc_lo, s15, v1
	s_waitcnt vmcnt(0)
	v_add_co_ci_u32_e64 v2, null, s18, v2, vcc_lo
	s_mul_i32 s18, s6, s8
	v_add_co_u32 v1, vcc_lo, v1, v141
	v_add_co_ci_u32_e64 v2, null, 0, v2, vcc_lo
	v_cmp_gt_i32_e32 vcc_lo, 32, v126
	s_lshl_b64 s[18:19], s[18:19], 2
	global_load_dwordx4 v[1:4], v[1:2], off
	s_add_u32 s15, s12, s18
	s_addc_u32 s18, s13, s19
	s_waitcnt vmcnt(0)
	ds_write_b128 v5, v[1:4]
	s_waitcnt lgkmcnt(0)
	s_waitcnt_vscnt null, 0x0
	s_barrier
	buffer_gl0_inv
	ds_read_b128 v[69:72], v130
	ds_read_b128 v[1:4], v130 offset:4608
	ds_read_b128 v[65:68], v129
	ds_read_b128 v[61:64], v129 offset:128
	ds_read_b128 v[57:60], v129 offset:256
	;; [unrolled: 1-line block ×15, first 2 shown]
	s_waitcnt lgkmcnt(15)
	;;#ASMSTART
	v_dot2_f32_f16 v100, v69, v65, v100
	;;#ASMEND
	;;#ASMSTART
	v_dot2_f32_f16 v100, v70, v66, v100
	;;#ASMEND
	;;#ASMSTART
	v_dot2_f32_f16 v100, v71, v67, v100
	;;#ASMEND
	;;#ASMSTART
	v_dot2_f32_f16 v100, v72, v68, v100
	;;#ASMEND
	s_waitcnt lgkmcnt(14)
	;;#ASMSTART
	v_dot2_f32_f16 v103, v69, v61, v103
	;;#ASMEND
	;;#ASMSTART
	v_dot2_f32_f16 v103, v70, v62, v103
	;;#ASMEND
	;;#ASMSTART
	v_dot2_f32_f16 v103, v71, v63, v103
	;;#ASMEND
	;;#ASMSTART
	v_dot2_f32_f16 v103, v72, v64, v103
	;;#ASMEND
	;; [unrolled: 13-line block ×15, first 2 shown]
	s_waitcnt lgkmcnt(0)
	;;#ASMSTART
	v_dot2_f32_f16 v102, v69, v5, v102
	;;#ASMEND
	;;#ASMSTART
	v_dot2_f32_f16 v102, v70, v6, v102
	;;#ASMEND
	;;#ASMSTART
	v_dot2_f32_f16 v102, v71, v7, v102
	;;#ASMEND
	v_mov_b32_e32 v69, 0
	;;#ASMSTART
	v_dot2_f32_f16 v102, v72, v8, v102
	;;#ASMEND
	;;#ASMSTART
	v_dot2_f32_f16 v69, v1, v65, v69
	;;#ASMEND
	;;#ASMSTART
	v_dot2_f32_f16 v69, v2, v66, v69
	;;#ASMEND
	;;#ASMSTART
	v_dot2_f32_f16 v69, v3, v67, v69
	;;#ASMEND
	v_mov_b32_e32 v65, 0
	;;#ASMSTART
	v_dot2_f32_f16 v69, v4, v68, v69
	;;#ASMEND
	;; [unrolled: 13-line block ×4, first 2 shown]
	;;#ASMSTART
	v_dot2_f32_f16 v57, v1, v53, v57
	;;#ASMEND
	;;#ASMSTART
	v_dot2_f32_f16 v57, v2, v54, v57
	;;#ASMEND
	;; [unrolled: 3-line block ×4, first 2 shown]
	v_mov_b32_e32 v56, 0
	;;#ASMSTART
	v_dot2_f32_f16 v56, v1, v49, v56
	;;#ASMEND
	;;#ASMSTART
	v_dot2_f32_f16 v56, v2, v50, v56
	;;#ASMEND
	;;#ASMSTART
	v_dot2_f32_f16 v56, v3, v51, v56
	;;#ASMEND
	v_mov_b32_e32 v55, 0
	;;#ASMSTART
	v_dot2_f32_f16 v56, v4, v52, v56
	;;#ASMEND
	;;#ASMSTART
	v_dot2_f32_f16 v55, v1, v45, v55
	;;#ASMEND
	;;#ASMSTART
	v_dot2_f32_f16 v55, v2, v46, v55
	;;#ASMEND
	;;#ASMSTART
	v_dot2_f32_f16 v55, v3, v47, v55
	;;#ASMEND
	v_mov_b32_e32 v53, 0
	;;#ASMSTART
	v_dot2_f32_f16 v55, v4, v48, v55
	;;#ASMEND
	;; [unrolled: 13-line block ×11, first 2 shown]
	;;#ASMSTART
	v_dot2_f32_f16 v45, v1, v5, v45
	;;#ASMEND
	;;#ASMSTART
	v_dot2_f32_f16 v45, v2, v6, v45
	;;#ASMEND
	;; [unrolled: 3-line block ×4, first 2 shown]
	ds_read_b128 v[131:134], v130 offset:16
	ds_read_b128 v[1:4], v130 offset:4624
	;; [unrolled: 1-line block ×6, first 2 shown]
	v_mov_b32_e32 v58, v78
	ds_read_b128 v[78:81], v129 offset:528
	ds_read_b128 v[82:85], v129 offset:656
	ds_read_b128 v[41:44], v129 offset:784
	ds_read_b128 v[37:40], v129 offset:912
	ds_read_b128 v[33:36], v129 offset:1040
	ds_read_b128 v[29:32], v129 offset:1168
	ds_read_b128 v[25:28], v129 offset:1296
	ds_read_b128 v[21:24], v129 offset:1424
	ds_read_b128 v[17:20], v129 offset:1552
	ds_read_b128 v[13:16], v129 offset:1680
	ds_read_b128 v[9:12], v129 offset:1808
	ds_read_b128 v[5:8], v129 offset:1936
	s_waitcnt lgkmcnt(15)
	;;#ASMSTART
	v_dot2_f32_f16 v100, v131, v135, v100
	;;#ASMEND
	;;#ASMSTART
	v_dot2_f32_f16 v100, v132, v136, v100
	;;#ASMEND
	;;#ASMSTART
	v_dot2_f32_f16 v100, v133, v137, v100
	;;#ASMEND
	;;#ASMSTART
	v_dot2_f32_f16 v100, v134, v138, v100
	;;#ASMEND
	s_waitcnt lgkmcnt(14)
	;;#ASMSTART
	v_dot2_f32_f16 v103, v131, v144, v103
	;;#ASMEND
	;;#ASMSTART
	v_dot2_f32_f16 v103, v132, v145, v103
	;;#ASMEND
	;;#ASMSTART
	v_dot2_f32_f16 v103, v133, v146, v103
	;;#ASMEND
	;;#ASMSTART
	v_dot2_f32_f16 v103, v134, v147, v103
	;;#ASMEND
	;; [unrolled: 13-line block ×16, first 2 shown]
	;;#ASMSTART
	v_dot2_f32_f16 v69, v1, v135, v69
	;;#ASMEND
	;;#ASMSTART
	v_dot2_f32_f16 v69, v2, v136, v69
	;;#ASMEND
	;; [unrolled: 3-line block ×64, first 2 shown]
	ds_read_b128 v[70:73], v130 offset:32
	ds_read_b128 v[1:4], v130 offset:4640
	;; [unrolled: 1-line block ×18, first 2 shown]
	s_waitcnt lgkmcnt(15)
	;;#ASMSTART
	v_dot2_f32_f16 v100, v70, v74, v100
	;;#ASMEND
	;;#ASMSTART
	v_dot2_f32_f16 v100, v71, v75, v100
	;;#ASMEND
	;;#ASMSTART
	v_dot2_f32_f16 v100, v72, v76, v100
	;;#ASMEND
	;;#ASMSTART
	v_dot2_f32_f16 v100, v73, v77, v100
	;;#ASMEND
	s_waitcnt lgkmcnt(14)
	;;#ASMSTART
	v_dot2_f32_f16 v103, v70, v78, v103
	;;#ASMEND
	;;#ASMSTART
	v_dot2_f32_f16 v103, v71, v79, v103
	;;#ASMEND
	;;#ASMSTART
	v_dot2_f32_f16 v103, v72, v80, v103
	;;#ASMEND
	;;#ASMSTART
	v_dot2_f32_f16 v103, v73, v81, v103
	;;#ASMEND
	;; [unrolled: 13-line block ×16, first 2 shown]
	;;#ASMSTART
	v_dot2_f32_f16 v69, v1, v74, v69
	;;#ASMEND
	;;#ASMSTART
	v_dot2_f32_f16 v69, v2, v75, v69
	;;#ASMEND
	;; [unrolled: 3-line block ×64, first 2 shown]
	ds_read_b128 v[70:73], v130 offset:48
	ds_read_b128 v[1:4], v130 offset:4656
	;; [unrolled: 1-line block ×18, first 2 shown]
	s_waitcnt lgkmcnt(15)
	;;#ASMSTART
	v_dot2_f32_f16 v100, v70, v74, v100
	;;#ASMEND
	;;#ASMSTART
	v_dot2_f32_f16 v100, v71, v75, v100
	;;#ASMEND
	;;#ASMSTART
	v_dot2_f32_f16 v100, v72, v76, v100
	;;#ASMEND
	;;#ASMSTART
	v_dot2_f32_f16 v100, v73, v77, v100
	;;#ASMEND
	s_waitcnt lgkmcnt(14)
	;;#ASMSTART
	v_dot2_f32_f16 v103, v70, v78, v103
	;;#ASMEND
	;;#ASMSTART
	v_dot2_f32_f16 v103, v71, v79, v103
	;;#ASMEND
	;;#ASMSTART
	v_dot2_f32_f16 v103, v72, v80, v103
	;;#ASMEND
	;;#ASMSTART
	v_dot2_f32_f16 v103, v73, v81, v103
	;;#ASMEND
	;; [unrolled: 13-line block ×16, first 2 shown]
	;;#ASMSTART
	v_dot2_f32_f16 v69, v1, v74, v69
	;;#ASMEND
	;;#ASMSTART
	v_dot2_f32_f16 v69, v2, v75, v69
	;;#ASMEND
	;; [unrolled: 3-line block ×64, first 2 shown]
	ds_read_b128 v[70:73], v130 offset:64
	ds_read_b128 v[1:4], v130 offset:4672
	;; [unrolled: 1-line block ×18, first 2 shown]
	s_waitcnt lgkmcnt(15)
	;;#ASMSTART
	v_dot2_f32_f16 v100, v70, v74, v100
	;;#ASMEND
	;;#ASMSTART
	v_dot2_f32_f16 v100, v71, v75, v100
	;;#ASMEND
	;;#ASMSTART
	v_dot2_f32_f16 v100, v72, v76, v100
	;;#ASMEND
	;;#ASMSTART
	v_dot2_f32_f16 v100, v73, v77, v100
	;;#ASMEND
	s_waitcnt lgkmcnt(14)
	;;#ASMSTART
	v_dot2_f32_f16 v103, v70, v78, v103
	;;#ASMEND
	;;#ASMSTART
	v_dot2_f32_f16 v103, v71, v79, v103
	;;#ASMEND
	;;#ASMSTART
	v_dot2_f32_f16 v103, v72, v80, v103
	;;#ASMEND
	;;#ASMSTART
	v_dot2_f32_f16 v103, v73, v81, v103
	;;#ASMEND
	;; [unrolled: 13-line block ×16, first 2 shown]
	;;#ASMSTART
	v_dot2_f32_f16 v69, v1, v74, v69
	;;#ASMEND
	;;#ASMSTART
	v_dot2_f32_f16 v69, v2, v75, v69
	;;#ASMEND
	;; [unrolled: 3-line block ×64, first 2 shown]
	ds_read_b128 v[70:73], v130 offset:80
	ds_read_b128 v[1:4], v130 offset:4688
	;; [unrolled: 1-line block ×18, first 2 shown]
	s_waitcnt lgkmcnt(15)
	;;#ASMSTART
	v_dot2_f32_f16 v100, v70, v74, v100
	;;#ASMEND
	;;#ASMSTART
	v_dot2_f32_f16 v100, v71, v75, v100
	;;#ASMEND
	;;#ASMSTART
	v_dot2_f32_f16 v100, v72, v76, v100
	;;#ASMEND
	;;#ASMSTART
	v_dot2_f32_f16 v100, v73, v77, v100
	;;#ASMEND
	s_waitcnt lgkmcnt(14)
	;;#ASMSTART
	v_dot2_f32_f16 v103, v70, v78, v103
	;;#ASMEND
	;;#ASMSTART
	v_dot2_f32_f16 v103, v71, v79, v103
	;;#ASMEND
	;;#ASMSTART
	v_dot2_f32_f16 v103, v72, v80, v103
	;;#ASMEND
	;;#ASMSTART
	v_dot2_f32_f16 v103, v73, v81, v103
	;;#ASMEND
	;; [unrolled: 13-line block ×16, first 2 shown]
	;;#ASMSTART
	v_dot2_f32_f16 v69, v1, v74, v69
	;;#ASMEND
	;;#ASMSTART
	v_dot2_f32_f16 v69, v2, v75, v69
	;;#ASMEND
	;; [unrolled: 3-line block ×64, first 2 shown]
	ds_read_b128 v[70:73], v130 offset:96
	ds_read_b128 v[1:4], v130 offset:4704
	;; [unrolled: 1-line block ×18, first 2 shown]
	s_waitcnt lgkmcnt(15)
	;;#ASMSTART
	v_dot2_f32_f16 v100, v70, v74, v100
	;;#ASMEND
	;;#ASMSTART
	v_dot2_f32_f16 v100, v71, v75, v100
	;;#ASMEND
	;;#ASMSTART
	v_dot2_f32_f16 v100, v72, v76, v100
	;;#ASMEND
	;;#ASMSTART
	v_dot2_f32_f16 v100, v73, v77, v100
	;;#ASMEND
	s_waitcnt lgkmcnt(14)
	;;#ASMSTART
	v_dot2_f32_f16 v103, v70, v78, v103
	;;#ASMEND
	;;#ASMSTART
	v_dot2_f32_f16 v103, v71, v79, v103
	;;#ASMEND
	;;#ASMSTART
	v_dot2_f32_f16 v103, v72, v80, v103
	;;#ASMEND
	;;#ASMSTART
	v_dot2_f32_f16 v103, v73, v81, v103
	;;#ASMEND
	;; [unrolled: 13-line block ×16, first 2 shown]
	;;#ASMSTART
	v_dot2_f32_f16 v69, v1, v74, v69
	;;#ASMEND
	;;#ASMSTART
	v_dot2_f32_f16 v69, v2, v75, v69
	;;#ASMEND
	;; [unrolled: 3-line block ×64, first 2 shown]
	ds_read_b128 v[5:8], v130 offset:112
	ds_read_b128 v[1:4], v130 offset:4720
	;; [unrolled: 1-line block ×18, first 2 shown]
	s_waitcnt lgkmcnt(15)
	;;#ASMSTART
	v_dot2_f32_f16 v100, v5, v9, v100
	;;#ASMEND
	;;#ASMSTART
	v_dot2_f32_f16 v100, v6, v10, v100
	;;#ASMEND
	;;#ASMSTART
	v_dot2_f32_f16 v100, v7, v11, v100
	;;#ASMEND
	;;#ASMSTART
	v_dot2_f32_f16 v100, v8, v12, v100
	;;#ASMEND
	s_waitcnt lgkmcnt(14)
	;;#ASMSTART
	v_dot2_f32_f16 v103, v5, v13, v103
	;;#ASMEND
	;;#ASMSTART
	v_dot2_f32_f16 v103, v6, v14, v103
	;;#ASMEND
	;;#ASMSTART
	v_dot2_f32_f16 v103, v7, v15, v103
	;;#ASMEND
	;;#ASMSTART
	v_dot2_f32_f16 v103, v8, v16, v103
	;;#ASMEND
	;; [unrolled: 13-line block ×16, first 2 shown]
	;;#ASMSTART
	v_dot2_f32_f16 v69, v1, v9, v69
	;;#ASMEND
	;;#ASMSTART
	v_dot2_f32_f16 v69, v2, v10, v69
	;;#ASMEND
	;; [unrolled: 3-line block ×61, first 2 shown]
	v_cndmask_b32_e32 v1, v119, v126, vcc_lo
	v_cmp_gt_i32_e32 vcc_lo, 32, v127
	;;#ASMSTART
	v_dot2_f32_f16 v45, v2, v145, v45
	;;#ASMEND
	;;#ASMSTART
	v_dot2_f32_f16 v45, v3, v146, v45
	;;#ASMEND
	;; [unrolled: 3-line block ×3, first 2 shown]
	v_lshlrev_b32_e32 v16, 2, v1
	v_cndmask_b32_e32 v1, v119, v127, vcc_lo
	v_cmp_gt_i32_e32 vcc_lo, 32, v124
	v_mov_b32_e32 v78, v58
	v_lshlrev_b32_e32 v25, 2, v1
	v_cndmask_b32_e32 v1, v119, v124, vcc_lo
	v_cmp_gt_i32_e32 vcc_lo, 32, v125
	v_add_nc_u32_e32 v15, s6, v78
	v_lshlrev_b32_e32 v26, 2, v1
	v_cndmask_b32_e32 v1, v119, v125, vcc_lo
	v_cmp_gt_i32_e32 vcc_lo, 32, v122
	v_lshlrev_b32_e32 v27, 2, v1
	v_cndmask_b32_e32 v1, v119, v122, vcc_lo
	v_lshlrev_b32_e32 v28, 2, v1
	buffer_load_dword v1, off, s[44:47], 0  ; 4-byte Folded Reload
	s_waitcnt vmcnt(0)
	v_add_nc_u32_e32 v1, v15, v1
	v_ashrrev_i32_e32 v2, 31, v1
	v_lshlrev_b64 v[1:2], 1, v[1:2]
	v_add_co_u32 v1, vcc_lo, s36, v1
	v_add_co_ci_u32_e64 v2, null, s37, v2, vcc_lo
	s_clause 0x1
	global_load_ushort v3, v[1:2], off
	global_load_ushort v1, v[1:2], off offset:64
	s_waitcnt vmcnt(1)
	v_cvt_f32_f16_e32 v3, v3
	s_waitcnt vmcnt(0)
	v_cvt_f32_f16_e32 v2, v1
	v_add_f32_e32 v42, v103, v3
	v_add_f32_e32 v41, v65, v2
	v_add_f32_e32 v43, v100, v3
	v_add_f32_e32 v40, v69, v2
	v_add_f32_e32 v3, 0x40051340, v42
	v_add_f32_e32 v2, 0x40051340, v41
	v_add_f32_e32 v4, 0x40051340, v43
	v_add_f32_e32 v1, 0x40051340, v40
	v_max3_f32 v2, v96, v3, v2
	v_max3_f32 v1, v99, v4, v1
	ds_bpermute_b32 v3, v16, v2
	ds_bpermute_b32 v4, v16, v1
	s_waitcnt lgkmcnt(1)
	v_max_f32_e32 v3, v3, v3
	s_waitcnt lgkmcnt(0)
	v_max_f32_e32 v4, v4, v4
	v_max_f32_e32 v2, v2, v3
	v_max_f32_e32 v1, v1, v4
	ds_bpermute_b32 v3, v25, v2
	ds_bpermute_b32 v4, v25, v1
	s_waitcnt lgkmcnt(1)
	v_max_f32_e32 v3, v3, v3
	s_waitcnt lgkmcnt(0)
	v_max_f32_e32 v4, v4, v4
	v_max_f32_e32 v2, v2, v3
	v_max_f32_e32 v1, v1, v4
	;; [unrolled: 8-line block ×4, first 2 shown]
	ds_bpermute_b32 v3, v28, v2
	ds_bpermute_b32 v4, v28, v1
	s_waitcnt lgkmcnt(1)
	v_max_f32_e32 v3, v3, v3
	s_waitcnt lgkmcnt(0)
	v_max_f32_e32 v4, v4, v4
	v_max_f32_e32 v2, v2, v3
	buffer_load_dword v3, off, s[44:47], 0 offset:4 ; 4-byte Folded Reload
	v_max_f32_e32 v1, v1, v4
	s_waitcnt vmcnt(0)
	v_add_nc_u32_e32 v3, v15, v3
	v_ashrrev_i32_e32 v4, 31, v3
	v_lshlrev_b64 v[3:4], 1, v[3:4]
	v_add_co_u32 v3, vcc_lo, s36, v3
	v_add_co_ci_u32_e64 v4, null, s37, v4, vcc_lo
	s_clause 0x1
	global_load_ushort v5, v[3:4], off
	global_load_ushort v3, v[3:4], off offset:64
	s_waitcnt vmcnt(1)
	v_cvt_f32_f16_e32 v5, v5
	s_waitcnt vmcnt(0)
	v_cvt_f32_f16_e32 v4, v3
	v_add_f32_e32 v59, v97, v5
	v_add_f32_e32 v60, v57, v4
	;; [unrolled: 1-line block ×8, first 2 shown]
	v_max3_f32 v4, v89, v5, v4
	v_max3_f32 v3, v93, v6, v3
	ds_bpermute_b32 v5, v16, v4
	ds_bpermute_b32 v6, v16, v3
	s_waitcnt lgkmcnt(1)
	v_max_f32_e32 v5, v5, v5
	s_waitcnt lgkmcnt(0)
	v_max_f32_e32 v6, v6, v6
	v_max_f32_e32 v4, v4, v5
	v_max_f32_e32 v3, v3, v6
	ds_bpermute_b32 v5, v25, v4
	ds_bpermute_b32 v6, v25, v3
	s_waitcnt lgkmcnt(1)
	v_max_f32_e32 v5, v5, v5
	s_waitcnt lgkmcnt(0)
	v_max_f32_e32 v6, v6, v6
	v_max_f32_e32 v4, v4, v5
	v_max_f32_e32 v3, v3, v6
	;; [unrolled: 8-line block ×4, first 2 shown]
	ds_bpermute_b32 v5, v28, v4
	ds_bpermute_b32 v6, v28, v3
	s_waitcnt lgkmcnt(1)
	v_max_f32_e32 v5, v5, v5
	s_waitcnt lgkmcnt(0)
	v_max_f32_e32 v6, v6, v6
	v_max_f32_e32 v4, v4, v5
	buffer_load_dword v5, off, s[44:47], 0 offset:8 ; 4-byte Folded Reload
	v_max_f32_e32 v3, v3, v6
	s_waitcnt vmcnt(0)
	v_add_nc_u32_e32 v5, v15, v5
	v_ashrrev_i32_e32 v6, 31, v5
	v_lshlrev_b64 v[5:6], 1, v[5:6]
	v_add_co_u32 v5, vcc_lo, s36, v5
	v_add_co_ci_u32_e64 v6, null, s37, v6, vcc_lo
	s_clause 0x1
	global_load_ushort v7, v[5:6], off
	global_load_ushort v5, v[5:6], off offset:64
	s_waitcnt vmcnt(1)
	v_cvt_f32_f16_e32 v7, v7
	s_waitcnt vmcnt(0)
	v_cvt_f32_f16_e32 v6, v5
	v_add_f32_e32 v44, v94, v7
	v_add_f32_e32 v29, v56, v6
	;; [unrolled: 1-line block ×8, first 2 shown]
	v_max3_f32 v5, v190, v8, v5
	v_max3_f32 v6, v188, v7, v6
	ds_bpermute_b32 v8, v16, v5
	ds_bpermute_b32 v7, v16, v6
	s_waitcnt lgkmcnt(1)
	v_max_f32_e32 v8, v8, v8
	s_waitcnt lgkmcnt(0)
	v_max_f32_e32 v7, v7, v7
	v_max_f32_e32 v5, v5, v8
	v_max_f32_e32 v6, v6, v7
	ds_bpermute_b32 v8, v25, v5
	ds_bpermute_b32 v7, v25, v6
	s_waitcnt lgkmcnt(1)
	v_max_f32_e32 v8, v8, v8
	s_waitcnt lgkmcnt(0)
	v_max_f32_e32 v7, v7, v7
	v_max_f32_e32 v5, v5, v8
	v_max_f32_e32 v6, v6, v7
	ds_bpermute_b32 v8, v26, v5
	ds_bpermute_b32 v7, v26, v6
	s_waitcnt lgkmcnt(1)
	v_max_f32_e32 v8, v8, v8
	s_waitcnt lgkmcnt(0)
	v_max_f32_e32 v7, v7, v7
	v_max_f32_e32 v5, v5, v8
	v_max_f32_e32 v6, v6, v7
	ds_bpermute_b32 v8, v27, v5
	ds_bpermute_b32 v7, v27, v6
	s_waitcnt lgkmcnt(1)
	v_max_f32_e32 v8, v8, v8
	s_waitcnt lgkmcnt(0)
	v_max_f32_e32 v7, v7, v7
	v_max_f32_e32 v5, v5, v8
	v_max_f32_e32 v6, v6, v7
	ds_bpermute_b32 v8, v28, v5
	ds_bpermute_b32 v7, v28, v6
	s_waitcnt lgkmcnt(1)
	v_max_f32_e32 v8, v8, v8
	s_waitcnt lgkmcnt(0)
	v_max_f32_e32 v7, v7, v7
	v_max_f32_e32 v5, v5, v8
	v_max_f32_e32 v6, v6, v7
	buffer_load_dword v7, off, s[44:47], 0 offset:12 ; 4-byte Folded Reload
	v_sub_f32_e32 v44, v44, v5
	v_sub_f32_e32 v29, v29, v5
	;; [unrolled: 1-line block ×3, first 2 shown]
	s_waitcnt vmcnt(0)
	v_add_nc_u32_e32 v7, v15, v7
	v_ashrrev_i32_e32 v8, 31, v7
	v_lshlrev_b64 v[7:8], 1, v[7:8]
	v_add_co_u32 v7, vcc_lo, s36, v7
	v_add_co_ci_u32_e64 v8, null, s37, v8, vcc_lo
	s_clause 0x1
	global_load_ushort v9, v[7:8], off
	global_load_ushort v7, v[7:8], off offset:64
	s_waitcnt vmcnt(1)
	v_cvt_f32_f16_e32 v9, v9
	s_waitcnt vmcnt(0)
	v_cvt_f32_f16_e32 v8, v7
	v_add_f32_e32 v55, v90, v9
	v_add_f32_e32 v31, v53, v8
	;; [unrolled: 1-line block ×8, first 2 shown]
	v_max3_f32 v7, v186, v10, v7
	v_max3_f32 v8, v184, v9, v8
	ds_bpermute_b32 v10, v16, v7
	ds_bpermute_b32 v9, v16, v8
	s_waitcnt lgkmcnt(1)
	v_max_f32_e32 v10, v10, v10
	s_waitcnt lgkmcnt(0)
	v_max_f32_e32 v9, v9, v9
	v_max_f32_e32 v7, v7, v10
	v_max_f32_e32 v8, v8, v9
	ds_bpermute_b32 v10, v25, v7
	ds_bpermute_b32 v9, v25, v8
	s_waitcnt lgkmcnt(1)
	v_max_f32_e32 v10, v10, v10
	s_waitcnt lgkmcnt(0)
	v_max_f32_e32 v9, v9, v9
	v_max_f32_e32 v7, v7, v10
	v_max_f32_e32 v8, v8, v9
	ds_bpermute_b32 v10, v26, v7
	ds_bpermute_b32 v9, v26, v8
	s_waitcnt lgkmcnt(1)
	v_max_f32_e32 v10, v10, v10
	s_waitcnt lgkmcnt(0)
	v_max_f32_e32 v9, v9, v9
	v_max_f32_e32 v7, v7, v10
	v_max_f32_e32 v8, v8, v9
	ds_bpermute_b32 v10, v27, v7
	ds_bpermute_b32 v9, v27, v8
	s_waitcnt lgkmcnt(1)
	v_max_f32_e32 v10, v10, v10
	s_waitcnt lgkmcnt(0)
	v_max_f32_e32 v9, v9, v9
	v_max_f32_e32 v7, v7, v10
	v_max_f32_e32 v8, v8, v9
	ds_bpermute_b32 v10, v28, v7
	ds_bpermute_b32 v9, v28, v8
	s_waitcnt lgkmcnt(1)
	v_max_f32_e32 v10, v10, v10
	s_waitcnt lgkmcnt(0)
	v_max_f32_e32 v9, v9, v9
	v_max_f32_e32 v7, v7, v10
	v_max_f32_e32 v8, v8, v9
	v_add_nc_u32_e32 v9, v15, v86
	v_sub_f32_e32 v31, v31, v7
	v_sub_f32_e32 v53, v53, v8
	v_ashrrev_i32_e32 v10, 31, v9
	v_sub_f32_e32 v32, v32, v8
	v_lshlrev_b64 v[9:10], 1, v[9:10]
	v_add_co_u32 v9, vcc_lo, s36, v9
	v_add_co_ci_u32_e64 v10, null, s37, v10, vcc_lo
	s_clause 0x1
	global_load_ushort v11, v[9:10], off
	global_load_ushort v9, v[9:10], off offset:64
	s_waitcnt vmcnt(1)
	v_cvt_f32_f16_e32 v11, v11
	s_waitcnt vmcnt(0)
	v_cvt_f32_f16_e32 v10, v9
	v_add_f32_e32 v35, v112, v11
	v_add_f32_e32 v34, v51, v10
	;; [unrolled: 1-line block ×8, first 2 shown]
	v_max3_f32 v10, v180, v11, v10
	v_max3_f32 v9, v181, v12, v9
	ds_bpermute_b32 v11, v16, v10
	ds_bpermute_b32 v12, v16, v9
	s_waitcnt lgkmcnt(1)
	v_max_f32_e32 v11, v11, v11
	s_waitcnt lgkmcnt(0)
	v_max_f32_e32 v12, v12, v12
	v_max_f32_e32 v10, v10, v11
	v_max_f32_e32 v9, v9, v12
	ds_bpermute_b32 v11, v25, v10
	ds_bpermute_b32 v12, v25, v9
	s_waitcnt lgkmcnt(1)
	v_max_f32_e32 v11, v11, v11
	s_waitcnt lgkmcnt(0)
	v_max_f32_e32 v12, v12, v12
	v_max_f32_e32 v10, v10, v11
	v_max_f32_e32 v9, v9, v12
	;; [unrolled: 8-line block ×4, first 2 shown]
	ds_bpermute_b32 v11, v28, v10
	ds_bpermute_b32 v12, v28, v9
	s_waitcnt lgkmcnt(1)
	v_max_f32_e32 v11, v11, v11
	s_waitcnt lgkmcnt(0)
	v_max_f32_e32 v12, v12, v12
	v_max_f32_e32 v10, v10, v11
	buffer_load_dword v11, off, s[44:47], 0 offset:16 ; 4-byte Folded Reload
	v_max_f32_e32 v9, v9, v12
	v_sub_f32_e32 v35, v35, v10
	v_sub_f32_e32 v34, v34, v10
	;; [unrolled: 1-line block ×4, first 2 shown]
	s_waitcnt vmcnt(0)
	v_add_nc_u32_e32 v11, v15, v11
	v_ashrrev_i32_e32 v12, 31, v11
	v_lshlrev_b64 v[11:12], 1, v[11:12]
	v_add_co_u32 v11, vcc_lo, s36, v11
	v_add_co_ci_u32_e64 v12, null, s37, v12, vcc_lo
	s_clause 0x1
	global_load_ushort v13, v[11:12], off
	global_load_ushort v11, v[11:12], off offset:64
	s_waitcnt vmcnt(1)
	v_cvt_f32_f16_e32 v13, v13
	s_waitcnt vmcnt(0)
	v_cvt_f32_f16_e32 v12, v11
	v_add_f32_e32 v38, v108, v13
	v_add_f32_e32 v37, v50, v12
	v_add_f32_e32 v51, v110, v13
	v_add_f32_e32 v39, v49, v12
	v_add_f32_e32 v13, 0x40051340, v38
	v_add_f32_e32 v12, 0x40051340, v37
	v_add_f32_e32 v14, 0x40051340, v51
	v_add_f32_e32 v11, 0x40051340, v39
	v_max3_f32 v12, v176, v13, v12
	v_max3_f32 v11, v178, v14, v11
	ds_bpermute_b32 v13, v16, v12
	ds_bpermute_b32 v14, v16, v11
	s_waitcnt lgkmcnt(1)
	v_max_f32_e32 v13, v13, v13
	s_waitcnt lgkmcnt(0)
	v_max_f32_e32 v14, v14, v14
	v_max_f32_e32 v12, v12, v13
	v_max_f32_e32 v11, v11, v14
	ds_bpermute_b32 v13, v25, v12
	ds_bpermute_b32 v14, v25, v11
	s_waitcnt lgkmcnt(1)
	v_max_f32_e32 v13, v13, v13
	s_waitcnt lgkmcnt(0)
	v_max_f32_e32 v14, v14, v14
	v_max_f32_e32 v12, v12, v13
	v_max_f32_e32 v11, v11, v14
	;; [unrolled: 8-line block ×4, first 2 shown]
	ds_bpermute_b32 v13, v28, v12
	ds_bpermute_b32 v14, v28, v11
	s_waitcnt lgkmcnt(1)
	v_max_f32_e32 v13, v13, v13
	s_waitcnt lgkmcnt(0)
	v_max_f32_e32 v14, v14, v14
	v_max_f32_e32 v12, v12, v13
	buffer_load_dword v13, off, s[44:47], 0 offset:20 ; 4-byte Folded Reload
	v_max_f32_e32 v11, v11, v14
	v_sub_f32_e32 v37, v37, v12
	v_sub_f32_e32 v39, v39, v11
	s_waitcnt vmcnt(0)
	v_add_nc_u32_e32 v13, v15, v13
	v_ashrrev_i32_e32 v14, 31, v13
	v_lshlrev_b64 v[13:14], 1, v[13:14]
	v_add_co_u32 v13, vcc_lo, s36, v13
	v_add_co_ci_u32_e64 v14, null, s37, v14, vcc_lo
	s_clause 0x1
	global_load_ushort v17, v[13:14], off
	global_load_ushort v13, v[13:14], off offset:64
	s_waitcnt vmcnt(1)
	v_cvt_f32_f16_e32 v17, v17
	s_waitcnt vmcnt(0)
	v_cvt_f32_f16_e32 v14, v13
	v_add_f32_e32 v22, v104, v17
	v_add_f32_e32 v21, v47, v14
	;; [unrolled: 1-line block ×8, first 2 shown]
	v_max3_f32 v14, v168, v17, v14
	v_max3_f32 v13, v174, v18, v13
	ds_bpermute_b32 v17, v16, v14
	ds_bpermute_b32 v18, v16, v13
	s_waitcnt lgkmcnt(1)
	v_max_f32_e32 v17, v17, v17
	s_waitcnt lgkmcnt(0)
	v_max_f32_e32 v18, v18, v18
	v_max_f32_e32 v14, v14, v17
	v_max_f32_e32 v13, v13, v18
	ds_bpermute_b32 v17, v25, v14
	ds_bpermute_b32 v18, v25, v13
	s_waitcnt lgkmcnt(1)
	v_max_f32_e32 v17, v17, v17
	s_waitcnt lgkmcnt(0)
	v_max_f32_e32 v18, v18, v18
	v_max_f32_e32 v14, v14, v17
	v_max_f32_e32 v13, v13, v18
	;; [unrolled: 8-line block ×4, first 2 shown]
	ds_bpermute_b32 v17, v28, v14
	ds_bpermute_b32 v18, v28, v13
	s_waitcnt lgkmcnt(1)
	v_max_f32_e32 v17, v17, v17
	s_waitcnt lgkmcnt(0)
	v_max_f32_e32 v18, v18, v18
	v_max_f32_e32 v14, v14, v17
	buffer_load_dword v17, off, s[44:47], 0 offset:24 ; 4-byte Folded Reload
	v_max_f32_e32 v13, v13, v18
	v_sub_f32_e32 v22, v22, v14
	v_sub_f32_e32 v21, v21, v14
	;; [unrolled: 1-line block ×4, first 2 shown]
	s_waitcnt vmcnt(0)
	v_add_nc_u32_e32 v17, v15, v17
	v_ashrrev_i32_e32 v18, 31, v17
	v_lshlrev_b64 v[17:18], 1, v[17:18]
	v_add_co_u32 v17, vcc_lo, s36, v17
	v_add_co_ci_u32_e64 v18, null, s37, v18, vcc_lo
	s_clause 0x1
	global_load_ushort v15, v[17:18], off
	global_load_ushort v17, v[17:18], off offset:64
	s_waitcnt vmcnt(0)
	s_barrier
	buffer_gl0_inv
	v_cvt_f32_f16_e32 v47, v15
	v_cvt_f32_f16_e32 v17, v17
	v_add_f32_e32 v20, v101, v47
	v_add_f32_e32 v19, v46, v17
	;; [unrolled: 1-line block ×6, first 2 shown]
	v_max3_f32 v15, v166, v15, v18
	ds_bpermute_b32 v18, v16, v15
	s_waitcnt lgkmcnt(0)
	v_max_f32_e32 v18, v18, v18
	v_max_f32_e32 v15, v15, v18
	ds_bpermute_b32 v18, v25, v15
	s_waitcnt lgkmcnt(0)
	v_max_f32_e32 v18, v18, v18
	v_max_f32_e32 v15, v15, v18
	ds_bpermute_b32 v18, v26, v15
	s_waitcnt lgkmcnt(0)
	v_max_f32_e32 v18, v18, v18
	v_max_f32_e32 v15, v15, v18
	ds_bpermute_b32 v18, v27, v15
	s_waitcnt lgkmcnt(0)
	v_max_f32_e32 v18, v18, v18
	v_max_f32_e32 v15, v15, v18
	ds_bpermute_b32 v18, v28, v15
	s_waitcnt lgkmcnt(0)
	v_max_f32_e32 v18, v18, v18
	v_max_f32_e32 v15, v15, v18
	v_add_f32_e32 v18, v102, v47
	v_sub_f32_e32 v20, v20, v15
	v_add_f32_e32 v46, 0x40051340, v18
	v_sub_f32_e32 v19, v19, v15
	v_max3_f32 v45, v164, v46, v45
	ds_bpermute_b32 v16, v16, v45
	s_waitcnt lgkmcnt(0)
	v_max_f32_e32 v16, v16, v16
	v_max_f32_e32 v16, v45, v16
	ds_bpermute_b32 v25, v25, v16
	s_waitcnt lgkmcnt(0)
	v_max_f32_e32 v25, v25, v25
	v_max_f32_e32 v16, v16, v25
	ds_bpermute_b32 v25, v26, v16
	v_sub_f32_e32 v26, v99, v1
	s_waitcnt lgkmcnt(0)
	v_max_f32_e32 v25, v25, v25
	v_max_f32_e32 v16, v16, v25
	ds_bpermute_b32 v25, v27, v16
	s_waitcnt lgkmcnt(0)
	v_max_f32_e32 v25, v25, v25
	v_max_f32_e32 v16, v16, v25
	ds_bpermute_b32 v25, v28, v16
	s_waitcnt lgkmcnt(0)
	v_max_f32_e32 v25, v25, v25
	v_max_f32_e32 v16, v16, v25
	v_sub_f32_e32 v25, v43, v1
	v_sub_f32_e32 v18, v18, v16
	v_mul_f32_e32 v27, 0x3fb8aa3b, v25
	v_cmp_ngt_f32_e32 vcc_lo, 0xc2ce8ed0, v25
	v_sub_f32_e32 v17, v17, v16
	v_fma_f32 v28, 0x3fb8aa3b, v25, -v27
	v_rndne_f32_e32 v43, v27
	v_fmac_f32_e32 v28, 0x32a5705f, v25
	v_sub_f32_e32 v27, v27, v43
	v_add_f32_e32 v27, v27, v28
	v_cvt_i32_f32_e32 v28, v43
	v_exp_f32_e32 v27, v27
	v_ldexp_f32 v27, v27, v28
	v_cndmask_b32_e32 v27, 0, v27, vcc_lo
	v_cmp_nlt_f32_e32 vcc_lo, 0x42b17218, v25
	v_cndmask_b32_e32 v25, 0x7f800000, v27, vcc_lo
	v_sub_f32_e32 v27, v40, v1
	v_cvt_f16_f32_e32 v54, v25
	v_mul_f32_e32 v28, 0x3fb8aa3b, v27
	v_cmp_ngt_f32_e32 vcc_lo, 0xc2ce8ed0, v27
	v_fma_f32 v40, 0x3fb8aa3b, v27, -v28
	v_rndne_f32_e32 v43, v28
	v_fmac_f32_e32 v40, 0x32a5705f, v27
	v_sub_f32_e32 v28, v28, v43
	v_add_f32_e32 v28, v28, v40
	v_cvt_i32_f32_e32 v40, v43
	v_exp_f32_e32 v28, v28
	v_ldexp_f32 v28, v28, v40
	v_cndmask_b32_e32 v28, 0, v28, vcc_lo
	v_cmp_nlt_f32_e32 vcc_lo, 0x42b17218, v27
	v_cndmask_b32_e32 v27, 0x7f800000, v28, vcc_lo
	v_cmp_ngt_f32_e32 vcc_lo, 0xc2ce8ed0, v26
	v_add_f32_e32 v25, v25, v27
	v_cvt_f16_f32_e32 v48, v27
	v_mul_f32_e32 v27, 0x3fb8aa3b, v26
	v_fma_f32 v28, 0x3fb8aa3b, v26, -v27
	v_rndne_f32_e32 v40, v27
	v_fmac_f32_e32 v28, 0x32a5705f, v26
	v_sub_f32_e32 v27, v27, v40
	v_add_f32_e32 v27, v27, v28
	v_cvt_i32_f32_e32 v28, v40
	v_exp_f32_e32 v27, v27
	v_ldexp_f32 v27, v27, v28
	v_cndmask_b32_e32 v27, 0, v27, vcc_lo
	v_cmp_nlt_f32_e32 vcc_lo, 0x42b17218, v26
	v_cndmask_b32_e32 v26, 0x7f800000, v27, vcc_lo
	v_sub_f32_e32 v27, v96, v2
	v_fmac_f32_e32 v25, v95, v26
	v_cvt_f16_f32_e32 v26, v26
	v_mul_u32_u24_sdwa v26, v26, v143 dst_sel:DWORD dst_unused:UNUSED_PAD src0_sel:WORD_0 src1_sel:DWORD
	v_pk_mul_f16 v40, v172, v26
	v_sub_f32_e32 v26, v42, v2
	v_mul_f32_e32 v28, 0x3fb8aa3b, v26
	v_cmp_ngt_f32_e32 vcc_lo, 0xc2ce8ed0, v26
	v_fma_f32 v42, 0x3fb8aa3b, v26, -v28
	v_rndne_f32_e32 v43, v28
	v_fmac_f32_e32 v42, 0x32a5705f, v26
	v_sub_f32_e32 v28, v28, v43
	v_add_f32_e32 v28, v28, v42
	v_cvt_i32_f32_e32 v42, v43
	v_exp_f32_e32 v28, v28
	v_ldexp_f32 v28, v28, v42
	v_cndmask_b32_e32 v28, 0, v28, vcc_lo
	v_cmp_nlt_f32_e32 vcc_lo, 0x42b17218, v26
	v_cndmask_b32_e32 v26, 0x7f800000, v28, vcc_lo
	v_sub_f32_e32 v28, v41, v2
	v_cvt_f16_f32_e32 v57, v26
	v_mul_f32_e32 v41, 0x3fb8aa3b, v28
	v_cmp_ngt_f32_e32 vcc_lo, 0xc2ce8ed0, v28
	v_fma_f32 v42, 0x3fb8aa3b, v28, -v41
	v_rndne_f32_e32 v43, v41
	v_fmac_f32_e32 v42, 0x32a5705f, v28
	v_sub_f32_e32 v41, v41, v43
	v_add_f32_e32 v41, v41, v42
	v_cvt_i32_f32_e32 v42, v43
	v_exp_f32_e32 v41, v41
	v_ldexp_f32 v41, v41, v42
	v_cndmask_b32_e32 v41, 0, v41, vcc_lo
	v_cmp_nlt_f32_e32 vcc_lo, 0x42b17218, v28
	v_cndmask_b32_e32 v28, 0x7f800000, v41, vcc_lo
	v_cmp_ngt_f32_e32 vcc_lo, 0xc2ce8ed0, v27
	v_add_f32_e32 v26, v26, v28
	v_cvt_f16_f32_e32 v49, v28
	v_mul_f32_e32 v28, 0x3fb8aa3b, v27
	v_fma_f32 v41, 0x3fb8aa3b, v27, -v28
	v_rndne_f32_e32 v42, v28
	v_fmac_f32_e32 v41, 0x32a5705f, v27
	v_sub_f32_e32 v28, v28, v42
	v_add_f32_e32 v28, v28, v41
	v_cvt_i32_f32_e32 v41, v42
	v_exp_f32_e32 v28, v28
	v_ldexp_f32 v28, v28, v41
	v_cndmask_b32_e32 v28, 0, v28, vcc_lo
	v_cmp_nlt_f32_e32 vcc_lo, 0x42b17218, v27
	v_cndmask_b32_e32 v27, 0x7f800000, v28, vcc_lo
	v_sub_f32_e32 v28, v93, v3
	v_fmac_f32_e32 v26, v91, v27
	v_cvt_f16_f32_e32 v27, v27
	v_mul_u32_u24_sdwa v27, v27, v143 dst_sel:DWORD dst_unused:UNUSED_PAD src0_sel:WORD_0 src1_sel:DWORD
	v_pk_mul_f16 v41, v171, v27
	v_sub_f32_e32 v27, v58, v3
	v_mul_f32_e32 v42, 0x3fb8aa3b, v27
	v_cmp_ngt_f32_e32 vcc_lo, 0xc2ce8ed0, v27
	v_fma_f32 v43, 0x3fb8aa3b, v27, -v42
	v_rndne_f32_e32 v45, v42
	v_fmac_f32_e32 v43, 0x32a5705f, v27
	v_sub_f32_e32 v42, v42, v45
	v_add_f32_e32 v42, v42, v43
	v_cvt_i32_f32_e32 v43, v45
	v_exp_f32_e32 v42, v42
	v_ldexp_f32 v42, v42, v43
	v_cndmask_b32_e32 v42, 0, v42, vcc_lo
	v_cmp_nlt_f32_e32 vcc_lo, 0x42b17218, v27
	v_cndmask_b32_e32 v27, 0x7f800000, v42, vcc_lo
	v_sub_f32_e32 v42, v61, v3
	v_cvt_f16_f32_e32 v58, v27
	v_mul_f32_e32 v43, 0x3fb8aa3b, v42
	v_cmp_ngt_f32_e32 vcc_lo, 0xc2ce8ed0, v42
	v_fma_f32 v45, 0x3fb8aa3b, v42, -v43
	v_rndne_f32_e32 v46, v43
	v_fmac_f32_e32 v45, 0x32a5705f, v42
	v_sub_f32_e32 v43, v43, v46
	v_add_f32_e32 v43, v43, v45
	v_cvt_i32_f32_e32 v45, v46
	v_exp_f32_e32 v43, v43
	v_ldexp_f32 v43, v43, v45
	v_cndmask_b32_e32 v43, 0, v43, vcc_lo
	v_cmp_nlt_f32_e32 vcc_lo, 0x42b17218, v42
	v_cndmask_b32_e32 v42, 0x7f800000, v43, vcc_lo
	v_cmp_ngt_f32_e32 vcc_lo, 0xc2ce8ed0, v28
	v_add_f32_e32 v27, v27, v42
	v_cvt_f16_f32_e32 v50, v42
	v_mul_f32_e32 v42, 0x3fb8aa3b, v28
	v_fma_f32 v43, 0x3fb8aa3b, v28, -v42
	v_rndne_f32_e32 v45, v42
	v_fmac_f32_e32 v43, 0x32a5705f, v28
	v_sub_f32_e32 v42, v42, v45
	v_add_f32_e32 v42, v42, v43
	v_cvt_i32_f32_e32 v43, v45
	v_exp_f32_e32 v42, v42
	v_ldexp_f32 v42, v42, v43
	v_sub_f32_e32 v43, v89, v4
	v_cndmask_b32_e32 v42, 0, v42, vcc_lo
	v_cmp_nlt_f32_e32 vcc_lo, 0x42b17218, v28
	v_cndmask_b32_e32 v28, 0x7f800000, v42, vcc_lo
	v_fmac_f32_e32 v27, v191, v28
	v_cvt_f16_f32_e32 v28, v28
	v_mul_u32_u24_sdwa v28, v28, v143 dst_sel:DWORD dst_unused:UNUSED_PAD src0_sel:WORD_0 src1_sel:DWORD
	v_pk_mul_f16 v42, v170, v28
	v_sub_f32_e32 v28, v59, v4
	v_mul_f32_e32 v45, 0x3fb8aa3b, v28
	v_cmp_ngt_f32_e32 vcc_lo, 0xc2ce8ed0, v28
	v_fma_f32 v46, 0x3fb8aa3b, v28, -v45
	v_rndne_f32_e32 v47, v45
	v_fmac_f32_e32 v46, 0x32a5705f, v28
	v_sub_f32_e32 v45, v45, v47
	v_add_f32_e32 v45, v45, v46
	v_cvt_i32_f32_e32 v46, v47
	v_exp_f32_e32 v45, v45
	v_ldexp_f32 v45, v45, v46
	v_cndmask_b32_e32 v45, 0, v45, vcc_lo
	v_cmp_nlt_f32_e32 vcc_lo, 0x42b17218, v28
	v_cndmask_b32_e32 v28, 0x7f800000, v45, vcc_lo
	v_sub_f32_e32 v45, v60, v4
	v_cvt_f16_f32_e32 v59, v28
	v_mul_f32_e32 v46, 0x3fb8aa3b, v45
	v_cmp_ngt_f32_e32 vcc_lo, 0xc2ce8ed0, v45
	v_fma_f32 v47, 0x3fb8aa3b, v45, -v46
	v_rndne_f32_e32 v52, v46
	v_fmac_f32_e32 v47, 0x32a5705f, v45
	v_sub_f32_e32 v46, v46, v52
	v_add_f32_e32 v46, v46, v47
	v_cvt_i32_f32_e32 v47, v52
	v_exp_f32_e32 v46, v46
	v_ldexp_f32 v46, v46, v47
	v_cndmask_b32_e32 v46, 0, v46, vcc_lo
	v_cmp_nlt_f32_e32 vcc_lo, 0x42b17218, v45
	v_cndmask_b32_e32 v45, 0x7f800000, v46, vcc_lo
	v_cmp_ngt_f32_e32 vcc_lo, 0xc2ce8ed0, v43
	v_add_f32_e32 v28, v28, v45
	v_cvt_f16_f32_e32 v52, v45
	v_mul_f32_e32 v45, 0x3fb8aa3b, v43
	v_fma_f32 v46, 0x3fb8aa3b, v43, -v45
	v_rndne_f32_e32 v47, v45
	v_fmac_f32_e32 v46, 0x32a5705f, v43
	v_sub_f32_e32 v45, v45, v47
	v_add_f32_e32 v45, v45, v46
	v_cvt_i32_f32_e32 v46, v47
	v_exp_f32_e32 v45, v45
	v_ldexp_f32 v45, v45, v46
	v_mul_f32_e32 v46, 0x3fb8aa3b, v44
	v_cndmask_b32_e32 v45, 0, v45, vcc_lo
	v_fma_f32 v47, 0x3fb8aa3b, v44, -v46
	v_rndne_f32_e32 v60, v46
	v_cmp_nlt_f32_e32 vcc_lo, 0x42b17218, v43
	v_fmac_f32_e32 v47, 0x32a5705f, v44
	v_sub_f32_e32 v46, v46, v60
	v_cndmask_b32_e32 v43, 0x7f800000, v45, vcc_lo
	v_cmp_ngt_f32_e32 vcc_lo, 0xc2ce8ed0, v44
	v_sub_f32_e32 v45, v190, v5
	v_add_f32_e32 v46, v46, v47
	v_cvt_i32_f32_e32 v47, v60
	v_fmac_f32_e32 v28, v189, v43
	v_cvt_f16_f32_e32 v43, v43
	v_exp_f32_e32 v46, v46
	v_mul_u32_u24_sdwa v43, v43, v143 dst_sel:DWORD dst_unused:UNUSED_PAD src0_sel:WORD_0 src1_sel:DWORD
	v_pk_mul_f16 v43, v169, v43
	v_ldexp_f32 v46, v46, v47
	v_cndmask_b32_e32 v46, 0, v46, vcc_lo
	v_cmp_nlt_f32_e32 vcc_lo, 0x42b17218, v44
	v_cndmask_b32_e32 v44, 0x7f800000, v46, vcc_lo
	v_mul_f32_e32 v46, 0x3fb8aa3b, v29
	v_cmp_ngt_f32_e32 vcc_lo, 0xc2ce8ed0, v29
	v_cvt_f16_f32_e32 v61, v44
	v_fma_f32 v47, 0x3fb8aa3b, v29, -v46
	v_rndne_f32_e32 v60, v46
	v_fmac_f32_e32 v47, 0x32a5705f, v29
	v_sub_f32_e32 v46, v46, v60
	v_add_f32_e32 v46, v46, v47
	v_cvt_i32_f32_e32 v47, v60
	v_exp_f32_e32 v46, v46
	v_ldexp_f32 v46, v46, v47
	v_cndmask_b32_e32 v46, 0, v46, vcc_lo
	v_cmp_nlt_f32_e32 vcc_lo, 0x42b17218, v29
	v_cndmask_b32_e32 v46, 0x7f800000, v46, vcc_lo
	v_cmp_ngt_f32_e32 vcc_lo, 0xc2ce8ed0, v45
	v_add_f32_e32 v29, v44, v46
	v_mul_f32_e32 v44, 0x3fb8aa3b, v45
	v_cvt_f16_f32_e32 v60, v46
	v_fma_f32 v46, 0x3fb8aa3b, v45, -v44
	v_rndne_f32_e32 v47, v44
	v_fmac_f32_e32 v46, 0x32a5705f, v45
	v_sub_f32_e32 v44, v44, v47
	v_add_f32_e32 v44, v44, v46
	v_cvt_i32_f32_e32 v46, v47
	v_exp_f32_e32 v44, v44
	v_ldexp_f32 v44, v44, v46
	v_sub_f32_e32 v46, v56, v6
	v_cndmask_b32_e32 v44, 0, v44, vcc_lo
	v_mul_f32_e32 v47, 0x3fb8aa3b, v46
	v_cmp_nlt_f32_e32 vcc_lo, 0x42b17218, v45
	v_sub_f32_e32 v45, v188, v6
	v_fma_f32 v56, 0x3fb8aa3b, v46, -v47
	v_rndne_f32_e32 v62, v47
	v_cndmask_b32_e32 v44, 0x7f800000, v44, vcc_lo
	v_cmp_ngt_f32_e32 vcc_lo, 0xc2ce8ed0, v46
	v_fmac_f32_e32 v56, 0x32a5705f, v46
	v_sub_f32_e32 v47, v47, v62
	v_fmac_f32_e32 v29, v187, v44
	v_cvt_f16_f32_e32 v44, v44
	v_add_f32_e32 v47, v47, v56
	v_cvt_i32_f32_e32 v56, v62
	v_mul_u32_u24_sdwa v44, v44, v143 dst_sel:DWORD dst_unused:UNUSED_PAD src0_sel:WORD_0 src1_sel:DWORD
	v_exp_f32_e32 v47, v47
	v_pk_mul_f16 v44, v162, v44
	v_ldexp_f32 v47, v47, v56
	v_cndmask_b32_e32 v47, 0, v47, vcc_lo
	v_cmp_nlt_f32_e32 vcc_lo, 0x42b17218, v46
	v_cndmask_b32_e32 v46, 0x7f800000, v47, vcc_lo
	v_mul_f32_e32 v47, 0x3fb8aa3b, v30
	v_cmp_ngt_f32_e32 vcc_lo, 0xc2ce8ed0, v30
	v_cvt_f16_f32_e32 v62, v46
	v_fma_f32 v56, 0x3fb8aa3b, v30, -v47
	v_rndne_f32_e32 v63, v47
	v_fmac_f32_e32 v56, 0x32a5705f, v30
	v_sub_f32_e32 v47, v47, v63
	v_add_f32_e32 v47, v47, v56
	v_cvt_i32_f32_e32 v56, v63
	v_exp_f32_e32 v47, v47
	v_ldexp_f32 v47, v47, v56
	v_cndmask_b32_e32 v47, 0, v47, vcc_lo
	v_cmp_nlt_f32_e32 vcc_lo, 0x42b17218, v30
	v_cndmask_b32_e32 v47, 0x7f800000, v47, vcc_lo
	v_cmp_ngt_f32_e32 vcc_lo, 0xc2ce8ed0, v45
	v_add_f32_e32 v30, v46, v47
	v_mul_f32_e32 v46, 0x3fb8aa3b, v45
	v_cvt_f16_f32_e32 v56, v47
	v_fma_f32 v47, 0x3fb8aa3b, v45, -v46
	v_rndne_f32_e32 v63, v46
	v_fmac_f32_e32 v47, 0x32a5705f, v45
	v_sub_f32_e32 v46, v46, v63
	v_add_f32_e32 v46, v46, v47
	v_cvt_i32_f32_e32 v47, v63
	v_exp_f32_e32 v46, v46
	v_ldexp_f32 v46, v46, v47
	v_sub_f32_e32 v47, v55, v7
	v_cndmask_b32_e32 v46, 0, v46, vcc_lo
	v_mul_f32_e32 v55, 0x3fb8aa3b, v47
	v_cmp_nlt_f32_e32 vcc_lo, 0x42b17218, v45
	v_fma_f32 v63, 0x3fb8aa3b, v47, -v55
	v_rndne_f32_e32 v64, v55
	v_cndmask_b32_e32 v45, 0x7f800000, v46, vcc_lo
	v_cmp_ngt_f32_e32 vcc_lo, 0xc2ce8ed0, v47
	v_sub_f32_e32 v46, v186, v7
	v_fmac_f32_e32 v63, 0x32a5705f, v47
	v_sub_f32_e32 v55, v55, v64
	v_fmac_f32_e32 v30, v185, v45
	v_cvt_f16_f32_e32 v45, v45
	v_add_f32_e32 v55, v55, v63
	v_cvt_i32_f32_e32 v63, v64
	v_mul_u32_u24_sdwa v45, v45, v143 dst_sel:DWORD dst_unused:UNUSED_PAD src0_sel:WORD_0 src1_sel:DWORD
	v_exp_f32_e32 v55, v55
	v_pk_mul_f16 v45, v161, v45
	v_ldexp_f32 v55, v55, v63
	v_cndmask_b32_e32 v55, 0, v55, vcc_lo
	v_cmp_nlt_f32_e32 vcc_lo, 0x42b17218, v47
	v_cndmask_b32_e32 v47, 0x7f800000, v55, vcc_lo
	v_mul_f32_e32 v55, 0x3fb8aa3b, v31
	v_cmp_ngt_f32_e32 vcc_lo, 0xc2ce8ed0, v31
	v_cvt_f16_f32_e32 v63, v47
	v_fma_f32 v64, 0x3fb8aa3b, v31, -v55
	v_rndne_f32_e32 v65, v55
	v_fmac_f32_e32 v64, 0x32a5705f, v31
	v_sub_f32_e32 v55, v55, v65
	v_add_f32_e32 v55, v55, v64
	v_cvt_i32_f32_e32 v64, v65
	v_exp_f32_e32 v55, v55
	v_ldexp_f32 v55, v55, v64
	v_cndmask_b32_e32 v55, 0, v55, vcc_lo
	v_cmp_nlt_f32_e32 vcc_lo, 0x42b17218, v31
	v_cndmask_b32_e32 v55, 0x7f800000, v55, vcc_lo
	v_cmp_ngt_f32_e32 vcc_lo, 0xc2ce8ed0, v46
	v_add_f32_e32 v31, v47, v55
	v_mul_f32_e32 v47, 0x3fb8aa3b, v46
	v_cvt_f16_f32_e32 v55, v55
	v_fma_f32 v64, 0x3fb8aa3b, v46, -v47
	v_rndne_f32_e32 v65, v47
	v_fmac_f32_e32 v64, 0x32a5705f, v46
	v_sub_f32_e32 v47, v47, v65
	v_add_f32_e32 v47, v47, v64
	v_cvt_i32_f32_e32 v64, v65
	v_exp_f32_e32 v47, v47
	v_ldexp_f32 v47, v47, v64
	v_mul_f32_e32 v64, 0x3fb8aa3b, v53
	v_cndmask_b32_e32 v47, 0, v47, vcc_lo
	v_fma_f32 v65, 0x3fb8aa3b, v53, -v64
	v_rndne_f32_e32 v66, v64
	v_cmp_nlt_f32_e32 vcc_lo, 0x42b17218, v46
	v_fmac_f32_e32 v65, 0x32a5705f, v53
	v_sub_f32_e32 v64, v64, v66
	v_cndmask_b32_e32 v46, 0x7f800000, v47, vcc_lo
	v_cmp_ngt_f32_e32 vcc_lo, 0xc2ce8ed0, v53
	v_sub_f32_e32 v47, v184, v8
	v_add_f32_e32 v64, v64, v65
	v_cvt_i32_f32_e32 v65, v66
	v_fmac_f32_e32 v31, v183, v46
	v_cvt_f16_f32_e32 v46, v46
	v_exp_f32_e32 v64, v64
	v_mul_u32_u24_sdwa v46, v46, v143 dst_sel:DWORD dst_unused:UNUSED_PAD src0_sel:WORD_0 src1_sel:DWORD
	v_pk_mul_f16 v46, v160, v46
	v_ldexp_f32 v64, v64, v65
	v_mul_f32_e32 v65, 0x3fb8aa3b, v32
	v_cndmask_b32_e32 v64, 0, v64, vcc_lo
	v_fma_f32 v66, 0x3fb8aa3b, v32, -v65
	v_rndne_f32_e32 v67, v65
	v_cmp_nlt_f32_e32 vcc_lo, 0x42b17218, v53
	v_fmac_f32_e32 v66, 0x32a5705f, v32
	v_sub_f32_e32 v65, v65, v67
	v_cndmask_b32_e32 v53, 0x7f800000, v64, vcc_lo
	v_cmp_ngt_f32_e32 vcc_lo, 0xc2ce8ed0, v32
	v_add_f32_e32 v65, v65, v66
	v_cvt_i32_f32_e32 v66, v67
	v_cvt_f16_f32_e32 v64, v53
	v_exp_f32_e32 v65, v65
	v_pack_b32_f16 v64, v63, v64
	v_pack_b32_f16 v63, v61, v62
	v_pack_b32_f16 v61, v54, v57
	v_pack_b32_f16 v54, v60, v56
	v_pack_b32_f16 v62, v58, v59
	v_ldexp_f32 v65, v65, v66
	ds_write_b128 v142, v[61:64]
	v_cndmask_b32_e32 v65, 0, v65, vcc_lo
	v_cmp_nlt_f32_e32 vcc_lo, 0x42b17218, v32
	v_cndmask_b32_e32 v65, 0x7f800000, v65, vcc_lo
	v_cmp_ngt_f32_e32 vcc_lo, 0xc2ce8ed0, v47
	v_add_f32_e32 v32, v53, v65
	v_cvt_f16_f32_e32 v53, v65
	v_mul_f32_e32 v65, 0x3fb8aa3b, v47
	v_pack_b32_f16 v55, v55, v53
	v_fma_f32 v66, 0x3fb8aa3b, v47, -v65
	v_rndne_f32_e32 v67, v65
	v_pack_b32_f16 v53, v50, v52
	v_pack_b32_f16 v52, v48, v49
	v_mul_f32_e32 v49, 0x3fb8aa3b, v36
	v_fmac_f32_e32 v66, 0x32a5705f, v47
	v_sub_f32_e32 v65, v65, v67
	v_sub_f32_e32 v48, v181, v9
	ds_write_b128 v142, v[52:55] offset:512
	v_fma_f32 v50, 0x3fb8aa3b, v36, -v49
	v_rndne_f32_e32 v52, v49
	v_add_f32_e32 v65, v65, v66
	v_cvt_i32_f32_e32 v66, v67
	v_fmac_f32_e32 v50, 0x32a5705f, v36
	v_sub_f32_e32 v49, v49, v52
	v_exp_f32_e32 v65, v65
	v_add_f32_e32 v49, v49, v50
	v_cvt_i32_f32_e32 v50, v52
	v_exp_f32_e32 v49, v49
	v_ldexp_f32 v65, v65, v66
	v_cndmask_b32_e32 v65, 0, v65, vcc_lo
	v_cmp_nlt_f32_e32 vcc_lo, 0x42b17218, v47
	v_ldexp_f32 v49, v49, v50
	v_cndmask_b32_e32 v47, 0x7f800000, v65, vcc_lo
	v_cmp_ngt_f32_e32 vcc_lo, 0xc2ce8ed0, v36
	v_fmac_f32_e32 v32, v182, v47
	v_cndmask_b32_e32 v49, 0, v49, vcc_lo
	v_cmp_nlt_f32_e32 vcc_lo, 0x42b17218, v36
	v_cvt_f16_f32_e32 v47, v47
	v_cndmask_b32_e32 v36, 0x7f800000, v49, vcc_lo
	v_mul_f32_e32 v49, 0x3fb8aa3b, v33
	v_cmp_ngt_f32_e32 vcc_lo, 0xc2ce8ed0, v33
	v_mul_u32_u24_sdwa v47, v47, v143 dst_sel:DWORD dst_unused:UNUSED_PAD src0_sel:WORD_0 src1_sel:DWORD
	v_cvt_f16_f32_e32 v60, v36
	v_fma_f32 v50, 0x3fb8aa3b, v33, -v49
	v_rndne_f32_e32 v52, v49
	v_pk_mul_f16 v47, v159, v47
	v_fmac_f32_e32 v50, 0x32a5705f, v33
	v_sub_f32_e32 v49, v49, v52
	v_add_f32_e32 v49, v49, v50
	v_cvt_i32_f32_e32 v50, v52
	v_exp_f32_e32 v49, v49
	v_ldexp_f32 v49, v49, v50
	v_cndmask_b32_e32 v49, 0, v49, vcc_lo
	v_cmp_nlt_f32_e32 vcc_lo, 0x42b17218, v33
	v_cndmask_b32_e32 v49, 0x7f800000, v49, vcc_lo
	v_cmp_ngt_f32_e32 vcc_lo, 0xc2ce8ed0, v48
	v_add_f32_e32 v33, v36, v49
	v_mul_f32_e32 v36, 0x3fb8aa3b, v48
	v_cvt_f16_f32_e32 v56, v49
	v_fma_f32 v49, 0x3fb8aa3b, v48, -v36
	v_rndne_f32_e32 v50, v36
	v_fmac_f32_e32 v49, 0x32a5705f, v48
	v_sub_f32_e32 v36, v36, v50
	v_add_f32_e32 v36, v36, v49
	v_cvt_i32_f32_e32 v49, v50
	v_exp_f32_e32 v36, v36
	v_ldexp_f32 v36, v36, v49
	v_mul_f32_e32 v49, 0x3fb8aa3b, v35
	v_cndmask_b32_e32 v36, 0, v36, vcc_lo
	v_fma_f32 v50, 0x3fb8aa3b, v35, -v49
	v_rndne_f32_e32 v52, v49
	v_cmp_nlt_f32_e32 vcc_lo, 0x42b17218, v48
	v_fmac_f32_e32 v50, 0x32a5705f, v35
	v_sub_f32_e32 v49, v49, v52
	v_cndmask_b32_e32 v36, 0x7f800000, v36, vcc_lo
	v_cmp_ngt_f32_e32 vcc_lo, 0xc2ce8ed0, v35
	v_add_f32_e32 v49, v49, v50
	v_cvt_i32_f32_e32 v50, v52
	v_fmac_f32_e32 v33, v179, v36
	v_cvt_f16_f32_e32 v36, v36
	v_exp_f32_e32 v49, v49
	v_mul_u32_u24_sdwa v36, v36, v143 dst_sel:DWORD dst_unused:UNUSED_PAD src0_sel:WORD_0 src1_sel:DWORD
	v_pk_mul_f16 v48, v158, v36
	v_sub_f32_e32 v36, v180, v10
	v_ldexp_f32 v49, v49, v50
	v_cndmask_b32_e32 v49, 0, v49, vcc_lo
	v_cmp_nlt_f32_e32 vcc_lo, 0x42b17218, v35
	v_cndmask_b32_e32 v35, 0x7f800000, v49, vcc_lo
	v_mul_f32_e32 v49, 0x3fb8aa3b, v34
	v_cmp_ngt_f32_e32 vcc_lo, 0xc2ce8ed0, v34
	v_cvt_f16_f32_e32 v61, v35
	v_fma_f32 v50, 0x3fb8aa3b, v34, -v49
	v_rndne_f32_e32 v52, v49
	v_fmac_f32_e32 v50, 0x32a5705f, v34
	v_sub_f32_e32 v49, v49, v52
	v_add_f32_e32 v49, v49, v50
	v_cvt_i32_f32_e32 v50, v52
	v_exp_f32_e32 v49, v49
	v_ldexp_f32 v49, v49, v50
	v_cndmask_b32_e32 v49, 0, v49, vcc_lo
	v_cmp_nlt_f32_e32 vcc_lo, 0x42b17218, v34
	v_cndmask_b32_e32 v49, 0x7f800000, v49, vcc_lo
	v_cmp_ngt_f32_e32 vcc_lo, 0xc2ce8ed0, v36
	v_add_f32_e32 v34, v35, v49
	v_mul_f32_e32 v35, 0x3fb8aa3b, v36
	v_cvt_f16_f32_e32 v57, v49
	v_fma_f32 v49, 0x3fb8aa3b, v36, -v35
	v_rndne_f32_e32 v50, v35
	v_fmac_f32_e32 v49, 0x32a5705f, v36
	v_sub_f32_e32 v35, v35, v50
	v_add_f32_e32 v35, v35, v49
	v_cvt_i32_f32_e32 v49, v50
	v_exp_f32_e32 v35, v35
	v_ldexp_f32 v35, v35, v49
	v_cndmask_b32_e32 v35, 0, v35, vcc_lo
	v_cmp_nlt_f32_e32 vcc_lo, 0x42b17218, v36
	v_sub_f32_e32 v36, v178, v11
	v_cndmask_b32_e32 v35, 0x7f800000, v35, vcc_lo
	v_fmac_f32_e32 v34, v177, v35
	v_cvt_f16_f32_e32 v35, v35
	v_mul_u32_u24_sdwa v35, v35, v143 dst_sel:DWORD dst_unused:UNUSED_PAD src0_sel:WORD_0 src1_sel:DWORD
	v_pk_mul_f16 v49, v157, v35
	v_sub_f32_e32 v35, v51, v11
	v_mul_f32_e32 v50, 0x3fb8aa3b, v35
	v_cmp_ngt_f32_e32 vcc_lo, 0xc2ce8ed0, v35
	v_fma_f32 v51, 0x3fb8aa3b, v35, -v50
	v_rndne_f32_e32 v52, v50
	v_fmac_f32_e32 v51, 0x32a5705f, v35
	v_sub_f32_e32 v50, v50, v52
	v_add_f32_e32 v50, v50, v51
	v_cvt_i32_f32_e32 v51, v52
	v_exp_f32_e32 v50, v50
	v_ldexp_f32 v50, v50, v51
	v_cndmask_b32_e32 v50, 0, v50, vcc_lo
	v_cmp_nlt_f32_e32 vcc_lo, 0x42b17218, v35
	v_cndmask_b32_e32 v35, 0x7f800000, v50, vcc_lo
	v_mul_f32_e32 v50, 0x3fb8aa3b, v39
	v_cmp_ngt_f32_e32 vcc_lo, 0xc2ce8ed0, v39
	v_cvt_f16_f32_e32 v62, v35
	v_fma_f32 v51, 0x3fb8aa3b, v39, -v50
	v_rndne_f32_e32 v52, v50
	v_fmac_f32_e32 v51, 0x32a5705f, v39
	v_sub_f32_e32 v50, v50, v52
	v_add_f32_e32 v50, v50, v51
	v_cvt_i32_f32_e32 v51, v52
	v_exp_f32_e32 v50, v50
	v_ldexp_f32 v50, v50, v51
	v_cndmask_b32_e32 v50, 0, v50, vcc_lo
	v_cmp_nlt_f32_e32 vcc_lo, 0x42b17218, v39
	v_cndmask_b32_e32 v39, 0x7f800000, v50, vcc_lo
	v_cmp_ngt_f32_e32 vcc_lo, 0xc2ce8ed0, v36
	v_add_f32_e32 v35, v35, v39
	v_cvt_f16_f32_e32 v58, v39
	v_mul_f32_e32 v39, 0x3fb8aa3b, v36
	v_fma_f32 v50, 0x3fb8aa3b, v36, -v39
	v_rndne_f32_e32 v51, v39
	v_fmac_f32_e32 v50, 0x32a5705f, v36
	v_sub_f32_e32 v39, v39, v51
	v_add_f32_e32 v39, v39, v50
	v_cvt_i32_f32_e32 v50, v51
	v_exp_f32_e32 v39, v39
	v_ldexp_f32 v39, v39, v50
	v_cndmask_b32_e32 v39, 0, v39, vcc_lo
	v_cmp_nlt_f32_e32 vcc_lo, 0x42b17218, v36
	v_cndmask_b32_e32 v36, 0x7f800000, v39, vcc_lo
	v_sub_f32_e32 v39, v176, v12
	v_fmac_f32_e32 v35, v175, v36
	v_cvt_f16_f32_e32 v36, v36
	v_mul_u32_u24_sdwa v36, v36, v143 dst_sel:DWORD dst_unused:UNUSED_PAD src0_sel:WORD_0 src1_sel:DWORD
	v_pk_mul_f16 v50, v156, v36
	v_sub_f32_e32 v36, v38, v12
	v_mul_f32_e32 v38, 0x3fb8aa3b, v36
	v_cmp_ngt_f32_e32 vcc_lo, 0xc2ce8ed0, v36
	v_fma_f32 v51, 0x3fb8aa3b, v36, -v38
	v_rndne_f32_e32 v52, v38
	v_fmac_f32_e32 v51, 0x32a5705f, v36
	v_sub_f32_e32 v38, v38, v52
	v_add_f32_e32 v38, v38, v51
	v_cvt_i32_f32_e32 v51, v52
	v_exp_f32_e32 v38, v38
	v_ldexp_f32 v38, v38, v51
	v_cndmask_b32_e32 v38, 0, v38, vcc_lo
	v_cmp_nlt_f32_e32 vcc_lo, 0x42b17218, v36
	v_cndmask_b32_e32 v36, 0x7f800000, v38, vcc_lo
	v_mul_f32_e32 v38, 0x3fb8aa3b, v37
	v_cmp_ngt_f32_e32 vcc_lo, 0xc2ce8ed0, v37
	v_cvt_f16_f32_e32 v63, v36
	v_fma_f32 v51, 0x3fb8aa3b, v37, -v38
	v_rndne_f32_e32 v52, v38
	v_pack_b32_f16 v63, v62, v63
	v_fmac_f32_e32 v51, 0x32a5705f, v37
	v_sub_f32_e32 v38, v38, v52
	v_pack_b32_f16 v62, v60, v61
	v_add_f32_e32 v38, v38, v51
	v_cvt_i32_f32_e32 v51, v52
	v_exp_f32_e32 v38, v38
	v_ldexp_f32 v38, v38, v51
	v_cndmask_b32_e32 v38, 0, v38, vcc_lo
	v_cmp_nlt_f32_e32 vcc_lo, 0x42b17218, v37
	v_cndmask_b32_e32 v37, 0x7f800000, v38, vcc_lo
	v_cmp_ngt_f32_e32 vcc_lo, 0xc2ce8ed0, v39
	v_add_f32_e32 v36, v36, v37
	v_cvt_f16_f32_e32 v59, v37
	v_mul_f32_e32 v37, 0x3fb8aa3b, v39
	v_fma_f32 v38, 0x3fb8aa3b, v39, -v37
	v_rndne_f32_e32 v51, v37
	v_fmac_f32_e32 v38, 0x32a5705f, v39
	v_sub_f32_e32 v37, v37, v51
	v_add_f32_e32 v37, v37, v38
	v_cvt_i32_f32_e32 v38, v51
	v_exp_f32_e32 v37, v37
	v_ldexp_f32 v37, v37, v38
	v_sub_f32_e32 v38, v174, v13
	v_cndmask_b32_e32 v37, 0, v37, vcc_lo
	v_cmp_nlt_f32_e32 vcc_lo, 0x42b17218, v39
	v_cndmask_b32_e32 v37, 0x7f800000, v37, vcc_lo
	v_cmp_ngt_f32_e32 vcc_lo, 0xc2ce8ed0, v24
	v_fmac_f32_e32 v36, v173, v37
	v_cvt_f16_f32_e32 v37, v37
	v_mul_u32_u24_sdwa v37, v37, v143 dst_sel:DWORD dst_unused:UNUSED_PAD src0_sel:WORD_0 src1_sel:DWORD
	v_pk_mul_f16 v51, v155, v37
	v_mul_f32_e32 v37, 0x3fb8aa3b, v24
	v_fma_f32 v39, 0x3fb8aa3b, v24, -v37
	v_rndne_f32_e32 v52, v37
	v_fmac_f32_e32 v39, 0x32a5705f, v24
	v_sub_f32_e32 v37, v37, v52
	v_add_f32_e32 v37, v37, v39
	v_cvt_i32_f32_e32 v39, v52
	v_exp_f32_e32 v37, v37
	v_ldexp_f32 v37, v37, v39
	v_mul_f32_e32 v39, 0x3fb8aa3b, v23
	v_cndmask_b32_e32 v37, 0, v37, vcc_lo
	v_fma_f32 v52, 0x3fb8aa3b, v23, -v39
	v_rndne_f32_e32 v53, v39
	v_cmp_nlt_f32_e32 vcc_lo, 0x42b17218, v24
	v_fmac_f32_e32 v52, 0x32a5705f, v23
	v_sub_f32_e32 v39, v39, v53
	v_cndmask_b32_e32 v37, 0x7f800000, v37, vcc_lo
	v_cmp_ngt_f32_e32 vcc_lo, 0xc2ce8ed0, v23
	v_add_f32_e32 v39, v39, v52
	v_cvt_i32_f32_e32 v52, v53
	v_cvt_f16_f32_e32 v24, v37
	v_exp_f32_e32 v39, v39
	v_ldexp_f32 v39, v39, v52
	v_cndmask_b32_e32 v39, 0, v39, vcc_lo
	v_cmp_nlt_f32_e32 vcc_lo, 0x42b17218, v23
	v_cndmask_b32_e32 v23, 0x7f800000, v39, vcc_lo
	v_mul_f32_e32 v39, 0x3fb8aa3b, v38
	v_cmp_ngt_f32_e32 vcc_lo, 0xc2ce8ed0, v38
	v_add_f32_e32 v37, v37, v23
	v_fma_f32 v52, 0x3fb8aa3b, v38, -v39
	v_rndne_f32_e32 v53, v39
	v_cvt_f16_f32_e32 v23, v23
	v_fmac_f32_e32 v52, 0x32a5705f, v38
	v_sub_f32_e32 v39, v39, v53
	v_add_f32_e32 v39, v39, v52
	v_cvt_i32_f32_e32 v52, v53
	v_exp_f32_e32 v39, v39
	v_ldexp_f32 v39, v39, v52
	v_cndmask_b32_e32 v39, 0, v39, vcc_lo
	v_cmp_nlt_f32_e32 vcc_lo, 0x42b17218, v38
	v_cndmask_b32_e32 v38, 0x7f800000, v39, vcc_lo
	v_cmp_ngt_f32_e32 vcc_lo, 0xc2ce8ed0, v22
	v_sub_f32_e32 v39, v168, v14
	v_fmac_f32_e32 v37, v167, v38
	v_cvt_f16_f32_e32 v38, v38
	v_mul_u32_u24_sdwa v38, v38, v143 dst_sel:DWORD dst_unused:UNUSED_PAD src0_sel:WORD_0 src1_sel:DWORD
	v_pk_mul_f16 v52, v154, v38
	v_mul_f32_e32 v38, 0x3fb8aa3b, v22
	v_fma_f32 v53, 0x3fb8aa3b, v22, -v38
	v_rndne_f32_e32 v54, v38
	v_fmac_f32_e32 v53, 0x32a5705f, v22
	v_sub_f32_e32 v38, v38, v54
	v_add_f32_e32 v38, v38, v53
	v_cvt_i32_f32_e32 v53, v54
	v_exp_f32_e32 v38, v38
	v_ldexp_f32 v38, v38, v53
	v_mul_f32_e32 v53, 0x3fb8aa3b, v21
	v_cndmask_b32_e32 v38, 0, v38, vcc_lo
	v_fma_f32 v54, 0x3fb8aa3b, v21, -v53
	v_rndne_f32_e32 v55, v53
	v_cmp_nlt_f32_e32 vcc_lo, 0x42b17218, v22
	v_fmac_f32_e32 v54, 0x32a5705f, v21
	v_sub_f32_e32 v53, v53, v55
	v_cndmask_b32_e32 v38, 0x7f800000, v38, vcc_lo
	v_cmp_ngt_f32_e32 vcc_lo, 0xc2ce8ed0, v21
	v_add_f32_e32 v53, v53, v54
	v_cvt_i32_f32_e32 v54, v55
	v_cvt_f16_f32_e32 v22, v38
	v_exp_f32_e32 v53, v53
	v_ldexp_f32 v53, v53, v54
	v_cndmask_b32_e32 v53, 0, v53, vcc_lo
	v_cmp_nlt_f32_e32 vcc_lo, 0x42b17218, v21
	v_cndmask_b32_e32 v21, 0x7f800000, v53, vcc_lo
	v_mul_f32_e32 v53, 0x3fb8aa3b, v39
	v_cmp_ngt_f32_e32 vcc_lo, 0xc2ce8ed0, v39
	v_add_f32_e32 v38, v38, v21
	v_fma_f32 v54, 0x3fb8aa3b, v39, -v53
	v_rndne_f32_e32 v55, v53
	v_cvt_f16_f32_e32 v21, v21
	v_fmac_f32_e32 v54, 0x32a5705f, v39
	v_sub_f32_e32 v53, v53, v55
	v_add_f32_e32 v53, v53, v54
	v_cvt_i32_f32_e32 v54, v55
	v_exp_f32_e32 v53, v53
	v_ldexp_f32 v53, v53, v54
	v_sub_f32_e32 v54, v166, v15
	v_cndmask_b32_e32 v53, 0, v53, vcc_lo
	v_cmp_nlt_f32_e32 vcc_lo, 0x42b17218, v39
	v_cndmask_b32_e32 v39, 0x7f800000, v53, vcc_lo
	v_cmp_ngt_f32_e32 vcc_lo, 0xc2ce8ed0, v20
	v_fmac_f32_e32 v38, v165, v39
	v_cvt_f16_f32_e32 v39, v39
	v_mul_u32_u24_sdwa v39, v39, v143 dst_sel:DWORD dst_unused:UNUSED_PAD src0_sel:WORD_0 src1_sel:DWORD
	v_pk_mul_f16 v53, v153, v39
	v_mul_f32_e32 v39, 0x3fb8aa3b, v20
	v_fma_f32 v55, 0x3fb8aa3b, v20, -v39
	v_rndne_f32_e32 v64, v39
	v_fmac_f32_e32 v55, 0x32a5705f, v20
	v_sub_f32_e32 v39, v39, v64
	v_add_f32_e32 v39, v39, v55
	v_cvt_i32_f32_e32 v55, v64
	v_exp_f32_e32 v39, v39
	v_ldexp_f32 v39, v39, v55
	v_mul_f32_e32 v55, 0x3fb8aa3b, v19
	v_cndmask_b32_e32 v39, 0, v39, vcc_lo
	v_fma_f32 v64, 0x3fb8aa3b, v19, -v55
	v_rndne_f32_e32 v65, v55
	v_cmp_nlt_f32_e32 vcc_lo, 0x42b17218, v20
	v_fmac_f32_e32 v64, 0x32a5705f, v19
	v_sub_f32_e32 v55, v55, v65
	v_cndmask_b32_e32 v39, 0x7f800000, v39, vcc_lo
	v_cmp_ngt_f32_e32 vcc_lo, 0xc2ce8ed0, v19
	v_add_f32_e32 v55, v55, v64
	v_cvt_i32_f32_e32 v64, v65
	v_cvt_f16_f32_e32 v20, v39
	v_exp_f32_e32 v55, v55
	v_ldexp_f32 v55, v55, v64
	v_cndmask_b32_e32 v55, 0, v55, vcc_lo
	v_cmp_nlt_f32_e32 vcc_lo, 0x42b17218, v19
	v_cndmask_b32_e32 v19, 0x7f800000, v55, vcc_lo
	v_mul_f32_e32 v55, 0x3fb8aa3b, v54
	v_cmp_ngt_f32_e32 vcc_lo, 0xc2ce8ed0, v54
	v_add_f32_e32 v39, v39, v19
	v_fma_f32 v64, 0x3fb8aa3b, v54, -v55
	v_rndne_f32_e32 v65, v55
	v_cvt_f16_f32_e32 v19, v19
	v_fmac_f32_e32 v64, 0x32a5705f, v54
	v_sub_f32_e32 v55, v55, v65
	v_add_f32_e32 v55, v55, v64
	v_cvt_i32_f32_e32 v64, v65
	v_exp_f32_e32 v55, v55
	v_ldexp_f32 v55, v55, v64
	v_mul_f32_e32 v64, 0x3fb8aa3b, v18
	v_cndmask_b32_e32 v55, 0, v55, vcc_lo
	v_fma_f32 v65, 0x3fb8aa3b, v18, -v64
	v_rndne_f32_e32 v66, v64
	v_cmp_nlt_f32_e32 vcc_lo, 0x42b17218, v54
	v_fmac_f32_e32 v65, 0x32a5705f, v18
	v_sub_f32_e32 v64, v64, v66
	v_cndmask_b32_e32 v54, 0x7f800000, v55, vcc_lo
	v_cmp_ngt_f32_e32 vcc_lo, 0xc2ce8ed0, v18
	v_sub_f32_e32 v55, v164, v16
	v_add_f32_e32 v64, v64, v65
	v_cvt_i32_f32_e32 v65, v66
	v_fmac_f32_e32 v39, v163, v54
	v_cvt_f16_f32_e32 v54, v54
	v_exp_f32_e32 v64, v64
	v_mul_u32_u24_sdwa v54, v54, v143 dst_sel:DWORD dst_unused:UNUSED_PAD src0_sel:WORD_0 src1_sel:DWORD
	v_pk_mul_f16 v54, v152, v54
	v_ldexp_f32 v64, v64, v65
	v_mul_f32_e32 v65, 0x3fb8aa3b, v17
	v_cndmask_b32_e32 v64, 0, v64, vcc_lo
	v_fma_f32 v66, 0x3fb8aa3b, v17, -v65
	v_rndne_f32_e32 v67, v65
	v_cmp_nlt_f32_e32 vcc_lo, 0x42b17218, v18
	v_fmac_f32_e32 v66, 0x32a5705f, v17
	v_sub_f32_e32 v65, v65, v67
	v_cndmask_b32_e32 v18, 0x7f800000, v64, vcc_lo
	v_cmp_ngt_f32_e32 vcc_lo, 0xc2ce8ed0, v17
	v_add_f32_e32 v65, v65, v66
	v_cvt_i32_f32_e32 v66, v67
	v_cvt_f16_f32_e32 v64, v18
	v_exp_f32_e32 v65, v65
	v_ldexp_f32 v65, v65, v66
	v_cndmask_b32_e32 v65, 0, v65, vcc_lo
	v_cmp_nlt_f32_e32 vcc_lo, 0x42b17218, v17
	v_cndmask_b32_e32 v17, 0x7f800000, v65, vcc_lo
	v_mul_f32_e32 v65, 0x3fb8aa3b, v55
	v_cmp_ngt_f32_e32 vcc_lo, 0xc2ce8ed0, v55
	v_add_f32_e32 v18, v18, v17
	v_fma_f32 v66, 0x3fb8aa3b, v55, -v65
	v_rndne_f32_e32 v67, v65
	v_cvt_f16_f32_e32 v17, v17
	v_fmac_f32_e32 v66, 0x32a5705f, v55
	v_sub_f32_e32 v65, v65, v67
	v_add_f32_e32 v65, v65, v66
	v_cvt_i32_f32_e32 v66, v67
	v_exp_f32_e32 v65, v65
	v_ldexp_f32 v65, v65, v66
	v_cndmask_b32_e32 v65, 0, v65, vcc_lo
	v_cmp_nlt_f32_e32 vcc_lo, 0x42b17218, v55
	v_cndmask_b32_e32 v55, 0x7f800000, v65, vcc_lo
	v_mov_b32_e32 v65, v120
	v_mov_b32_e32 v120, v18
	v_cvt_f16_f32_e32 v18, v55
	v_fmac_f32_e32 v120, v65, v55
	v_pack_b32_f16 v65, v20, v64
	v_pack_b32_f16 v20, v19, v17
	v_mul_u32_u24_sdwa v18, v18, v143 dst_sel:DWORD dst_unused:UNUSED_PAD src0_sel:WORD_0 src1_sel:DWORD
	v_pack_b32_f16 v19, v23, v21
	v_pack_b32_f16 v17, v56, v57
	;; [unrolled: 1-line block ×3, first 2 shown]
	v_pk_mul_f16 v55, v151, v18
	v_pack_b32_f16 v18, v58, v59
	ds_write_b128 v142, v[62:65] offset:1024
	ds_write_b128 v142, v[17:20] offset:1536
	v_add_co_u32 v17, vcc_lo, s15, v105
	v_add_co_ci_u32_e64 v18, null, s18, v106, vcc_lo
	v_add_co_u32 v17, vcc_lo, v17, v141
	v_add_co_ci_u32_e64 v18, null, 0, v18, vcc_lo
	;; [unrolled: 2-line block ×8, first 2 shown]
	global_load_dwordx4 v[17:20], v[17:18], off
	s_waitcnt vmcnt(0)
	ds_write_b128 v139, v[17:20]
	global_load_dwordx4 v[17:20], v[56:57], off
	v_add_nc_u32_e32 v56, 0x800, v139
	s_waitcnt vmcnt(0)
	ds_write_b128 v56, v[17:20]
	global_load_dwordx4 v[17:20], v[23:24], off
	v_add_nc_u32_e32 v23, 0x1000, v139
	;; [unrolled: 4-line block ×3, first 2 shown]
	s_waitcnt vmcnt(0)
	ds_write_b128 v21, v[17:20]
	s_waitcnt lgkmcnt(0)
	s_barrier
	buffer_gl0_inv
	ds_read2_b32 v[64:65], v123 offset1:32
	ds_read_b128 v[17:20], v140
	ds_read_b128 v[21:24], v140 offset:16
	ds_read_b128 v[56:59], v140 offset:32
	;; [unrolled: 1-line block ×3, first 2 shown]
	s_waitcnt lgkmcnt(3)
	v_mul_u32_u24_sdwa v66, v17, v143 dst_sel:DWORD dst_unused:UNUSED_PAD src0_sel:WORD_0 src1_sel:DWORD
	v_mul_u32_u24_sdwa v67, v17, v143 dst_sel:DWORD dst_unused:UNUSED_PAD src0_sel:WORD_1 src1_sel:DWORD
	v_mul_u32_u24_sdwa v68, v18, v143 dst_sel:DWORD dst_unused:UNUSED_PAD src0_sel:WORD_0 src1_sel:DWORD
	v_mul_u32_u24_sdwa v69, v18, v143 dst_sel:DWORD dst_unused:UNUSED_PAD src0_sel:WORD_1 src1_sel:DWORD
	;; [unrolled: 2-line block ×4, first 2 shown]
	ds_read_b128 v[17:20], v140 offset:1024
	v_pk_fma_f16 v42, v64, v68, v42
	v_pk_fma_f16 v43, v64, v69, v43
	;; [unrolled: 1-line block ×6, first 2 shown]
	s_waitcnt lgkmcnt(3)
	v_mul_u32_u24_sdwa v68, v24, v143 dst_sel:DWORD dst_unused:UNUSED_PAD src0_sel:WORD_0 src1_sel:DWORD
	v_mul_u32_u24_sdwa v24, v24, v143 dst_sel:DWORD dst_unused:UNUSED_PAD src0_sel:WORD_1 src1_sel:DWORD
	v_pk_fma_f16 v40, v64, v66, v40
	v_pk_fma_f16 v41, v64, v67, v41
	v_mul_u32_u24_sdwa v66, v22, v143 dst_sel:DWORD dst_unused:UNUSED_PAD src0_sel:WORD_0 src1_sel:DWORD
	v_mul_u32_u24_sdwa v22, v22, v143 dst_sel:DWORD dst_unused:UNUSED_PAD src0_sel:WORD_1 src1_sel:DWORD
	v_pk_fma_f16 v24, v65, v24, v47
	v_mul_u32_u24_sdwa v67, v23, v143 dst_sel:DWORD dst_unused:UNUSED_PAD src0_sel:WORD_0 src1_sel:DWORD
	v_mul_u32_u24_sdwa v23, v23, v143 dst_sel:DWORD dst_unused:UNUSED_PAD src0_sel:WORD_1 src1_sel:DWORD
	v_pk_fma_f16 v42, v65, v66, v42
	v_pk_fma_f16 v43, v65, v22, v43
	;; [unrolled: 1-line block ×3, first 2 shown]
	s_waitcnt lgkmcnt(0)
	v_mul_u32_u24_sdwa v74, v17, v143 dst_sel:DWORD dst_unused:UNUSED_PAD src0_sel:WORD_0 src1_sel:DWORD
	v_mul_u32_u24_sdwa v17, v17, v143 dst_sel:DWORD dst_unused:UNUSED_PAD src0_sel:WORD_1 src1_sel:DWORD
	v_mul_u32_u24_sdwa v75, v18, v143 dst_sel:DWORD dst_unused:UNUSED_PAD src0_sel:WORD_0 src1_sel:DWORD
	v_mul_u32_u24_sdwa v18, v18, v143 dst_sel:DWORD dst_unused:UNUSED_PAD src0_sel:WORD_1 src1_sel:DWORD
	;; [unrolled: 2-line block ×4, first 2 shown]
	v_pk_fma_f16 v49, v64, v17, v49
	v_pk_fma_f16 v51, v64, v18, v51
	;; [unrolled: 1-line block ×5, first 2 shown]
	ds_read_b128 v[17:20], v140 offset:1040
	v_pk_fma_f16 v50, v64, v75, v50
	v_pk_fma_f16 v52, v64, v76, v52
	;; [unrolled: 1-line block ×3, first 2 shown]
	v_mul_u32_u24_sdwa v64, v21, v143 dst_sel:DWORD dst_unused:UNUSED_PAD src0_sel:WORD_0 src1_sel:DWORD
	v_mul_u32_u24_sdwa v21, v21, v143 dst_sel:DWORD dst_unused:UNUSED_PAD src0_sel:WORD_1 src1_sel:DWORD
	v_pk_fma_f16 v23, v65, v23, v45
	v_pk_fma_f16 v45, v65, v68, v46
	v_pk_fma_f16 v40, v65, v64, v40
	v_pk_fma_f16 v41, v65, v21, v41
	ds_read2_b32 v[21:22], v123 offset0:64 offset1:96
	v_mul_u32_u24_sdwa v64, v58, v143 dst_sel:DWORD dst_unused:UNUSED_PAD src0_sel:WORD_0 src1_sel:DWORD
	v_mul_u32_u24_sdwa v58, v58, v143 dst_sel:DWORD dst_unused:UNUSED_PAD src0_sel:WORD_1 src1_sel:DWORD
	s_waitcnt lgkmcnt(1)
	v_mul_u32_u24_sdwa v69, v17, v143 dst_sel:DWORD dst_unused:UNUSED_PAD src0_sel:WORD_0 src1_sel:DWORD
	v_mul_u32_u24_sdwa v17, v17, v143 dst_sel:DWORD dst_unused:UNUSED_PAD src0_sel:WORD_1 src1_sel:DWORD
	v_mul_u32_u24_sdwa v70, v18, v143 dst_sel:DWORD dst_unused:UNUSED_PAD src0_sel:WORD_0 src1_sel:DWORD
	v_mul_u32_u24_sdwa v18, v18, v143 dst_sel:DWORD dst_unused:UNUSED_PAD src0_sel:WORD_1 src1_sel:DWORD
	;; [unrolled: 2-line block ×4, first 2 shown]
	v_pk_fma_f16 v47, v65, v17, v49
	v_pk_fma_f16 v49, v65, v18, v51
	;; [unrolled: 1-line block ×5, first 2 shown]
	ds_read_b128 v[17:20], v140 offset:1056
	v_pk_fma_f16 v48, v65, v70, v50
	v_pk_fma_f16 v50, v65, v71, v52
	;; [unrolled: 1-line block ×3, first 2 shown]
	v_mul_u32_u24_sdwa v54, v56, v143 dst_sel:DWORD dst_unused:UNUSED_PAD src0_sel:WORD_0 src1_sel:DWORD
	v_mul_u32_u24_sdwa v55, v56, v143 dst_sel:DWORD dst_unused:UNUSED_PAD src0_sel:WORD_1 src1_sel:DWORD
	v_mul_u32_u24_sdwa v56, v57, v143 dst_sel:DWORD dst_unused:UNUSED_PAD src0_sel:WORD_0 src1_sel:DWORD
	v_mul_u32_u24_sdwa v57, v57, v143 dst_sel:DWORD dst_unused:UNUSED_PAD src0_sel:WORD_1 src1_sel:DWORD
	;; [unrolled: 2-line block ×3, first 2 shown]
	s_waitcnt lgkmcnt(1)
	v_pk_fma_f16 v40, v21, v54, v40
	v_pk_fma_f16 v41, v21, v55, v41
	;; [unrolled: 1-line block ×8, first 2 shown]
	v_mul_u32_u24_sdwa v54, v60, v143 dst_sel:DWORD dst_unused:UNUSED_PAD src0_sel:WORD_1 src1_sel:DWORD
	v_mul_u32_u24_sdwa v55, v61, v143 dst_sel:DWORD dst_unused:UNUSED_PAD src0_sel:WORD_0 src1_sel:DWORD
	s_waitcnt lgkmcnt(0)
	v_mul_u32_u24_sdwa v66, v17, v143 dst_sel:DWORD dst_unused:UNUSED_PAD src0_sel:WORD_0 src1_sel:DWORD
	v_mul_u32_u24_sdwa v17, v17, v143 dst_sel:DWORD dst_unused:UNUSED_PAD src0_sel:WORD_1 src1_sel:DWORD
	v_mul_u32_u24_sdwa v67, v18, v143 dst_sel:DWORD dst_unused:UNUSED_PAD src0_sel:WORD_0 src1_sel:DWORD
	v_mul_u32_u24_sdwa v18, v18, v143 dst_sel:DWORD dst_unused:UNUSED_PAD src0_sel:WORD_1 src1_sel:DWORD
	v_mul_u32_u24_sdwa v68, v19, v143 dst_sel:DWORD dst_unused:UNUSED_PAD src0_sel:WORD_0 src1_sel:DWORD
	v_mul_u32_u24_sdwa v19, v19, v143 dst_sel:DWORD dst_unused:UNUSED_PAD src0_sel:WORD_1 src1_sel:DWORD
	v_mul_u32_u24_sdwa v69, v20, v143 dst_sel:DWORD dst_unused:UNUSED_PAD src0_sel:WORD_0 src1_sel:DWORD
	v_mul_u32_u24_sdwa v20, v20, v143 dst_sel:DWORD dst_unused:UNUSED_PAD src0_sel:WORD_1 src1_sel:DWORD
	v_pk_fma_f16 v46, v21, v66, v46
	v_pk_fma_f16 v47, v21, v17, v47
	v_pk_fma_f16 v48, v21, v67, v48
	v_pk_fma_f16 v49, v21, v18, v49
	v_pk_fma_f16 v50, v21, v68, v50
	v_pk_fma_f16 v51, v21, v19, v51
	v_pk_fma_f16 v52, v21, v69, v52
	v_pk_fma_f16 v21, v21, v20, v53
	ds_read_b128 v[17:20], v140 offset:1072
	v_mul_u32_u24_sdwa v53, v60, v143 dst_sel:DWORD dst_unused:UNUSED_PAD src0_sel:WORD_0 src1_sel:DWORD
	v_mul_u32_u24_sdwa v56, v61, v143 dst_sel:DWORD dst_unused:UNUSED_PAD src0_sel:WORD_1 src1_sel:DWORD
	v_mul_u32_u24_sdwa v57, v62, v143 dst_sel:DWORD dst_unused:UNUSED_PAD src0_sel:WORD_0 src1_sel:DWORD
	v_mul_u32_u24_sdwa v58, v62, v143 dst_sel:DWORD dst_unused:UNUSED_PAD src0_sel:WORD_1 src1_sel:DWORD
	;; [unrolled: 2-line block ×3, first 2 shown]
	v_pk_fma_f16 v40, v22, v53, v40
	v_pk_fma_f16 v41, v22, v54, v41
	;; [unrolled: 1-line block ×8, first 2 shown]
	s_waitcnt lgkmcnt(0)
	v_mul_u32_u24_sdwa v61, v17, v143 dst_sel:DWORD dst_unused:UNUSED_PAD src0_sel:WORD_0 src1_sel:DWORD
	v_mul_u32_u24_sdwa v17, v17, v143 dst_sel:DWORD dst_unused:UNUSED_PAD src0_sel:WORD_1 src1_sel:DWORD
	v_mul_u32_u24_sdwa v62, v18, v143 dst_sel:DWORD dst_unused:UNUSED_PAD src0_sel:WORD_0 src1_sel:DWORD
	v_mul_u32_u24_sdwa v18, v18, v143 dst_sel:DWORD dst_unused:UNUSED_PAD src0_sel:WORD_1 src1_sel:DWORD
	;; [unrolled: 2-line block ×4, first 2 shown]
	v_pk_fma_f16 v46, v22, v61, v46
	v_pk_fma_f16 v47, v22, v17, v47
	;; [unrolled: 1-line block ×8, first 2 shown]
	ds_read2_b32 v[21:22], v123 offset0:128 offset1:160
	ds_read_b128 v[17:20], v140 offset:64
	s_waitcnt lgkmcnt(0)
	v_mul_u32_u24_sdwa v54, v17, v143 dst_sel:DWORD dst_unused:UNUSED_PAD src0_sel:WORD_0 src1_sel:DWORD
	v_mul_u32_u24_sdwa v55, v17, v143 dst_sel:DWORD dst_unused:UNUSED_PAD src0_sel:WORD_1 src1_sel:DWORD
	v_mul_u32_u24_sdwa v56, v18, v143 dst_sel:DWORD dst_unused:UNUSED_PAD src0_sel:WORD_0 src1_sel:DWORD
	v_mul_u32_u24_sdwa v57, v18, v143 dst_sel:DWORD dst_unused:UNUSED_PAD src0_sel:WORD_1 src1_sel:DWORD
	;; [unrolled: 2-line block ×4, first 2 shown]
	ds_read_b128 v[17:20], v140 offset:1088
	v_pk_fma_f16 v40, v21, v54, v40
	v_pk_fma_f16 v41, v21, v55, v41
	;; [unrolled: 1-line block ×8, first 2 shown]
	s_waitcnt lgkmcnt(0)
	v_mul_u32_u24_sdwa v62, v17, v143 dst_sel:DWORD dst_unused:UNUSED_PAD src0_sel:WORD_0 src1_sel:DWORD
	v_mul_u32_u24_sdwa v17, v17, v143 dst_sel:DWORD dst_unused:UNUSED_PAD src0_sel:WORD_1 src1_sel:DWORD
	v_mul_u32_u24_sdwa v63, v18, v143 dst_sel:DWORD dst_unused:UNUSED_PAD src0_sel:WORD_0 src1_sel:DWORD
	v_mul_u32_u24_sdwa v18, v18, v143 dst_sel:DWORD dst_unused:UNUSED_PAD src0_sel:WORD_1 src1_sel:DWORD
	;; [unrolled: 2-line block ×4, first 2 shown]
	v_pk_fma_f16 v46, v21, v62, v46
	v_pk_fma_f16 v47, v21, v17, v47
	;; [unrolled: 1-line block ×8, first 2 shown]
	ds_read_b128 v[17:20], v140 offset:80
	s_waitcnt lgkmcnt(0)
	v_mul_u32_u24_sdwa v53, v17, v143 dst_sel:DWORD dst_unused:UNUSED_PAD src0_sel:WORD_0 src1_sel:DWORD
	v_mul_u32_u24_sdwa v54, v17, v143 dst_sel:DWORD dst_unused:UNUSED_PAD src0_sel:WORD_1 src1_sel:DWORD
	v_mul_u32_u24_sdwa v55, v18, v143 dst_sel:DWORD dst_unused:UNUSED_PAD src0_sel:WORD_0 src1_sel:DWORD
	v_mul_u32_u24_sdwa v56, v18, v143 dst_sel:DWORD dst_unused:UNUSED_PAD src0_sel:WORD_1 src1_sel:DWORD
	;; [unrolled: 2-line block ×4, first 2 shown]
	ds_read_b128 v[17:20], v140 offset:1104
	v_pk_fma_f16 v40, v22, v53, v40
	v_pk_fma_f16 v41, v22, v54, v41
	;; [unrolled: 1-line block ×8, first 2 shown]
	s_waitcnt lgkmcnt(0)
	v_mul_u32_u24_sdwa v61, v17, v143 dst_sel:DWORD dst_unused:UNUSED_PAD src0_sel:WORD_0 src1_sel:DWORD
	v_mul_u32_u24_sdwa v17, v17, v143 dst_sel:DWORD dst_unused:UNUSED_PAD src0_sel:WORD_1 src1_sel:DWORD
	v_mul_u32_u24_sdwa v62, v18, v143 dst_sel:DWORD dst_unused:UNUSED_PAD src0_sel:WORD_0 src1_sel:DWORD
	v_mul_u32_u24_sdwa v18, v18, v143 dst_sel:DWORD dst_unused:UNUSED_PAD src0_sel:WORD_1 src1_sel:DWORD
	;; [unrolled: 2-line block ×4, first 2 shown]
	v_pk_fma_f16 v46, v22, v61, v46
	v_pk_fma_f16 v47, v22, v17, v47
	;; [unrolled: 1-line block ×8, first 2 shown]
	ds_read2_b32 v[21:22], v123 offset0:192 offset1:224
	ds_read_b128 v[17:20], v140 offset:96
	s_waitcnt lgkmcnt(0)
	v_mul_u32_u24_sdwa v54, v17, v143 dst_sel:DWORD dst_unused:UNUSED_PAD src0_sel:WORD_0 src1_sel:DWORD
	v_mul_u32_u24_sdwa v55, v17, v143 dst_sel:DWORD dst_unused:UNUSED_PAD src0_sel:WORD_1 src1_sel:DWORD
	v_mul_u32_u24_sdwa v56, v18, v143 dst_sel:DWORD dst_unused:UNUSED_PAD src0_sel:WORD_0 src1_sel:DWORD
	v_mul_u32_u24_sdwa v57, v18, v143 dst_sel:DWORD dst_unused:UNUSED_PAD src0_sel:WORD_1 src1_sel:DWORD
	;; [unrolled: 2-line block ×4, first 2 shown]
	ds_read_b128 v[17:20], v140 offset:1120
	v_pk_fma_f16 v40, v21, v54, v40
	v_pk_fma_f16 v41, v21, v55, v41
	;; [unrolled: 1-line block ×8, first 2 shown]
	s_waitcnt lgkmcnt(0)
	v_mul_u32_u24_sdwa v62, v17, v143 dst_sel:DWORD dst_unused:UNUSED_PAD src0_sel:WORD_0 src1_sel:DWORD
	v_mul_u32_u24_sdwa v17, v17, v143 dst_sel:DWORD dst_unused:UNUSED_PAD src0_sel:WORD_1 src1_sel:DWORD
	v_mul_u32_u24_sdwa v63, v18, v143 dst_sel:DWORD dst_unused:UNUSED_PAD src0_sel:WORD_0 src1_sel:DWORD
	v_mul_u32_u24_sdwa v18, v18, v143 dst_sel:DWORD dst_unused:UNUSED_PAD src0_sel:WORD_1 src1_sel:DWORD
	;; [unrolled: 2-line block ×4, first 2 shown]
	v_pk_fma_f16 v46, v21, v62, v46
	v_pk_fma_f16 v47, v21, v17, v47
	;; [unrolled: 1-line block ×8, first 2 shown]
	ds_read_b128 v[17:20], v140 offset:112
	s_waitcnt lgkmcnt(0)
	v_mul_u32_u24_sdwa v53, v17, v143 dst_sel:DWORD dst_unused:UNUSED_PAD src0_sel:WORD_0 src1_sel:DWORD
	v_mul_u32_u24_sdwa v54, v17, v143 dst_sel:DWORD dst_unused:UNUSED_PAD src0_sel:WORD_1 src1_sel:DWORD
	v_mul_u32_u24_sdwa v55, v18, v143 dst_sel:DWORD dst_unused:UNUSED_PAD src0_sel:WORD_0 src1_sel:DWORD
	v_mul_u32_u24_sdwa v56, v18, v143 dst_sel:DWORD dst_unused:UNUSED_PAD src0_sel:WORD_1 src1_sel:DWORD
	;; [unrolled: 2-line block ×4, first 2 shown]
	ds_read_b128 v[17:20], v140 offset:1136
	v_pk_fma_f16 v40, v22, v53, v40
	v_pk_fma_f16 v41, v22, v54, v41
	;; [unrolled: 1-line block ×8, first 2 shown]
	s_waitcnt lgkmcnt(0)
	v_mul_u32_u24_sdwa v61, v17, v143 dst_sel:DWORD dst_unused:UNUSED_PAD src0_sel:WORD_0 src1_sel:DWORD
	v_mul_u32_u24_sdwa v17, v17, v143 dst_sel:DWORD dst_unused:UNUSED_PAD src0_sel:WORD_1 src1_sel:DWORD
	v_mul_u32_u24_sdwa v62, v18, v143 dst_sel:DWORD dst_unused:UNUSED_PAD src0_sel:WORD_0 src1_sel:DWORD
	v_mul_u32_u24_sdwa v18, v18, v143 dst_sel:DWORD dst_unused:UNUSED_PAD src0_sel:WORD_1 src1_sel:DWORD
	;; [unrolled: 2-line block ×4, first 2 shown]
	v_pk_fma_f16 v46, v22, v61, v46
	v_pk_fma_f16 v47, v22, v17, v47
	;; [unrolled: 1-line block ×8, first 2 shown]
	ds_read2_b32 v[21:22], v0 offset1:32
	ds_read_b128 v[17:20], v140 offset:128
	s_waitcnt lgkmcnt(0)
	v_mul_u32_u24_sdwa v54, v17, v143 dst_sel:DWORD dst_unused:UNUSED_PAD src0_sel:WORD_0 src1_sel:DWORD
	v_mul_u32_u24_sdwa v55, v17, v143 dst_sel:DWORD dst_unused:UNUSED_PAD src0_sel:WORD_1 src1_sel:DWORD
	v_mul_u32_u24_sdwa v56, v18, v143 dst_sel:DWORD dst_unused:UNUSED_PAD src0_sel:WORD_0 src1_sel:DWORD
	v_mul_u32_u24_sdwa v57, v18, v143 dst_sel:DWORD dst_unused:UNUSED_PAD src0_sel:WORD_1 src1_sel:DWORD
	;; [unrolled: 2-line block ×4, first 2 shown]
	ds_read_b128 v[17:20], v140 offset:1152
	v_pk_fma_f16 v40, v21, v54, v40
	v_pk_fma_f16 v41, v21, v55, v41
	;; [unrolled: 1-line block ×8, first 2 shown]
	s_waitcnt lgkmcnt(0)
	v_mul_u32_u24_sdwa v62, v17, v143 dst_sel:DWORD dst_unused:UNUSED_PAD src0_sel:WORD_0 src1_sel:DWORD
	v_mul_u32_u24_sdwa v17, v17, v143 dst_sel:DWORD dst_unused:UNUSED_PAD src0_sel:WORD_1 src1_sel:DWORD
	v_mul_u32_u24_sdwa v63, v18, v143 dst_sel:DWORD dst_unused:UNUSED_PAD src0_sel:WORD_0 src1_sel:DWORD
	v_mul_u32_u24_sdwa v18, v18, v143 dst_sel:DWORD dst_unused:UNUSED_PAD src0_sel:WORD_1 src1_sel:DWORD
	;; [unrolled: 2-line block ×4, first 2 shown]
	v_pk_fma_f16 v46, v21, v62, v46
	v_pk_fma_f16 v47, v21, v17, v47
	;; [unrolled: 1-line block ×8, first 2 shown]
	ds_read_b128 v[17:20], v140 offset:144
	s_waitcnt lgkmcnt(0)
	v_mul_u32_u24_sdwa v53, v17, v143 dst_sel:DWORD dst_unused:UNUSED_PAD src0_sel:WORD_0 src1_sel:DWORD
	v_mul_u32_u24_sdwa v54, v17, v143 dst_sel:DWORD dst_unused:UNUSED_PAD src0_sel:WORD_1 src1_sel:DWORD
	v_mul_u32_u24_sdwa v55, v18, v143 dst_sel:DWORD dst_unused:UNUSED_PAD src0_sel:WORD_0 src1_sel:DWORD
	v_mul_u32_u24_sdwa v56, v18, v143 dst_sel:DWORD dst_unused:UNUSED_PAD src0_sel:WORD_1 src1_sel:DWORD
	;; [unrolled: 2-line block ×4, first 2 shown]
	ds_read_b128 v[17:20], v140 offset:1168
	v_pk_fma_f16 v40, v22, v53, v40
	v_pk_fma_f16 v41, v22, v54, v41
	;; [unrolled: 1-line block ×8, first 2 shown]
	s_waitcnt lgkmcnt(0)
	v_mul_u32_u24_sdwa v61, v17, v143 dst_sel:DWORD dst_unused:UNUSED_PAD src0_sel:WORD_0 src1_sel:DWORD
	v_mul_u32_u24_sdwa v17, v17, v143 dst_sel:DWORD dst_unused:UNUSED_PAD src0_sel:WORD_1 src1_sel:DWORD
	v_mul_u32_u24_sdwa v62, v18, v143 dst_sel:DWORD dst_unused:UNUSED_PAD src0_sel:WORD_0 src1_sel:DWORD
	v_mul_u32_u24_sdwa v18, v18, v143 dst_sel:DWORD dst_unused:UNUSED_PAD src0_sel:WORD_1 src1_sel:DWORD
	;; [unrolled: 2-line block ×4, first 2 shown]
	v_pk_fma_f16 v46, v22, v61, v46
	v_pk_fma_f16 v47, v22, v17, v47
	;; [unrolled: 1-line block ×8, first 2 shown]
	ds_read2_b32 v[21:22], v0 offset0:64 offset1:96
	ds_read_b128 v[17:20], v140 offset:160
	s_waitcnt lgkmcnt(0)
	v_mul_u32_u24_sdwa v54, v17, v143 dst_sel:DWORD dst_unused:UNUSED_PAD src0_sel:WORD_0 src1_sel:DWORD
	v_mul_u32_u24_sdwa v55, v17, v143 dst_sel:DWORD dst_unused:UNUSED_PAD src0_sel:WORD_1 src1_sel:DWORD
	v_mul_u32_u24_sdwa v56, v18, v143 dst_sel:DWORD dst_unused:UNUSED_PAD src0_sel:WORD_0 src1_sel:DWORD
	v_mul_u32_u24_sdwa v57, v18, v143 dst_sel:DWORD dst_unused:UNUSED_PAD src0_sel:WORD_1 src1_sel:DWORD
	v_mul_u32_u24_sdwa v58, v19, v143 dst_sel:DWORD dst_unused:UNUSED_PAD src0_sel:WORD_0 src1_sel:DWORD
	v_mul_u32_u24_sdwa v59, v19, v143 dst_sel:DWORD dst_unused:UNUSED_PAD src0_sel:WORD_1 src1_sel:DWORD
	v_mul_u32_u24_sdwa v60, v20, v143 dst_sel:DWORD dst_unused:UNUSED_PAD src0_sel:WORD_0 src1_sel:DWORD
	v_mul_u32_u24_sdwa v61, v20, v143 dst_sel:DWORD dst_unused:UNUSED_PAD src0_sel:WORD_1 src1_sel:DWORD
	ds_read_b128 v[17:20], v140 offset:1184
	v_pk_fma_f16 v40, v21, v54, v40
	v_pk_fma_f16 v41, v21, v55, v41
	;; [unrolled: 1-line block ×8, first 2 shown]
	s_waitcnt lgkmcnt(0)
	v_mul_u32_u24_sdwa v62, v17, v143 dst_sel:DWORD dst_unused:UNUSED_PAD src0_sel:WORD_0 src1_sel:DWORD
	v_mul_u32_u24_sdwa v17, v17, v143 dst_sel:DWORD dst_unused:UNUSED_PAD src0_sel:WORD_1 src1_sel:DWORD
	v_mul_u32_u24_sdwa v63, v18, v143 dst_sel:DWORD dst_unused:UNUSED_PAD src0_sel:WORD_0 src1_sel:DWORD
	v_mul_u32_u24_sdwa v18, v18, v143 dst_sel:DWORD dst_unused:UNUSED_PAD src0_sel:WORD_1 src1_sel:DWORD
	;; [unrolled: 2-line block ×4, first 2 shown]
	v_pk_fma_f16 v46, v21, v62, v46
	v_pk_fma_f16 v47, v21, v17, v47
	v_pk_fma_f16 v48, v21, v63, v48
	v_pk_fma_f16 v49, v21, v18, v49
	v_pk_fma_f16 v50, v21, v64, v50
	v_pk_fma_f16 v51, v21, v19, v51
	v_pk_fma_f16 v52, v21, v65, v52
	v_pk_fma_f16 v21, v21, v20, v53
	ds_read_b128 v[17:20], v140 offset:176
	s_waitcnt lgkmcnt(0)
	v_mul_u32_u24_sdwa v53, v17, v143 dst_sel:DWORD dst_unused:UNUSED_PAD src0_sel:WORD_0 src1_sel:DWORD
	v_mul_u32_u24_sdwa v54, v17, v143 dst_sel:DWORD dst_unused:UNUSED_PAD src0_sel:WORD_1 src1_sel:DWORD
	v_mul_u32_u24_sdwa v55, v18, v143 dst_sel:DWORD dst_unused:UNUSED_PAD src0_sel:WORD_0 src1_sel:DWORD
	v_mul_u32_u24_sdwa v56, v18, v143 dst_sel:DWORD dst_unused:UNUSED_PAD src0_sel:WORD_1 src1_sel:DWORD
	;; [unrolled: 2-line block ×4, first 2 shown]
	ds_read_b128 v[17:20], v140 offset:1200
	v_pk_fma_f16 v40, v22, v53, v40
	v_pk_fma_f16 v41, v22, v54, v41
	;; [unrolled: 1-line block ×8, first 2 shown]
	s_waitcnt lgkmcnt(0)
	v_mul_u32_u24_sdwa v61, v17, v143 dst_sel:DWORD dst_unused:UNUSED_PAD src0_sel:WORD_0 src1_sel:DWORD
	v_mul_u32_u24_sdwa v17, v17, v143 dst_sel:DWORD dst_unused:UNUSED_PAD src0_sel:WORD_1 src1_sel:DWORD
	v_mul_u32_u24_sdwa v62, v18, v143 dst_sel:DWORD dst_unused:UNUSED_PAD src0_sel:WORD_0 src1_sel:DWORD
	v_mul_u32_u24_sdwa v18, v18, v143 dst_sel:DWORD dst_unused:UNUSED_PAD src0_sel:WORD_1 src1_sel:DWORD
	;; [unrolled: 2-line block ×4, first 2 shown]
	v_pk_fma_f16 v46, v22, v61, v46
	v_pk_fma_f16 v47, v22, v17, v47
	;; [unrolled: 1-line block ×8, first 2 shown]
	ds_read2_b32 v[21:22], v0 offset0:128 offset1:160
	ds_read_b128 v[17:20], v140 offset:192
	s_waitcnt lgkmcnt(0)
	v_mul_u32_u24_sdwa v54, v17, v143 dst_sel:DWORD dst_unused:UNUSED_PAD src0_sel:WORD_0 src1_sel:DWORD
	v_mul_u32_u24_sdwa v55, v17, v143 dst_sel:DWORD dst_unused:UNUSED_PAD src0_sel:WORD_1 src1_sel:DWORD
	v_mul_u32_u24_sdwa v56, v18, v143 dst_sel:DWORD dst_unused:UNUSED_PAD src0_sel:WORD_0 src1_sel:DWORD
	v_mul_u32_u24_sdwa v57, v18, v143 dst_sel:DWORD dst_unused:UNUSED_PAD src0_sel:WORD_1 src1_sel:DWORD
	;; [unrolled: 2-line block ×4, first 2 shown]
	ds_read_b128 v[17:20], v140 offset:1216
	v_pk_fma_f16 v40, v21, v54, v40
	v_pk_fma_f16 v41, v21, v55, v41
	;; [unrolled: 1-line block ×8, first 2 shown]
	s_waitcnt lgkmcnt(0)
	v_mul_u32_u24_sdwa v62, v17, v143 dst_sel:DWORD dst_unused:UNUSED_PAD src0_sel:WORD_0 src1_sel:DWORD
	v_mul_u32_u24_sdwa v17, v17, v143 dst_sel:DWORD dst_unused:UNUSED_PAD src0_sel:WORD_1 src1_sel:DWORD
	v_mul_u32_u24_sdwa v63, v18, v143 dst_sel:DWORD dst_unused:UNUSED_PAD src0_sel:WORD_0 src1_sel:DWORD
	v_mul_u32_u24_sdwa v18, v18, v143 dst_sel:DWORD dst_unused:UNUSED_PAD src0_sel:WORD_1 src1_sel:DWORD
	;; [unrolled: 2-line block ×4, first 2 shown]
	v_pk_fma_f16 v46, v21, v62, v46
	v_pk_fma_f16 v47, v21, v17, v47
	;; [unrolled: 1-line block ×8, first 2 shown]
	ds_read_b128 v[17:20], v140 offset:208
	s_waitcnt lgkmcnt(0)
	v_mul_u32_u24_sdwa v53, v17, v143 dst_sel:DWORD dst_unused:UNUSED_PAD src0_sel:WORD_0 src1_sel:DWORD
	v_mul_u32_u24_sdwa v54, v17, v143 dst_sel:DWORD dst_unused:UNUSED_PAD src0_sel:WORD_1 src1_sel:DWORD
	v_mul_u32_u24_sdwa v55, v18, v143 dst_sel:DWORD dst_unused:UNUSED_PAD src0_sel:WORD_0 src1_sel:DWORD
	v_mul_u32_u24_sdwa v56, v18, v143 dst_sel:DWORD dst_unused:UNUSED_PAD src0_sel:WORD_1 src1_sel:DWORD
	;; [unrolled: 2-line block ×4, first 2 shown]
	ds_read_b128 v[17:20], v140 offset:1232
	v_pk_fma_f16 v40, v22, v53, v40
	v_pk_fma_f16 v41, v22, v54, v41
	;; [unrolled: 1-line block ×8, first 2 shown]
	s_waitcnt lgkmcnt(0)
	v_mul_u32_u24_sdwa v61, v17, v143 dst_sel:DWORD dst_unused:UNUSED_PAD src0_sel:WORD_0 src1_sel:DWORD
	v_mul_u32_u24_sdwa v17, v17, v143 dst_sel:DWORD dst_unused:UNUSED_PAD src0_sel:WORD_1 src1_sel:DWORD
	v_mul_u32_u24_sdwa v62, v18, v143 dst_sel:DWORD dst_unused:UNUSED_PAD src0_sel:WORD_0 src1_sel:DWORD
	v_mul_u32_u24_sdwa v18, v18, v143 dst_sel:DWORD dst_unused:UNUSED_PAD src0_sel:WORD_1 src1_sel:DWORD
	;; [unrolled: 2-line block ×4, first 2 shown]
	v_pk_fma_f16 v46, v22, v61, v46
	v_pk_fma_f16 v47, v22, v17, v47
	;; [unrolled: 1-line block ×8, first 2 shown]
	ds_read2_b32 v[21:22], v0 offset0:192 offset1:224
	ds_read_b128 v[17:20], v140 offset:224
	s_waitcnt lgkmcnt(0)
	v_mul_u32_u24_sdwa v54, v17, v143 dst_sel:DWORD dst_unused:UNUSED_PAD src0_sel:WORD_0 src1_sel:DWORD
	v_mul_u32_u24_sdwa v55, v17, v143 dst_sel:DWORD dst_unused:UNUSED_PAD src0_sel:WORD_1 src1_sel:DWORD
	v_mul_u32_u24_sdwa v56, v18, v143 dst_sel:DWORD dst_unused:UNUSED_PAD src0_sel:WORD_0 src1_sel:DWORD
	v_mul_u32_u24_sdwa v57, v18, v143 dst_sel:DWORD dst_unused:UNUSED_PAD src0_sel:WORD_1 src1_sel:DWORD
	;; [unrolled: 2-line block ×4, first 2 shown]
	ds_read_b128 v[17:20], v140 offset:1248
	v_pk_fma_f16 v40, v21, v54, v40
	v_pk_fma_f16 v41, v21, v55, v41
	;; [unrolled: 1-line block ×8, first 2 shown]
	s_waitcnt lgkmcnt(0)
	v_mul_u32_u24_sdwa v62, v17, v143 dst_sel:DWORD dst_unused:UNUSED_PAD src0_sel:WORD_0 src1_sel:DWORD
	v_mul_u32_u24_sdwa v17, v17, v143 dst_sel:DWORD dst_unused:UNUSED_PAD src0_sel:WORD_1 src1_sel:DWORD
	v_mul_u32_u24_sdwa v63, v18, v143 dst_sel:DWORD dst_unused:UNUSED_PAD src0_sel:WORD_0 src1_sel:DWORD
	v_mul_u32_u24_sdwa v18, v18, v143 dst_sel:DWORD dst_unused:UNUSED_PAD src0_sel:WORD_1 src1_sel:DWORD
	;; [unrolled: 2-line block ×4, first 2 shown]
	v_pk_fma_f16 v46, v21, v62, v46
	v_pk_fma_f16 v47, v21, v17, v47
	;; [unrolled: 1-line block ×8, first 2 shown]
	ds_read_b128 v[17:20], v140 offset:240
	s_waitcnt lgkmcnt(0)
	v_mul_u32_u24_sdwa v53, v17, v143 dst_sel:DWORD dst_unused:UNUSED_PAD src0_sel:WORD_0 src1_sel:DWORD
	v_mul_u32_u24_sdwa v54, v17, v143 dst_sel:DWORD dst_unused:UNUSED_PAD src0_sel:WORD_1 src1_sel:DWORD
	v_mul_u32_u24_sdwa v55, v18, v143 dst_sel:DWORD dst_unused:UNUSED_PAD src0_sel:WORD_0 src1_sel:DWORD
	v_mul_u32_u24_sdwa v56, v18, v143 dst_sel:DWORD dst_unused:UNUSED_PAD src0_sel:WORD_1 src1_sel:DWORD
	;; [unrolled: 2-line block ×4, first 2 shown]
	ds_read_b128 v[17:20], v140 offset:1264
	v_pk_fma_f16 v40, v22, v53, v40
	v_pk_fma_f16 v41, v22, v54, v41
	;; [unrolled: 1-line block ×8, first 2 shown]
	s_waitcnt lgkmcnt(0)
	v_mul_u32_u24_sdwa v61, v17, v143 dst_sel:DWORD dst_unused:UNUSED_PAD src0_sel:WORD_0 src1_sel:DWORD
	v_mul_u32_u24_sdwa v17, v17, v143 dst_sel:DWORD dst_unused:UNUSED_PAD src0_sel:WORD_1 src1_sel:DWORD
	v_mul_u32_u24_sdwa v62, v18, v143 dst_sel:DWORD dst_unused:UNUSED_PAD src0_sel:WORD_0 src1_sel:DWORD
	v_mul_u32_u24_sdwa v18, v18, v143 dst_sel:DWORD dst_unused:UNUSED_PAD src0_sel:WORD_1 src1_sel:DWORD
	;; [unrolled: 2-line block ×4, first 2 shown]
	v_pk_fma_f16 v46, v22, v61, v46
	v_pk_fma_f16 v47, v22, v17, v47
	;; [unrolled: 1-line block ×8, first 2 shown]
	ds_read2_b32 v[21:22], v111 offset1:32
	ds_read_b128 v[17:20], v140 offset:256
	s_waitcnt lgkmcnt(0)
	v_mul_u32_u24_sdwa v54, v17, v143 dst_sel:DWORD dst_unused:UNUSED_PAD src0_sel:WORD_0 src1_sel:DWORD
	v_mul_u32_u24_sdwa v55, v17, v143 dst_sel:DWORD dst_unused:UNUSED_PAD src0_sel:WORD_1 src1_sel:DWORD
	v_mul_u32_u24_sdwa v56, v18, v143 dst_sel:DWORD dst_unused:UNUSED_PAD src0_sel:WORD_0 src1_sel:DWORD
	v_mul_u32_u24_sdwa v57, v18, v143 dst_sel:DWORD dst_unused:UNUSED_PAD src0_sel:WORD_1 src1_sel:DWORD
	;; [unrolled: 2-line block ×4, first 2 shown]
	ds_read_b128 v[17:20], v140 offset:1280
	v_pk_fma_f16 v40, v21, v54, v40
	v_pk_fma_f16 v41, v21, v55, v41
	;; [unrolled: 1-line block ×8, first 2 shown]
	s_waitcnt lgkmcnt(0)
	v_mul_u32_u24_sdwa v62, v17, v143 dst_sel:DWORD dst_unused:UNUSED_PAD src0_sel:WORD_0 src1_sel:DWORD
	v_mul_u32_u24_sdwa v17, v17, v143 dst_sel:DWORD dst_unused:UNUSED_PAD src0_sel:WORD_1 src1_sel:DWORD
	v_mul_u32_u24_sdwa v63, v18, v143 dst_sel:DWORD dst_unused:UNUSED_PAD src0_sel:WORD_0 src1_sel:DWORD
	v_mul_u32_u24_sdwa v18, v18, v143 dst_sel:DWORD dst_unused:UNUSED_PAD src0_sel:WORD_1 src1_sel:DWORD
	;; [unrolled: 2-line block ×4, first 2 shown]
	v_pk_fma_f16 v46, v21, v62, v46
	v_pk_fma_f16 v47, v21, v17, v47
	;; [unrolled: 1-line block ×8, first 2 shown]
	ds_read_b128 v[17:20], v140 offset:272
	s_waitcnt lgkmcnt(0)
	v_mul_u32_u24_sdwa v53, v17, v143 dst_sel:DWORD dst_unused:UNUSED_PAD src0_sel:WORD_0 src1_sel:DWORD
	v_mul_u32_u24_sdwa v54, v17, v143 dst_sel:DWORD dst_unused:UNUSED_PAD src0_sel:WORD_1 src1_sel:DWORD
	v_mul_u32_u24_sdwa v55, v18, v143 dst_sel:DWORD dst_unused:UNUSED_PAD src0_sel:WORD_0 src1_sel:DWORD
	v_mul_u32_u24_sdwa v56, v18, v143 dst_sel:DWORD dst_unused:UNUSED_PAD src0_sel:WORD_1 src1_sel:DWORD
	;; [unrolled: 2-line block ×4, first 2 shown]
	ds_read_b128 v[17:20], v140 offset:1296
	v_pk_fma_f16 v40, v22, v53, v40
	v_pk_fma_f16 v41, v22, v54, v41
	v_pk_fma_f16 v42, v22, v55, v42
	v_pk_fma_f16 v43, v22, v56, v43
	v_pk_fma_f16 v44, v22, v57, v44
	v_pk_fma_f16 v23, v22, v58, v23
	v_pk_fma_f16 v45, v22, v59, v45
	v_pk_fma_f16 v24, v22, v60, v24
	s_waitcnt lgkmcnt(0)
	v_mul_u32_u24_sdwa v61, v17, v143 dst_sel:DWORD dst_unused:UNUSED_PAD src0_sel:WORD_0 src1_sel:DWORD
	v_mul_u32_u24_sdwa v17, v17, v143 dst_sel:DWORD dst_unused:UNUSED_PAD src0_sel:WORD_1 src1_sel:DWORD
	v_mul_u32_u24_sdwa v62, v18, v143 dst_sel:DWORD dst_unused:UNUSED_PAD src0_sel:WORD_0 src1_sel:DWORD
	v_mul_u32_u24_sdwa v18, v18, v143 dst_sel:DWORD dst_unused:UNUSED_PAD src0_sel:WORD_1 src1_sel:DWORD
	;; [unrolled: 2-line block ×4, first 2 shown]
	v_pk_fma_f16 v46, v22, v61, v46
	v_pk_fma_f16 v47, v22, v17, v47
	;; [unrolled: 1-line block ×8, first 2 shown]
	ds_read2_b32 v[21:22], v111 offset0:64 offset1:96
	ds_read_b128 v[17:20], v140 offset:288
	s_waitcnt lgkmcnt(0)
	v_mul_u32_u24_sdwa v54, v17, v143 dst_sel:DWORD dst_unused:UNUSED_PAD src0_sel:WORD_0 src1_sel:DWORD
	v_mul_u32_u24_sdwa v55, v17, v143 dst_sel:DWORD dst_unused:UNUSED_PAD src0_sel:WORD_1 src1_sel:DWORD
	v_mul_u32_u24_sdwa v56, v18, v143 dst_sel:DWORD dst_unused:UNUSED_PAD src0_sel:WORD_0 src1_sel:DWORD
	v_mul_u32_u24_sdwa v57, v18, v143 dst_sel:DWORD dst_unused:UNUSED_PAD src0_sel:WORD_1 src1_sel:DWORD
	;; [unrolled: 2-line block ×4, first 2 shown]
	ds_read_b128 v[17:20], v140 offset:1312
	v_pk_fma_f16 v40, v21, v54, v40
	v_pk_fma_f16 v41, v21, v55, v41
	;; [unrolled: 1-line block ×8, first 2 shown]
	s_waitcnt lgkmcnt(0)
	v_mul_u32_u24_sdwa v62, v17, v143 dst_sel:DWORD dst_unused:UNUSED_PAD src0_sel:WORD_0 src1_sel:DWORD
	v_mul_u32_u24_sdwa v17, v17, v143 dst_sel:DWORD dst_unused:UNUSED_PAD src0_sel:WORD_1 src1_sel:DWORD
	v_mul_u32_u24_sdwa v63, v18, v143 dst_sel:DWORD dst_unused:UNUSED_PAD src0_sel:WORD_0 src1_sel:DWORD
	v_mul_u32_u24_sdwa v18, v18, v143 dst_sel:DWORD dst_unused:UNUSED_PAD src0_sel:WORD_1 src1_sel:DWORD
	;; [unrolled: 2-line block ×4, first 2 shown]
	v_pk_fma_f16 v46, v21, v62, v46
	v_pk_fma_f16 v47, v21, v17, v47
	;; [unrolled: 1-line block ×8, first 2 shown]
	ds_read_b128 v[17:20], v140 offset:304
	s_waitcnt lgkmcnt(0)
	v_mul_u32_u24_sdwa v53, v17, v143 dst_sel:DWORD dst_unused:UNUSED_PAD src0_sel:WORD_0 src1_sel:DWORD
	v_mul_u32_u24_sdwa v54, v17, v143 dst_sel:DWORD dst_unused:UNUSED_PAD src0_sel:WORD_1 src1_sel:DWORD
	v_mul_u32_u24_sdwa v55, v18, v143 dst_sel:DWORD dst_unused:UNUSED_PAD src0_sel:WORD_0 src1_sel:DWORD
	v_mul_u32_u24_sdwa v56, v18, v143 dst_sel:DWORD dst_unused:UNUSED_PAD src0_sel:WORD_1 src1_sel:DWORD
	v_mul_u32_u24_sdwa v57, v19, v143 dst_sel:DWORD dst_unused:UNUSED_PAD src0_sel:WORD_0 src1_sel:DWORD
	v_mul_u32_u24_sdwa v58, v19, v143 dst_sel:DWORD dst_unused:UNUSED_PAD src0_sel:WORD_1 src1_sel:DWORD
	v_mul_u32_u24_sdwa v59, v20, v143 dst_sel:DWORD dst_unused:UNUSED_PAD src0_sel:WORD_0 src1_sel:DWORD
	v_mul_u32_u24_sdwa v60, v20, v143 dst_sel:DWORD dst_unused:UNUSED_PAD src0_sel:WORD_1 src1_sel:DWORD
	ds_read_b128 v[17:20], v140 offset:1328
	v_pk_fma_f16 v40, v22, v53, v40
	v_pk_fma_f16 v41, v22, v54, v41
	;; [unrolled: 1-line block ×8, first 2 shown]
	s_waitcnt lgkmcnt(0)
	v_mul_u32_u24_sdwa v61, v17, v143 dst_sel:DWORD dst_unused:UNUSED_PAD src0_sel:WORD_0 src1_sel:DWORD
	v_mul_u32_u24_sdwa v17, v17, v143 dst_sel:DWORD dst_unused:UNUSED_PAD src0_sel:WORD_1 src1_sel:DWORD
	v_mul_u32_u24_sdwa v62, v18, v143 dst_sel:DWORD dst_unused:UNUSED_PAD src0_sel:WORD_0 src1_sel:DWORD
	v_mul_u32_u24_sdwa v18, v18, v143 dst_sel:DWORD dst_unused:UNUSED_PAD src0_sel:WORD_1 src1_sel:DWORD
	;; [unrolled: 2-line block ×4, first 2 shown]
	v_pk_fma_f16 v46, v22, v61, v46
	v_pk_fma_f16 v47, v22, v17, v47
	;; [unrolled: 1-line block ×8, first 2 shown]
	ds_read2_b32 v[21:22], v111 offset0:128 offset1:160
	ds_read_b128 v[17:20], v140 offset:320
	s_waitcnt lgkmcnt(0)
	v_mul_u32_u24_sdwa v54, v17, v143 dst_sel:DWORD dst_unused:UNUSED_PAD src0_sel:WORD_0 src1_sel:DWORD
	v_mul_u32_u24_sdwa v55, v17, v143 dst_sel:DWORD dst_unused:UNUSED_PAD src0_sel:WORD_1 src1_sel:DWORD
	v_mul_u32_u24_sdwa v56, v18, v143 dst_sel:DWORD dst_unused:UNUSED_PAD src0_sel:WORD_0 src1_sel:DWORD
	v_mul_u32_u24_sdwa v57, v18, v143 dst_sel:DWORD dst_unused:UNUSED_PAD src0_sel:WORD_1 src1_sel:DWORD
	;; [unrolled: 2-line block ×4, first 2 shown]
	ds_read_b128 v[17:20], v140 offset:1344
	v_pk_fma_f16 v40, v21, v54, v40
	v_pk_fma_f16 v41, v21, v55, v41
	;; [unrolled: 1-line block ×8, first 2 shown]
	s_waitcnt lgkmcnt(0)
	v_mul_u32_u24_sdwa v62, v17, v143 dst_sel:DWORD dst_unused:UNUSED_PAD src0_sel:WORD_0 src1_sel:DWORD
	v_mul_u32_u24_sdwa v17, v17, v143 dst_sel:DWORD dst_unused:UNUSED_PAD src0_sel:WORD_1 src1_sel:DWORD
	v_mul_u32_u24_sdwa v63, v18, v143 dst_sel:DWORD dst_unused:UNUSED_PAD src0_sel:WORD_0 src1_sel:DWORD
	v_mul_u32_u24_sdwa v18, v18, v143 dst_sel:DWORD dst_unused:UNUSED_PAD src0_sel:WORD_1 src1_sel:DWORD
	;; [unrolled: 2-line block ×4, first 2 shown]
	v_pk_fma_f16 v46, v21, v62, v46
	v_pk_fma_f16 v47, v21, v17, v47
	;; [unrolled: 1-line block ×8, first 2 shown]
	ds_read_b128 v[17:20], v140 offset:336
	s_waitcnt lgkmcnt(0)
	v_mul_u32_u24_sdwa v53, v17, v143 dst_sel:DWORD dst_unused:UNUSED_PAD src0_sel:WORD_0 src1_sel:DWORD
	v_mul_u32_u24_sdwa v54, v17, v143 dst_sel:DWORD dst_unused:UNUSED_PAD src0_sel:WORD_1 src1_sel:DWORD
	v_mul_u32_u24_sdwa v55, v18, v143 dst_sel:DWORD dst_unused:UNUSED_PAD src0_sel:WORD_0 src1_sel:DWORD
	v_mul_u32_u24_sdwa v56, v18, v143 dst_sel:DWORD dst_unused:UNUSED_PAD src0_sel:WORD_1 src1_sel:DWORD
	;; [unrolled: 2-line block ×4, first 2 shown]
	ds_read_b128 v[17:20], v140 offset:1360
	v_pk_fma_f16 v40, v22, v53, v40
	v_pk_fma_f16 v41, v22, v54, v41
	;; [unrolled: 1-line block ×8, first 2 shown]
	s_waitcnt lgkmcnt(0)
	v_mul_u32_u24_sdwa v61, v17, v143 dst_sel:DWORD dst_unused:UNUSED_PAD src0_sel:WORD_0 src1_sel:DWORD
	v_mul_u32_u24_sdwa v17, v17, v143 dst_sel:DWORD dst_unused:UNUSED_PAD src0_sel:WORD_1 src1_sel:DWORD
	v_mul_u32_u24_sdwa v62, v18, v143 dst_sel:DWORD dst_unused:UNUSED_PAD src0_sel:WORD_0 src1_sel:DWORD
	v_mul_u32_u24_sdwa v18, v18, v143 dst_sel:DWORD dst_unused:UNUSED_PAD src0_sel:WORD_1 src1_sel:DWORD
	;; [unrolled: 2-line block ×4, first 2 shown]
	v_pk_fma_f16 v46, v22, v61, v46
	v_pk_fma_f16 v47, v22, v17, v47
	;; [unrolled: 1-line block ×8, first 2 shown]
	ds_read2_b32 v[21:22], v111 offset0:192 offset1:224
	ds_read_b128 v[17:20], v140 offset:352
	s_waitcnt lgkmcnt(0)
	v_mul_u32_u24_sdwa v54, v17, v143 dst_sel:DWORD dst_unused:UNUSED_PAD src0_sel:WORD_0 src1_sel:DWORD
	v_mul_u32_u24_sdwa v55, v17, v143 dst_sel:DWORD dst_unused:UNUSED_PAD src0_sel:WORD_1 src1_sel:DWORD
	v_mul_u32_u24_sdwa v56, v18, v143 dst_sel:DWORD dst_unused:UNUSED_PAD src0_sel:WORD_0 src1_sel:DWORD
	v_mul_u32_u24_sdwa v57, v18, v143 dst_sel:DWORD dst_unused:UNUSED_PAD src0_sel:WORD_1 src1_sel:DWORD
	;; [unrolled: 2-line block ×4, first 2 shown]
	ds_read_b128 v[17:20], v140 offset:1376
	v_pk_fma_f16 v40, v21, v54, v40
	v_pk_fma_f16 v41, v21, v55, v41
	;; [unrolled: 1-line block ×8, first 2 shown]
	s_waitcnt lgkmcnt(0)
	v_mul_u32_u24_sdwa v62, v17, v143 dst_sel:DWORD dst_unused:UNUSED_PAD src0_sel:WORD_0 src1_sel:DWORD
	v_mul_u32_u24_sdwa v17, v17, v143 dst_sel:DWORD dst_unused:UNUSED_PAD src0_sel:WORD_1 src1_sel:DWORD
	v_mul_u32_u24_sdwa v63, v18, v143 dst_sel:DWORD dst_unused:UNUSED_PAD src0_sel:WORD_0 src1_sel:DWORD
	v_mul_u32_u24_sdwa v18, v18, v143 dst_sel:DWORD dst_unused:UNUSED_PAD src0_sel:WORD_1 src1_sel:DWORD
	;; [unrolled: 2-line block ×4, first 2 shown]
	v_pk_fma_f16 v46, v21, v62, v46
	v_pk_fma_f16 v47, v21, v17, v47
	;; [unrolled: 1-line block ×8, first 2 shown]
	ds_read_b128 v[17:20], v140 offset:368
	s_waitcnt lgkmcnt(0)
	v_mul_u32_u24_sdwa v53, v17, v143 dst_sel:DWORD dst_unused:UNUSED_PAD src0_sel:WORD_0 src1_sel:DWORD
	v_mul_u32_u24_sdwa v54, v17, v143 dst_sel:DWORD dst_unused:UNUSED_PAD src0_sel:WORD_1 src1_sel:DWORD
	v_mul_u32_u24_sdwa v55, v18, v143 dst_sel:DWORD dst_unused:UNUSED_PAD src0_sel:WORD_0 src1_sel:DWORD
	v_mul_u32_u24_sdwa v56, v18, v143 dst_sel:DWORD dst_unused:UNUSED_PAD src0_sel:WORD_1 src1_sel:DWORD
	;; [unrolled: 2-line block ×4, first 2 shown]
	ds_read_b128 v[17:20], v140 offset:1392
	v_pk_fma_f16 v40, v22, v53, v40
	v_pk_fma_f16 v41, v22, v54, v41
	;; [unrolled: 1-line block ×8, first 2 shown]
	s_waitcnt lgkmcnt(0)
	v_mul_u32_u24_sdwa v61, v17, v143 dst_sel:DWORD dst_unused:UNUSED_PAD src0_sel:WORD_0 src1_sel:DWORD
	v_mul_u32_u24_sdwa v17, v17, v143 dst_sel:DWORD dst_unused:UNUSED_PAD src0_sel:WORD_1 src1_sel:DWORD
	v_mul_u32_u24_sdwa v62, v18, v143 dst_sel:DWORD dst_unused:UNUSED_PAD src0_sel:WORD_0 src1_sel:DWORD
	v_mul_u32_u24_sdwa v18, v18, v143 dst_sel:DWORD dst_unused:UNUSED_PAD src0_sel:WORD_1 src1_sel:DWORD
	;; [unrolled: 2-line block ×4, first 2 shown]
	v_pk_fma_f16 v46, v22, v61, v46
	v_pk_fma_f16 v47, v22, v17, v47
	;; [unrolled: 1-line block ×8, first 2 shown]
	ds_read2_b32 v[21:22], v116 offset1:32
	ds_read_b128 v[17:20], v140 offset:384
	s_waitcnt lgkmcnt(0)
	v_mul_u32_u24_sdwa v54, v17, v143 dst_sel:DWORD dst_unused:UNUSED_PAD src0_sel:WORD_0 src1_sel:DWORD
	v_mul_u32_u24_sdwa v55, v17, v143 dst_sel:DWORD dst_unused:UNUSED_PAD src0_sel:WORD_1 src1_sel:DWORD
	v_mul_u32_u24_sdwa v56, v18, v143 dst_sel:DWORD dst_unused:UNUSED_PAD src0_sel:WORD_0 src1_sel:DWORD
	v_mul_u32_u24_sdwa v57, v18, v143 dst_sel:DWORD dst_unused:UNUSED_PAD src0_sel:WORD_1 src1_sel:DWORD
	v_mul_u32_u24_sdwa v58, v19, v143 dst_sel:DWORD dst_unused:UNUSED_PAD src0_sel:WORD_0 src1_sel:DWORD
	v_mul_u32_u24_sdwa v59, v19, v143 dst_sel:DWORD dst_unused:UNUSED_PAD src0_sel:WORD_1 src1_sel:DWORD
	v_mul_u32_u24_sdwa v60, v20, v143 dst_sel:DWORD dst_unused:UNUSED_PAD src0_sel:WORD_0 src1_sel:DWORD
	v_mul_u32_u24_sdwa v61, v20, v143 dst_sel:DWORD dst_unused:UNUSED_PAD src0_sel:WORD_1 src1_sel:DWORD
	ds_read_b128 v[17:20], v140 offset:1408
	v_pk_fma_f16 v40, v21, v54, v40
	v_pk_fma_f16 v41, v21, v55, v41
	;; [unrolled: 1-line block ×8, first 2 shown]
	s_waitcnt lgkmcnt(0)
	v_mul_u32_u24_sdwa v62, v17, v143 dst_sel:DWORD dst_unused:UNUSED_PAD src0_sel:WORD_0 src1_sel:DWORD
	v_mul_u32_u24_sdwa v17, v17, v143 dst_sel:DWORD dst_unused:UNUSED_PAD src0_sel:WORD_1 src1_sel:DWORD
	v_mul_u32_u24_sdwa v63, v18, v143 dst_sel:DWORD dst_unused:UNUSED_PAD src0_sel:WORD_0 src1_sel:DWORD
	v_mul_u32_u24_sdwa v18, v18, v143 dst_sel:DWORD dst_unused:UNUSED_PAD src0_sel:WORD_1 src1_sel:DWORD
	;; [unrolled: 2-line block ×4, first 2 shown]
	v_pk_fma_f16 v46, v21, v62, v46
	v_pk_fma_f16 v47, v21, v17, v47
	;; [unrolled: 1-line block ×8, first 2 shown]
	ds_read_b128 v[17:20], v140 offset:400
	s_waitcnt lgkmcnt(0)
	v_mul_u32_u24_sdwa v53, v17, v143 dst_sel:DWORD dst_unused:UNUSED_PAD src0_sel:WORD_0 src1_sel:DWORD
	v_mul_u32_u24_sdwa v54, v17, v143 dst_sel:DWORD dst_unused:UNUSED_PAD src0_sel:WORD_1 src1_sel:DWORD
	v_mul_u32_u24_sdwa v55, v18, v143 dst_sel:DWORD dst_unused:UNUSED_PAD src0_sel:WORD_0 src1_sel:DWORD
	v_mul_u32_u24_sdwa v56, v18, v143 dst_sel:DWORD dst_unused:UNUSED_PAD src0_sel:WORD_1 src1_sel:DWORD
	;; [unrolled: 2-line block ×4, first 2 shown]
	ds_read_b128 v[17:20], v140 offset:1424
	v_pk_fma_f16 v40, v22, v53, v40
	v_pk_fma_f16 v41, v22, v54, v41
	;; [unrolled: 1-line block ×8, first 2 shown]
	s_waitcnt lgkmcnt(0)
	v_mul_u32_u24_sdwa v61, v17, v143 dst_sel:DWORD dst_unused:UNUSED_PAD src0_sel:WORD_0 src1_sel:DWORD
	v_mul_u32_u24_sdwa v17, v17, v143 dst_sel:DWORD dst_unused:UNUSED_PAD src0_sel:WORD_1 src1_sel:DWORD
	v_mul_u32_u24_sdwa v62, v18, v143 dst_sel:DWORD dst_unused:UNUSED_PAD src0_sel:WORD_0 src1_sel:DWORD
	v_mul_u32_u24_sdwa v18, v18, v143 dst_sel:DWORD dst_unused:UNUSED_PAD src0_sel:WORD_1 src1_sel:DWORD
	;; [unrolled: 2-line block ×4, first 2 shown]
	v_pk_fma_f16 v46, v22, v61, v46
	v_pk_fma_f16 v47, v22, v17, v47
	v_pk_fma_f16 v48, v22, v62, v48
	v_pk_fma_f16 v49, v22, v18, v49
	v_pk_fma_f16 v50, v22, v63, v50
	v_pk_fma_f16 v51, v22, v19, v51
	v_pk_fma_f16 v52, v22, v64, v52
	v_pk_fma_f16 v53, v22, v20, v21
	ds_read2_b32 v[21:22], v116 offset0:64 offset1:96
	ds_read_b128 v[17:20], v140 offset:416
	s_waitcnt lgkmcnt(0)
	v_mul_u32_u24_sdwa v54, v17, v143 dst_sel:DWORD dst_unused:UNUSED_PAD src0_sel:WORD_0 src1_sel:DWORD
	v_mul_u32_u24_sdwa v55, v17, v143 dst_sel:DWORD dst_unused:UNUSED_PAD src0_sel:WORD_1 src1_sel:DWORD
	v_mul_u32_u24_sdwa v56, v18, v143 dst_sel:DWORD dst_unused:UNUSED_PAD src0_sel:WORD_0 src1_sel:DWORD
	v_mul_u32_u24_sdwa v57, v18, v143 dst_sel:DWORD dst_unused:UNUSED_PAD src0_sel:WORD_1 src1_sel:DWORD
	;; [unrolled: 2-line block ×4, first 2 shown]
	ds_read_b128 v[17:20], v140 offset:1440
	v_pk_fma_f16 v40, v21, v54, v40
	v_pk_fma_f16 v41, v21, v55, v41
	;; [unrolled: 1-line block ×8, first 2 shown]
	s_waitcnt lgkmcnt(0)
	v_mul_u32_u24_sdwa v62, v17, v143 dst_sel:DWORD dst_unused:UNUSED_PAD src0_sel:WORD_0 src1_sel:DWORD
	v_mul_u32_u24_sdwa v17, v17, v143 dst_sel:DWORD dst_unused:UNUSED_PAD src0_sel:WORD_1 src1_sel:DWORD
	v_mul_u32_u24_sdwa v63, v18, v143 dst_sel:DWORD dst_unused:UNUSED_PAD src0_sel:WORD_0 src1_sel:DWORD
	v_mul_u32_u24_sdwa v18, v18, v143 dst_sel:DWORD dst_unused:UNUSED_PAD src0_sel:WORD_1 src1_sel:DWORD
	;; [unrolled: 2-line block ×4, first 2 shown]
	v_pk_fma_f16 v46, v21, v62, v46
	v_pk_fma_f16 v47, v21, v17, v47
	;; [unrolled: 1-line block ×8, first 2 shown]
	ds_read_b128 v[17:20], v140 offset:432
	s_waitcnt lgkmcnt(0)
	v_mul_u32_u24_sdwa v53, v17, v143 dst_sel:DWORD dst_unused:UNUSED_PAD src0_sel:WORD_0 src1_sel:DWORD
	v_mul_u32_u24_sdwa v54, v17, v143 dst_sel:DWORD dst_unused:UNUSED_PAD src0_sel:WORD_1 src1_sel:DWORD
	v_mul_u32_u24_sdwa v55, v18, v143 dst_sel:DWORD dst_unused:UNUSED_PAD src0_sel:WORD_0 src1_sel:DWORD
	v_mul_u32_u24_sdwa v56, v18, v143 dst_sel:DWORD dst_unused:UNUSED_PAD src0_sel:WORD_1 src1_sel:DWORD
	;; [unrolled: 2-line block ×4, first 2 shown]
	ds_read_b128 v[17:20], v140 offset:1456
	v_pk_fma_f16 v40, v22, v53, v40
	v_pk_fma_f16 v41, v22, v54, v41
	;; [unrolled: 1-line block ×8, first 2 shown]
	s_waitcnt lgkmcnt(0)
	v_mul_u32_u24_sdwa v61, v17, v143 dst_sel:DWORD dst_unused:UNUSED_PAD src0_sel:WORD_0 src1_sel:DWORD
	v_mul_u32_u24_sdwa v17, v17, v143 dst_sel:DWORD dst_unused:UNUSED_PAD src0_sel:WORD_1 src1_sel:DWORD
	v_mul_u32_u24_sdwa v62, v18, v143 dst_sel:DWORD dst_unused:UNUSED_PAD src0_sel:WORD_0 src1_sel:DWORD
	v_mul_u32_u24_sdwa v18, v18, v143 dst_sel:DWORD dst_unused:UNUSED_PAD src0_sel:WORD_1 src1_sel:DWORD
	;; [unrolled: 2-line block ×4, first 2 shown]
	v_pk_fma_f16 v46, v22, v61, v46
	v_pk_fma_f16 v47, v22, v17, v47
	;; [unrolled: 1-line block ×8, first 2 shown]
	ds_read2_b32 v[21:22], v116 offset0:128 offset1:160
	ds_read_b128 v[17:20], v140 offset:448
	s_waitcnt lgkmcnt(0)
	v_mul_u32_u24_sdwa v54, v17, v143 dst_sel:DWORD dst_unused:UNUSED_PAD src0_sel:WORD_0 src1_sel:DWORD
	v_mul_u32_u24_sdwa v55, v17, v143 dst_sel:DWORD dst_unused:UNUSED_PAD src0_sel:WORD_1 src1_sel:DWORD
	v_mul_u32_u24_sdwa v56, v18, v143 dst_sel:DWORD dst_unused:UNUSED_PAD src0_sel:WORD_0 src1_sel:DWORD
	v_mul_u32_u24_sdwa v57, v18, v143 dst_sel:DWORD dst_unused:UNUSED_PAD src0_sel:WORD_1 src1_sel:DWORD
	v_mul_u32_u24_sdwa v58, v19, v143 dst_sel:DWORD dst_unused:UNUSED_PAD src0_sel:WORD_0 src1_sel:DWORD
	v_mul_u32_u24_sdwa v59, v19, v143 dst_sel:DWORD dst_unused:UNUSED_PAD src0_sel:WORD_1 src1_sel:DWORD
	v_mul_u32_u24_sdwa v60, v20, v143 dst_sel:DWORD dst_unused:UNUSED_PAD src0_sel:WORD_0 src1_sel:DWORD
	v_mul_u32_u24_sdwa v61, v20, v143 dst_sel:DWORD dst_unused:UNUSED_PAD src0_sel:WORD_1 src1_sel:DWORD
	ds_read_b128 v[17:20], v140 offset:1472
	v_pk_fma_f16 v40, v21, v54, v40
	v_pk_fma_f16 v41, v21, v55, v41
	;; [unrolled: 1-line block ×8, first 2 shown]
	s_waitcnt lgkmcnt(0)
	v_mul_u32_u24_sdwa v62, v17, v143 dst_sel:DWORD dst_unused:UNUSED_PAD src0_sel:WORD_0 src1_sel:DWORD
	v_mul_u32_u24_sdwa v17, v17, v143 dst_sel:DWORD dst_unused:UNUSED_PAD src0_sel:WORD_1 src1_sel:DWORD
	v_mul_u32_u24_sdwa v63, v18, v143 dst_sel:DWORD dst_unused:UNUSED_PAD src0_sel:WORD_0 src1_sel:DWORD
	v_mul_u32_u24_sdwa v18, v18, v143 dst_sel:DWORD dst_unused:UNUSED_PAD src0_sel:WORD_1 src1_sel:DWORD
	;; [unrolled: 2-line block ×4, first 2 shown]
	v_pk_fma_f16 v46, v21, v62, v46
	v_pk_fma_f16 v47, v21, v17, v47
	;; [unrolled: 1-line block ×8, first 2 shown]
	ds_read_b128 v[17:20], v140 offset:464
	s_waitcnt lgkmcnt(0)
	v_mul_u32_u24_sdwa v53, v17, v143 dst_sel:DWORD dst_unused:UNUSED_PAD src0_sel:WORD_0 src1_sel:DWORD
	v_mul_u32_u24_sdwa v54, v17, v143 dst_sel:DWORD dst_unused:UNUSED_PAD src0_sel:WORD_1 src1_sel:DWORD
	v_mul_u32_u24_sdwa v55, v18, v143 dst_sel:DWORD dst_unused:UNUSED_PAD src0_sel:WORD_0 src1_sel:DWORD
	v_mul_u32_u24_sdwa v56, v18, v143 dst_sel:DWORD dst_unused:UNUSED_PAD src0_sel:WORD_1 src1_sel:DWORD
	;; [unrolled: 2-line block ×4, first 2 shown]
	ds_read_b128 v[17:20], v140 offset:1488
	v_pk_fma_f16 v40, v22, v53, v40
	v_pk_fma_f16 v41, v22, v54, v41
	;; [unrolled: 1-line block ×8, first 2 shown]
	s_waitcnt lgkmcnt(0)
	v_mul_u32_u24_sdwa v61, v17, v143 dst_sel:DWORD dst_unused:UNUSED_PAD src0_sel:WORD_0 src1_sel:DWORD
	v_mul_u32_u24_sdwa v17, v17, v143 dst_sel:DWORD dst_unused:UNUSED_PAD src0_sel:WORD_1 src1_sel:DWORD
	v_mul_u32_u24_sdwa v62, v18, v143 dst_sel:DWORD dst_unused:UNUSED_PAD src0_sel:WORD_0 src1_sel:DWORD
	v_mul_u32_u24_sdwa v18, v18, v143 dst_sel:DWORD dst_unused:UNUSED_PAD src0_sel:WORD_1 src1_sel:DWORD
	;; [unrolled: 2-line block ×4, first 2 shown]
	v_pk_fma_f16 v46, v22, v61, v46
	v_pk_fma_f16 v47, v22, v17, v47
	;; [unrolled: 1-line block ×8, first 2 shown]
	ds_read2_b32 v[21:22], v116 offset0:192 offset1:224
	ds_read_b128 v[17:20], v140 offset:480
	s_waitcnt lgkmcnt(0)
	v_mul_u32_u24_sdwa v54, v17, v143 dst_sel:DWORD dst_unused:UNUSED_PAD src0_sel:WORD_0 src1_sel:DWORD
	v_mul_u32_u24_sdwa v55, v17, v143 dst_sel:DWORD dst_unused:UNUSED_PAD src0_sel:WORD_1 src1_sel:DWORD
	v_mul_u32_u24_sdwa v56, v18, v143 dst_sel:DWORD dst_unused:UNUSED_PAD src0_sel:WORD_0 src1_sel:DWORD
	v_mul_u32_u24_sdwa v57, v18, v143 dst_sel:DWORD dst_unused:UNUSED_PAD src0_sel:WORD_1 src1_sel:DWORD
	;; [unrolled: 2-line block ×4, first 2 shown]
	ds_read_b128 v[17:20], v140 offset:1504
	v_pk_fma_f16 v40, v21, v54, v40
	v_pk_fma_f16 v41, v21, v55, v41
	;; [unrolled: 1-line block ×8, first 2 shown]
	s_waitcnt lgkmcnt(0)
	v_mul_u32_u24_sdwa v62, v17, v143 dst_sel:DWORD dst_unused:UNUSED_PAD src0_sel:WORD_0 src1_sel:DWORD
	v_mul_u32_u24_sdwa v17, v17, v143 dst_sel:DWORD dst_unused:UNUSED_PAD src0_sel:WORD_1 src1_sel:DWORD
	v_mul_u32_u24_sdwa v63, v18, v143 dst_sel:DWORD dst_unused:UNUSED_PAD src0_sel:WORD_0 src1_sel:DWORD
	v_mul_u32_u24_sdwa v18, v18, v143 dst_sel:DWORD dst_unused:UNUSED_PAD src0_sel:WORD_1 src1_sel:DWORD
	;; [unrolled: 2-line block ×4, first 2 shown]
	v_pk_fma_f16 v46, v21, v62, v46
	v_pk_fma_f16 v47, v21, v17, v47
	;; [unrolled: 1-line block ×8, first 2 shown]
	ds_read_b128 v[17:20], v140 offset:496
	s_waitcnt lgkmcnt(0)
	v_mul_u32_u24_sdwa v53, v17, v143 dst_sel:DWORD dst_unused:UNUSED_PAD src0_sel:WORD_0 src1_sel:DWORD
	v_mul_u32_u24_sdwa v54, v17, v143 dst_sel:DWORD dst_unused:UNUSED_PAD src0_sel:WORD_1 src1_sel:DWORD
	v_mul_u32_u24_sdwa v55, v18, v143 dst_sel:DWORD dst_unused:UNUSED_PAD src0_sel:WORD_0 src1_sel:DWORD
	v_mul_u32_u24_sdwa v56, v18, v143 dst_sel:DWORD dst_unused:UNUSED_PAD src0_sel:WORD_1 src1_sel:DWORD
	;; [unrolled: 2-line block ×4, first 2 shown]
	ds_read_b128 v[17:20], v140 offset:1520
	v_pk_fma_f16 v40, v22, v53, v40
	v_pk_fma_f16 v41, v22, v54, v41
	;; [unrolled: 1-line block ×8, first 2 shown]
	s_waitcnt lgkmcnt(0)
	v_mul_u32_u24_sdwa v61, v17, v143 dst_sel:DWORD dst_unused:UNUSED_PAD src0_sel:WORD_0 src1_sel:DWORD
	v_mul_u32_u24_sdwa v17, v17, v143 dst_sel:DWORD dst_unused:UNUSED_PAD src0_sel:WORD_1 src1_sel:DWORD
	v_mul_u32_u24_sdwa v62, v18, v143 dst_sel:DWORD dst_unused:UNUSED_PAD src0_sel:WORD_0 src1_sel:DWORD
	v_mul_u32_u24_sdwa v18, v18, v143 dst_sel:DWORD dst_unused:UNUSED_PAD src0_sel:WORD_1 src1_sel:DWORD
	;; [unrolled: 2-line block ×4, first 2 shown]
	v_pk_fma_f16 v46, v22, v61, v46
	v_pk_fma_f16 v47, v22, v17, v47
	;; [unrolled: 1-line block ×8, first 2 shown]
	ds_read2_b32 v[21:22], v109 offset1:32
	ds_read_b128 v[17:20], v140 offset:512
	s_waitcnt lgkmcnt(0)
	v_mul_u32_u24_sdwa v54, v17, v143 dst_sel:DWORD dst_unused:UNUSED_PAD src0_sel:WORD_0 src1_sel:DWORD
	v_mul_u32_u24_sdwa v55, v17, v143 dst_sel:DWORD dst_unused:UNUSED_PAD src0_sel:WORD_1 src1_sel:DWORD
	v_mul_u32_u24_sdwa v56, v18, v143 dst_sel:DWORD dst_unused:UNUSED_PAD src0_sel:WORD_0 src1_sel:DWORD
	v_mul_u32_u24_sdwa v57, v18, v143 dst_sel:DWORD dst_unused:UNUSED_PAD src0_sel:WORD_1 src1_sel:DWORD
	;; [unrolled: 2-line block ×4, first 2 shown]
	ds_read_b128 v[17:20], v140 offset:1536
	v_pk_fma_f16 v40, v21, v54, v40
	v_pk_fma_f16 v41, v21, v55, v41
	;; [unrolled: 1-line block ×8, first 2 shown]
	s_waitcnt lgkmcnt(0)
	v_mul_u32_u24_sdwa v62, v17, v143 dst_sel:DWORD dst_unused:UNUSED_PAD src0_sel:WORD_0 src1_sel:DWORD
	v_mul_u32_u24_sdwa v17, v17, v143 dst_sel:DWORD dst_unused:UNUSED_PAD src0_sel:WORD_1 src1_sel:DWORD
	v_mul_u32_u24_sdwa v63, v18, v143 dst_sel:DWORD dst_unused:UNUSED_PAD src0_sel:WORD_0 src1_sel:DWORD
	v_mul_u32_u24_sdwa v18, v18, v143 dst_sel:DWORD dst_unused:UNUSED_PAD src0_sel:WORD_1 src1_sel:DWORD
	;; [unrolled: 2-line block ×4, first 2 shown]
	v_pk_fma_f16 v46, v21, v62, v46
	v_pk_fma_f16 v47, v21, v17, v47
	;; [unrolled: 1-line block ×8, first 2 shown]
	ds_read_b128 v[17:20], v140 offset:528
	s_waitcnt lgkmcnt(0)
	v_mul_u32_u24_sdwa v53, v17, v143 dst_sel:DWORD dst_unused:UNUSED_PAD src0_sel:WORD_0 src1_sel:DWORD
	v_mul_u32_u24_sdwa v54, v17, v143 dst_sel:DWORD dst_unused:UNUSED_PAD src0_sel:WORD_1 src1_sel:DWORD
	v_mul_u32_u24_sdwa v55, v18, v143 dst_sel:DWORD dst_unused:UNUSED_PAD src0_sel:WORD_0 src1_sel:DWORD
	v_mul_u32_u24_sdwa v56, v18, v143 dst_sel:DWORD dst_unused:UNUSED_PAD src0_sel:WORD_1 src1_sel:DWORD
	;; [unrolled: 2-line block ×4, first 2 shown]
	ds_read_b128 v[17:20], v140 offset:1552
	v_pk_fma_f16 v40, v22, v53, v40
	v_pk_fma_f16 v41, v22, v54, v41
	;; [unrolled: 1-line block ×8, first 2 shown]
	s_waitcnt lgkmcnt(0)
	v_mul_u32_u24_sdwa v61, v17, v143 dst_sel:DWORD dst_unused:UNUSED_PAD src0_sel:WORD_0 src1_sel:DWORD
	v_mul_u32_u24_sdwa v17, v17, v143 dst_sel:DWORD dst_unused:UNUSED_PAD src0_sel:WORD_1 src1_sel:DWORD
	v_mul_u32_u24_sdwa v62, v18, v143 dst_sel:DWORD dst_unused:UNUSED_PAD src0_sel:WORD_0 src1_sel:DWORD
	v_mul_u32_u24_sdwa v18, v18, v143 dst_sel:DWORD dst_unused:UNUSED_PAD src0_sel:WORD_1 src1_sel:DWORD
	v_mul_u32_u24_sdwa v63, v19, v143 dst_sel:DWORD dst_unused:UNUSED_PAD src0_sel:WORD_0 src1_sel:DWORD
	v_mul_u32_u24_sdwa v19, v19, v143 dst_sel:DWORD dst_unused:UNUSED_PAD src0_sel:WORD_1 src1_sel:DWORD
	v_mul_u32_u24_sdwa v64, v20, v143 dst_sel:DWORD dst_unused:UNUSED_PAD src0_sel:WORD_0 src1_sel:DWORD
	v_mul_u32_u24_sdwa v20, v20, v143 dst_sel:DWORD dst_unused:UNUSED_PAD src0_sel:WORD_1 src1_sel:DWORD
	v_pk_fma_f16 v46, v22, v61, v46
	v_pk_fma_f16 v47, v22, v17, v47
	;; [unrolled: 1-line block ×8, first 2 shown]
	ds_read2_b32 v[21:22], v109 offset0:64 offset1:96
	ds_read_b128 v[17:20], v140 offset:544
	s_waitcnt lgkmcnt(0)
	v_mul_u32_u24_sdwa v54, v17, v143 dst_sel:DWORD dst_unused:UNUSED_PAD src0_sel:WORD_0 src1_sel:DWORD
	v_mul_u32_u24_sdwa v55, v17, v143 dst_sel:DWORD dst_unused:UNUSED_PAD src0_sel:WORD_1 src1_sel:DWORD
	v_mul_u32_u24_sdwa v56, v18, v143 dst_sel:DWORD dst_unused:UNUSED_PAD src0_sel:WORD_0 src1_sel:DWORD
	v_mul_u32_u24_sdwa v57, v18, v143 dst_sel:DWORD dst_unused:UNUSED_PAD src0_sel:WORD_1 src1_sel:DWORD
	v_mul_u32_u24_sdwa v58, v19, v143 dst_sel:DWORD dst_unused:UNUSED_PAD src0_sel:WORD_0 src1_sel:DWORD
	v_mul_u32_u24_sdwa v59, v19, v143 dst_sel:DWORD dst_unused:UNUSED_PAD src0_sel:WORD_1 src1_sel:DWORD
	v_mul_u32_u24_sdwa v60, v20, v143 dst_sel:DWORD dst_unused:UNUSED_PAD src0_sel:WORD_0 src1_sel:DWORD
	v_mul_u32_u24_sdwa v61, v20, v143 dst_sel:DWORD dst_unused:UNUSED_PAD src0_sel:WORD_1 src1_sel:DWORD
	ds_read_b128 v[17:20], v140 offset:1568
	v_pk_fma_f16 v40, v21, v54, v40
	v_pk_fma_f16 v41, v21, v55, v41
	;; [unrolled: 1-line block ×8, first 2 shown]
	s_waitcnt lgkmcnt(0)
	v_mul_u32_u24_sdwa v62, v17, v143 dst_sel:DWORD dst_unused:UNUSED_PAD src0_sel:WORD_0 src1_sel:DWORD
	v_mul_u32_u24_sdwa v17, v17, v143 dst_sel:DWORD dst_unused:UNUSED_PAD src0_sel:WORD_1 src1_sel:DWORD
	v_mul_u32_u24_sdwa v63, v18, v143 dst_sel:DWORD dst_unused:UNUSED_PAD src0_sel:WORD_0 src1_sel:DWORD
	v_mul_u32_u24_sdwa v18, v18, v143 dst_sel:DWORD dst_unused:UNUSED_PAD src0_sel:WORD_1 src1_sel:DWORD
	;; [unrolled: 2-line block ×4, first 2 shown]
	v_pk_fma_f16 v46, v21, v62, v46
	v_pk_fma_f16 v47, v21, v17, v47
	;; [unrolled: 1-line block ×8, first 2 shown]
	ds_read_b128 v[17:20], v140 offset:560
	s_waitcnt lgkmcnt(0)
	v_mul_u32_u24_sdwa v53, v17, v143 dst_sel:DWORD dst_unused:UNUSED_PAD src0_sel:WORD_0 src1_sel:DWORD
	v_mul_u32_u24_sdwa v54, v17, v143 dst_sel:DWORD dst_unused:UNUSED_PAD src0_sel:WORD_1 src1_sel:DWORD
	v_mul_u32_u24_sdwa v55, v18, v143 dst_sel:DWORD dst_unused:UNUSED_PAD src0_sel:WORD_0 src1_sel:DWORD
	v_mul_u32_u24_sdwa v56, v18, v143 dst_sel:DWORD dst_unused:UNUSED_PAD src0_sel:WORD_1 src1_sel:DWORD
	;; [unrolled: 2-line block ×4, first 2 shown]
	ds_read_b128 v[17:20], v140 offset:1584
	v_pk_fma_f16 v40, v22, v53, v40
	v_pk_fma_f16 v41, v22, v54, v41
	;; [unrolled: 1-line block ×8, first 2 shown]
	s_waitcnt lgkmcnt(0)
	v_mul_u32_u24_sdwa v61, v17, v143 dst_sel:DWORD dst_unused:UNUSED_PAD src0_sel:WORD_0 src1_sel:DWORD
	v_mul_u32_u24_sdwa v17, v17, v143 dst_sel:DWORD dst_unused:UNUSED_PAD src0_sel:WORD_1 src1_sel:DWORD
	v_mul_u32_u24_sdwa v62, v18, v143 dst_sel:DWORD dst_unused:UNUSED_PAD src0_sel:WORD_0 src1_sel:DWORD
	v_mul_u32_u24_sdwa v18, v18, v143 dst_sel:DWORD dst_unused:UNUSED_PAD src0_sel:WORD_1 src1_sel:DWORD
	;; [unrolled: 2-line block ×4, first 2 shown]
	v_pk_fma_f16 v46, v22, v61, v46
	v_pk_fma_f16 v47, v22, v17, v47
	;; [unrolled: 1-line block ×8, first 2 shown]
	ds_read2_b32 v[21:22], v109 offset0:128 offset1:160
	ds_read_b128 v[17:20], v140 offset:576
	s_waitcnt lgkmcnt(0)
	v_mul_u32_u24_sdwa v54, v17, v143 dst_sel:DWORD dst_unused:UNUSED_PAD src0_sel:WORD_0 src1_sel:DWORD
	v_mul_u32_u24_sdwa v55, v17, v143 dst_sel:DWORD dst_unused:UNUSED_PAD src0_sel:WORD_1 src1_sel:DWORD
	v_mul_u32_u24_sdwa v56, v18, v143 dst_sel:DWORD dst_unused:UNUSED_PAD src0_sel:WORD_0 src1_sel:DWORD
	v_mul_u32_u24_sdwa v57, v18, v143 dst_sel:DWORD dst_unused:UNUSED_PAD src0_sel:WORD_1 src1_sel:DWORD
	;; [unrolled: 2-line block ×4, first 2 shown]
	ds_read_b128 v[17:20], v140 offset:1600
	v_pk_fma_f16 v40, v21, v54, v40
	v_pk_fma_f16 v41, v21, v55, v41
	v_pk_fma_f16 v42, v21, v56, v42
	v_pk_fma_f16 v43, v21, v57, v43
	v_pk_fma_f16 v44, v21, v58, v44
	v_pk_fma_f16 v23, v21, v59, v23
	v_pk_fma_f16 v45, v21, v60, v45
	v_pk_fma_f16 v24, v21, v61, v24
	s_waitcnt lgkmcnt(0)
	v_mul_u32_u24_sdwa v62, v17, v143 dst_sel:DWORD dst_unused:UNUSED_PAD src0_sel:WORD_0 src1_sel:DWORD
	v_mul_u32_u24_sdwa v17, v17, v143 dst_sel:DWORD dst_unused:UNUSED_PAD src0_sel:WORD_1 src1_sel:DWORD
	v_mul_u32_u24_sdwa v63, v18, v143 dst_sel:DWORD dst_unused:UNUSED_PAD src0_sel:WORD_0 src1_sel:DWORD
	v_mul_u32_u24_sdwa v18, v18, v143 dst_sel:DWORD dst_unused:UNUSED_PAD src0_sel:WORD_1 src1_sel:DWORD
	;; [unrolled: 2-line block ×4, first 2 shown]
	v_pk_fma_f16 v46, v21, v62, v46
	v_pk_fma_f16 v47, v21, v17, v47
	;; [unrolled: 1-line block ×8, first 2 shown]
	ds_read_b128 v[17:20], v140 offset:592
	s_waitcnt lgkmcnt(0)
	v_mul_u32_u24_sdwa v53, v17, v143 dst_sel:DWORD dst_unused:UNUSED_PAD src0_sel:WORD_0 src1_sel:DWORD
	v_mul_u32_u24_sdwa v54, v17, v143 dst_sel:DWORD dst_unused:UNUSED_PAD src0_sel:WORD_1 src1_sel:DWORD
	v_mul_u32_u24_sdwa v55, v18, v143 dst_sel:DWORD dst_unused:UNUSED_PAD src0_sel:WORD_0 src1_sel:DWORD
	v_mul_u32_u24_sdwa v56, v18, v143 dst_sel:DWORD dst_unused:UNUSED_PAD src0_sel:WORD_1 src1_sel:DWORD
	;; [unrolled: 2-line block ×4, first 2 shown]
	ds_read_b128 v[17:20], v140 offset:1616
	v_pk_fma_f16 v40, v22, v53, v40
	v_pk_fma_f16 v41, v22, v54, v41
	;; [unrolled: 1-line block ×8, first 2 shown]
	s_waitcnt lgkmcnt(0)
	v_mul_u32_u24_sdwa v61, v17, v143 dst_sel:DWORD dst_unused:UNUSED_PAD src0_sel:WORD_0 src1_sel:DWORD
	v_mul_u32_u24_sdwa v17, v17, v143 dst_sel:DWORD dst_unused:UNUSED_PAD src0_sel:WORD_1 src1_sel:DWORD
	v_mul_u32_u24_sdwa v62, v18, v143 dst_sel:DWORD dst_unused:UNUSED_PAD src0_sel:WORD_0 src1_sel:DWORD
	v_mul_u32_u24_sdwa v18, v18, v143 dst_sel:DWORD dst_unused:UNUSED_PAD src0_sel:WORD_1 src1_sel:DWORD
	;; [unrolled: 2-line block ×4, first 2 shown]
	v_pk_fma_f16 v46, v22, v61, v46
	v_pk_fma_f16 v47, v22, v17, v47
	;; [unrolled: 1-line block ×8, first 2 shown]
	ds_read2_b32 v[21:22], v109 offset0:192 offset1:224
	ds_read_b128 v[17:20], v140 offset:608
	s_waitcnt lgkmcnt(0)
	v_mul_u32_u24_sdwa v54, v17, v143 dst_sel:DWORD dst_unused:UNUSED_PAD src0_sel:WORD_0 src1_sel:DWORD
	v_mul_u32_u24_sdwa v55, v17, v143 dst_sel:DWORD dst_unused:UNUSED_PAD src0_sel:WORD_1 src1_sel:DWORD
	v_mul_u32_u24_sdwa v56, v18, v143 dst_sel:DWORD dst_unused:UNUSED_PAD src0_sel:WORD_0 src1_sel:DWORD
	v_mul_u32_u24_sdwa v57, v18, v143 dst_sel:DWORD dst_unused:UNUSED_PAD src0_sel:WORD_1 src1_sel:DWORD
	;; [unrolled: 2-line block ×4, first 2 shown]
	ds_read_b128 v[17:20], v140 offset:1632
	v_pk_fma_f16 v40, v21, v54, v40
	v_pk_fma_f16 v41, v21, v55, v41
	;; [unrolled: 1-line block ×8, first 2 shown]
	s_waitcnt lgkmcnt(0)
	v_mul_u32_u24_sdwa v62, v17, v143 dst_sel:DWORD dst_unused:UNUSED_PAD src0_sel:WORD_0 src1_sel:DWORD
	v_mul_u32_u24_sdwa v17, v17, v143 dst_sel:DWORD dst_unused:UNUSED_PAD src0_sel:WORD_1 src1_sel:DWORD
	v_mul_u32_u24_sdwa v63, v18, v143 dst_sel:DWORD dst_unused:UNUSED_PAD src0_sel:WORD_0 src1_sel:DWORD
	v_mul_u32_u24_sdwa v18, v18, v143 dst_sel:DWORD dst_unused:UNUSED_PAD src0_sel:WORD_1 src1_sel:DWORD
	;; [unrolled: 2-line block ×4, first 2 shown]
	v_pk_fma_f16 v46, v21, v62, v46
	v_pk_fma_f16 v47, v21, v17, v47
	;; [unrolled: 1-line block ×8, first 2 shown]
	ds_read_b128 v[17:20], v140 offset:624
	s_waitcnt lgkmcnt(0)
	v_mul_u32_u24_sdwa v53, v17, v143 dst_sel:DWORD dst_unused:UNUSED_PAD src0_sel:WORD_0 src1_sel:DWORD
	v_mul_u32_u24_sdwa v54, v17, v143 dst_sel:DWORD dst_unused:UNUSED_PAD src0_sel:WORD_1 src1_sel:DWORD
	v_mul_u32_u24_sdwa v55, v18, v143 dst_sel:DWORD dst_unused:UNUSED_PAD src0_sel:WORD_0 src1_sel:DWORD
	v_mul_u32_u24_sdwa v56, v18, v143 dst_sel:DWORD dst_unused:UNUSED_PAD src0_sel:WORD_1 src1_sel:DWORD
	;; [unrolled: 2-line block ×4, first 2 shown]
	ds_read_b128 v[17:20], v140 offset:1648
	v_pk_fma_f16 v40, v22, v53, v40
	v_pk_fma_f16 v41, v22, v54, v41
	;; [unrolled: 1-line block ×8, first 2 shown]
	s_waitcnt lgkmcnt(0)
	v_mul_u32_u24_sdwa v61, v17, v143 dst_sel:DWORD dst_unused:UNUSED_PAD src0_sel:WORD_0 src1_sel:DWORD
	v_mul_u32_u24_sdwa v17, v17, v143 dst_sel:DWORD dst_unused:UNUSED_PAD src0_sel:WORD_1 src1_sel:DWORD
	v_mul_u32_u24_sdwa v62, v18, v143 dst_sel:DWORD dst_unused:UNUSED_PAD src0_sel:WORD_0 src1_sel:DWORD
	v_mul_u32_u24_sdwa v18, v18, v143 dst_sel:DWORD dst_unused:UNUSED_PAD src0_sel:WORD_1 src1_sel:DWORD
	;; [unrolled: 2-line block ×4, first 2 shown]
	v_pk_fma_f16 v46, v22, v61, v46
	v_pk_fma_f16 v47, v22, v17, v47
	;; [unrolled: 1-line block ×8, first 2 shown]
	ds_read2_b32 v[21:22], v121 offset1:32
	ds_read_b128 v[17:20], v140 offset:640
	s_waitcnt lgkmcnt(0)
	v_mul_u32_u24_sdwa v54, v17, v143 dst_sel:DWORD dst_unused:UNUSED_PAD src0_sel:WORD_0 src1_sel:DWORD
	v_mul_u32_u24_sdwa v55, v17, v143 dst_sel:DWORD dst_unused:UNUSED_PAD src0_sel:WORD_1 src1_sel:DWORD
	v_mul_u32_u24_sdwa v56, v18, v143 dst_sel:DWORD dst_unused:UNUSED_PAD src0_sel:WORD_0 src1_sel:DWORD
	v_mul_u32_u24_sdwa v57, v18, v143 dst_sel:DWORD dst_unused:UNUSED_PAD src0_sel:WORD_1 src1_sel:DWORD
	;; [unrolled: 2-line block ×4, first 2 shown]
	ds_read_b128 v[17:20], v140 offset:1664
	v_pk_fma_f16 v40, v21, v54, v40
	v_pk_fma_f16 v41, v21, v55, v41
	;; [unrolled: 1-line block ×8, first 2 shown]
	s_waitcnt lgkmcnt(0)
	v_mul_u32_u24_sdwa v62, v17, v143 dst_sel:DWORD dst_unused:UNUSED_PAD src0_sel:WORD_0 src1_sel:DWORD
	v_mul_u32_u24_sdwa v17, v17, v143 dst_sel:DWORD dst_unused:UNUSED_PAD src0_sel:WORD_1 src1_sel:DWORD
	v_mul_u32_u24_sdwa v63, v18, v143 dst_sel:DWORD dst_unused:UNUSED_PAD src0_sel:WORD_0 src1_sel:DWORD
	v_mul_u32_u24_sdwa v18, v18, v143 dst_sel:DWORD dst_unused:UNUSED_PAD src0_sel:WORD_1 src1_sel:DWORD
	v_mul_u32_u24_sdwa v64, v19, v143 dst_sel:DWORD dst_unused:UNUSED_PAD src0_sel:WORD_0 src1_sel:DWORD
	v_mul_u32_u24_sdwa v19, v19, v143 dst_sel:DWORD dst_unused:UNUSED_PAD src0_sel:WORD_1 src1_sel:DWORD
	v_mul_u32_u24_sdwa v65, v20, v143 dst_sel:DWORD dst_unused:UNUSED_PAD src0_sel:WORD_0 src1_sel:DWORD
	v_mul_u32_u24_sdwa v20, v20, v143 dst_sel:DWORD dst_unused:UNUSED_PAD src0_sel:WORD_1 src1_sel:DWORD
	v_pk_fma_f16 v46, v21, v62, v46
	v_pk_fma_f16 v47, v21, v17, v47
	;; [unrolled: 1-line block ×8, first 2 shown]
	ds_read_b128 v[17:20], v140 offset:656
	s_waitcnt lgkmcnt(0)
	v_mul_u32_u24_sdwa v53, v17, v143 dst_sel:DWORD dst_unused:UNUSED_PAD src0_sel:WORD_0 src1_sel:DWORD
	v_mul_u32_u24_sdwa v54, v17, v143 dst_sel:DWORD dst_unused:UNUSED_PAD src0_sel:WORD_1 src1_sel:DWORD
	v_mul_u32_u24_sdwa v55, v18, v143 dst_sel:DWORD dst_unused:UNUSED_PAD src0_sel:WORD_0 src1_sel:DWORD
	v_mul_u32_u24_sdwa v56, v18, v143 dst_sel:DWORD dst_unused:UNUSED_PAD src0_sel:WORD_1 src1_sel:DWORD
	;; [unrolled: 2-line block ×4, first 2 shown]
	ds_read_b128 v[17:20], v140 offset:1680
	v_pk_fma_f16 v40, v22, v53, v40
	v_pk_fma_f16 v41, v22, v54, v41
	;; [unrolled: 1-line block ×8, first 2 shown]
	s_waitcnt lgkmcnt(0)
	v_mul_u32_u24_sdwa v61, v17, v143 dst_sel:DWORD dst_unused:UNUSED_PAD src0_sel:WORD_0 src1_sel:DWORD
	v_mul_u32_u24_sdwa v17, v17, v143 dst_sel:DWORD dst_unused:UNUSED_PAD src0_sel:WORD_1 src1_sel:DWORD
	v_mul_u32_u24_sdwa v62, v18, v143 dst_sel:DWORD dst_unused:UNUSED_PAD src0_sel:WORD_0 src1_sel:DWORD
	v_mul_u32_u24_sdwa v18, v18, v143 dst_sel:DWORD dst_unused:UNUSED_PAD src0_sel:WORD_1 src1_sel:DWORD
	;; [unrolled: 2-line block ×4, first 2 shown]
	v_pk_fma_f16 v46, v22, v61, v46
	v_pk_fma_f16 v47, v22, v17, v47
	;; [unrolled: 1-line block ×8, first 2 shown]
	ds_read2_b32 v[21:22], v121 offset0:64 offset1:96
	ds_read_b128 v[17:20], v140 offset:672
	s_waitcnt lgkmcnt(0)
	v_mul_u32_u24_sdwa v54, v17, v143 dst_sel:DWORD dst_unused:UNUSED_PAD src0_sel:WORD_0 src1_sel:DWORD
	v_mul_u32_u24_sdwa v55, v17, v143 dst_sel:DWORD dst_unused:UNUSED_PAD src0_sel:WORD_1 src1_sel:DWORD
	v_mul_u32_u24_sdwa v56, v18, v143 dst_sel:DWORD dst_unused:UNUSED_PAD src0_sel:WORD_0 src1_sel:DWORD
	v_mul_u32_u24_sdwa v57, v18, v143 dst_sel:DWORD dst_unused:UNUSED_PAD src0_sel:WORD_1 src1_sel:DWORD
	;; [unrolled: 2-line block ×4, first 2 shown]
	ds_read_b128 v[17:20], v140 offset:1696
	v_pk_fma_f16 v40, v21, v54, v40
	v_pk_fma_f16 v41, v21, v55, v41
	;; [unrolled: 1-line block ×8, first 2 shown]
	s_waitcnt lgkmcnt(0)
	v_mul_u32_u24_sdwa v62, v17, v143 dst_sel:DWORD dst_unused:UNUSED_PAD src0_sel:WORD_0 src1_sel:DWORD
	v_mul_u32_u24_sdwa v17, v17, v143 dst_sel:DWORD dst_unused:UNUSED_PAD src0_sel:WORD_1 src1_sel:DWORD
	v_mul_u32_u24_sdwa v63, v18, v143 dst_sel:DWORD dst_unused:UNUSED_PAD src0_sel:WORD_0 src1_sel:DWORD
	v_mul_u32_u24_sdwa v18, v18, v143 dst_sel:DWORD dst_unused:UNUSED_PAD src0_sel:WORD_1 src1_sel:DWORD
	;; [unrolled: 2-line block ×4, first 2 shown]
	v_pk_fma_f16 v46, v21, v62, v46
	v_pk_fma_f16 v47, v21, v17, v47
	;; [unrolled: 1-line block ×8, first 2 shown]
	ds_read_b128 v[17:20], v140 offset:688
	s_waitcnt lgkmcnt(0)
	v_mul_u32_u24_sdwa v53, v17, v143 dst_sel:DWORD dst_unused:UNUSED_PAD src0_sel:WORD_0 src1_sel:DWORD
	v_mul_u32_u24_sdwa v54, v17, v143 dst_sel:DWORD dst_unused:UNUSED_PAD src0_sel:WORD_1 src1_sel:DWORD
	v_mul_u32_u24_sdwa v55, v18, v143 dst_sel:DWORD dst_unused:UNUSED_PAD src0_sel:WORD_0 src1_sel:DWORD
	v_mul_u32_u24_sdwa v56, v18, v143 dst_sel:DWORD dst_unused:UNUSED_PAD src0_sel:WORD_1 src1_sel:DWORD
	v_mul_u32_u24_sdwa v57, v19, v143 dst_sel:DWORD dst_unused:UNUSED_PAD src0_sel:WORD_0 src1_sel:DWORD
	v_mul_u32_u24_sdwa v58, v19, v143 dst_sel:DWORD dst_unused:UNUSED_PAD src0_sel:WORD_1 src1_sel:DWORD
	v_mul_u32_u24_sdwa v59, v20, v143 dst_sel:DWORD dst_unused:UNUSED_PAD src0_sel:WORD_0 src1_sel:DWORD
	v_mul_u32_u24_sdwa v60, v20, v143 dst_sel:DWORD dst_unused:UNUSED_PAD src0_sel:WORD_1 src1_sel:DWORD
	ds_read_b128 v[17:20], v140 offset:1712
	v_pk_fma_f16 v40, v22, v53, v40
	v_pk_fma_f16 v41, v22, v54, v41
	;; [unrolled: 1-line block ×8, first 2 shown]
	s_waitcnt lgkmcnt(0)
	v_mul_u32_u24_sdwa v61, v17, v143 dst_sel:DWORD dst_unused:UNUSED_PAD src0_sel:WORD_0 src1_sel:DWORD
	v_mul_u32_u24_sdwa v17, v17, v143 dst_sel:DWORD dst_unused:UNUSED_PAD src0_sel:WORD_1 src1_sel:DWORD
	v_mul_u32_u24_sdwa v62, v18, v143 dst_sel:DWORD dst_unused:UNUSED_PAD src0_sel:WORD_0 src1_sel:DWORD
	v_mul_u32_u24_sdwa v18, v18, v143 dst_sel:DWORD dst_unused:UNUSED_PAD src0_sel:WORD_1 src1_sel:DWORD
	;; [unrolled: 2-line block ×4, first 2 shown]
	v_pk_fma_f16 v46, v22, v61, v46
	v_pk_fma_f16 v47, v22, v17, v47
	;; [unrolled: 1-line block ×8, first 2 shown]
	ds_read2_b32 v[21:22], v121 offset0:128 offset1:160
	ds_read_b128 v[17:20], v140 offset:704
	s_waitcnt lgkmcnt(0)
	v_mul_u32_u24_sdwa v54, v17, v143 dst_sel:DWORD dst_unused:UNUSED_PAD src0_sel:WORD_0 src1_sel:DWORD
	v_mul_u32_u24_sdwa v55, v17, v143 dst_sel:DWORD dst_unused:UNUSED_PAD src0_sel:WORD_1 src1_sel:DWORD
	v_mul_u32_u24_sdwa v56, v18, v143 dst_sel:DWORD dst_unused:UNUSED_PAD src0_sel:WORD_0 src1_sel:DWORD
	v_mul_u32_u24_sdwa v57, v18, v143 dst_sel:DWORD dst_unused:UNUSED_PAD src0_sel:WORD_1 src1_sel:DWORD
	;; [unrolled: 2-line block ×4, first 2 shown]
	ds_read_b128 v[17:20], v140 offset:1728
	v_pk_fma_f16 v40, v21, v54, v40
	v_pk_fma_f16 v41, v21, v55, v41
	;; [unrolled: 1-line block ×8, first 2 shown]
	s_waitcnt lgkmcnt(0)
	v_mul_u32_u24_sdwa v62, v17, v143 dst_sel:DWORD dst_unused:UNUSED_PAD src0_sel:WORD_0 src1_sel:DWORD
	v_mul_u32_u24_sdwa v17, v17, v143 dst_sel:DWORD dst_unused:UNUSED_PAD src0_sel:WORD_1 src1_sel:DWORD
	v_mul_u32_u24_sdwa v63, v18, v143 dst_sel:DWORD dst_unused:UNUSED_PAD src0_sel:WORD_0 src1_sel:DWORD
	v_mul_u32_u24_sdwa v18, v18, v143 dst_sel:DWORD dst_unused:UNUSED_PAD src0_sel:WORD_1 src1_sel:DWORD
	;; [unrolled: 2-line block ×4, first 2 shown]
	v_pk_fma_f16 v46, v21, v62, v46
	v_pk_fma_f16 v47, v21, v17, v47
	;; [unrolled: 1-line block ×8, first 2 shown]
	ds_read_b128 v[17:20], v140 offset:720
	s_waitcnt lgkmcnt(0)
	v_mul_u32_u24_sdwa v53, v17, v143 dst_sel:DWORD dst_unused:UNUSED_PAD src0_sel:WORD_0 src1_sel:DWORD
	v_mul_u32_u24_sdwa v54, v17, v143 dst_sel:DWORD dst_unused:UNUSED_PAD src0_sel:WORD_1 src1_sel:DWORD
	v_mul_u32_u24_sdwa v55, v18, v143 dst_sel:DWORD dst_unused:UNUSED_PAD src0_sel:WORD_0 src1_sel:DWORD
	v_mul_u32_u24_sdwa v56, v18, v143 dst_sel:DWORD dst_unused:UNUSED_PAD src0_sel:WORD_1 src1_sel:DWORD
	;; [unrolled: 2-line block ×4, first 2 shown]
	ds_read_b128 v[17:20], v140 offset:1744
	v_pk_fma_f16 v40, v22, v53, v40
	v_pk_fma_f16 v41, v22, v54, v41
	v_pk_fma_f16 v42, v22, v55, v42
	v_pk_fma_f16 v43, v22, v56, v43
	v_pk_fma_f16 v44, v22, v57, v44
	v_pk_fma_f16 v23, v22, v58, v23
	v_pk_fma_f16 v45, v22, v59, v45
	v_pk_fma_f16 v24, v22, v60, v24
	s_waitcnt lgkmcnt(0)
	v_mul_u32_u24_sdwa v61, v17, v143 dst_sel:DWORD dst_unused:UNUSED_PAD src0_sel:WORD_0 src1_sel:DWORD
	v_mul_u32_u24_sdwa v17, v17, v143 dst_sel:DWORD dst_unused:UNUSED_PAD src0_sel:WORD_1 src1_sel:DWORD
	v_mul_u32_u24_sdwa v62, v18, v143 dst_sel:DWORD dst_unused:UNUSED_PAD src0_sel:WORD_0 src1_sel:DWORD
	v_mul_u32_u24_sdwa v18, v18, v143 dst_sel:DWORD dst_unused:UNUSED_PAD src0_sel:WORD_1 src1_sel:DWORD
	;; [unrolled: 2-line block ×4, first 2 shown]
	v_pk_fma_f16 v47, v22, v17, v47
	v_pk_fma_f16 v53, v22, v62, v48
	;; [unrolled: 1-line block ×5, first 2 shown]
	ds_read2_b32 v[48:49], v121 offset0:192 offset1:224
	ds_read_b128 v[17:20], v140 offset:736
	v_pk_fma_f16 v46, v22, v61, v46
	v_pk_fma_f16 v50, v22, v63, v50
	;; [unrolled: 1-line block ×3, first 2 shown]
	s_waitcnt lgkmcnt(0)
	v_mul_u32_u24_sdwa v22, v17, v143 dst_sel:DWORD dst_unused:UNUSED_PAD src0_sel:WORD_0 src1_sel:DWORD
	v_mul_u32_u24_sdwa v55, v17, v143 dst_sel:DWORD dst_unused:UNUSED_PAD src0_sel:WORD_1 src1_sel:DWORD
	v_mul_u32_u24_sdwa v56, v18, v143 dst_sel:DWORD dst_unused:UNUSED_PAD src0_sel:WORD_0 src1_sel:DWORD
	v_mul_u32_u24_sdwa v57, v18, v143 dst_sel:DWORD dst_unused:UNUSED_PAD src0_sel:WORD_1 src1_sel:DWORD
	;; [unrolled: 2-line block ×4, first 2 shown]
	ds_read_b128 v[17:20], v140 offset:1760
	v_pk_fma_f16 v22, v48, v22, v40
	v_pk_fma_f16 v40, v48, v55, v41
	v_pk_fma_f16 v41, v48, v56, v42
	v_pk_fma_f16 v42, v48, v57, v43
	v_pk_fma_f16 v43, v48, v58, v44
	v_pk_fma_f16 v44, v48, v59, v23
	v_pk_fma_f16 v45, v48, v60, v45
	v_pk_fma_f16 v55, v48, v61, v24
	s_waitcnt lgkmcnt(0)
	v_mul_u32_u24_sdwa v62, v17, v143 dst_sel:DWORD dst_unused:UNUSED_PAD src0_sel:WORD_0 src1_sel:DWORD
	v_mul_u32_u24_sdwa v17, v17, v143 dst_sel:DWORD dst_unused:UNUSED_PAD src0_sel:WORD_1 src1_sel:DWORD
	v_mul_u32_u24_sdwa v63, v18, v143 dst_sel:DWORD dst_unused:UNUSED_PAD src0_sel:WORD_0 src1_sel:DWORD
	v_mul_u32_u24_sdwa v18, v18, v143 dst_sel:DWORD dst_unused:UNUSED_PAD src0_sel:WORD_1 src1_sel:DWORD
	;; [unrolled: 2-line block ×4, first 2 shown]
	v_pk_fma_f16 v47, v48, v17, v47
	v_pk_fma_f16 v54, v48, v18, v54
	;; [unrolled: 1-line block ×5, first 2 shown]
	ds_read_b128 v[17:20], v140 offset:752
	v_pk_fma_f16 v53, v48, v63, v53
	v_pk_fma_f16 v50, v48, v64, v50
	;; [unrolled: 1-line block ×3, first 2 shown]
	s_waitcnt lgkmcnt(0)
	v_mul_u32_u24_sdwa v23, v17, v143 dst_sel:DWORD dst_unused:UNUSED_PAD src0_sel:WORD_0 src1_sel:DWORD
	v_mul_u32_u24_sdwa v24, v17, v143 dst_sel:DWORD dst_unused:UNUSED_PAD src0_sel:WORD_1 src1_sel:DWORD
	v_mul_u32_u24_sdwa v48, v18, v143 dst_sel:DWORD dst_unused:UNUSED_PAD src0_sel:WORD_0 src1_sel:DWORD
	v_mul_u32_u24_sdwa v56, v18, v143 dst_sel:DWORD dst_unused:UNUSED_PAD src0_sel:WORD_1 src1_sel:DWORD
	;; [unrolled: 2-line block ×4, first 2 shown]
	ds_read_b128 v[17:20], v140 offset:1776
	s_waitcnt lgkmcnt(0)
	v_mul_u32_u24_sdwa v61, v17, v143 dst_sel:DWORD dst_unused:UNUSED_PAD src0_sel:WORD_0 src1_sel:DWORD
	v_mul_u32_u24_sdwa v62, v17, v143 dst_sel:DWORD dst_unused:UNUSED_PAD src0_sel:WORD_1 src1_sel:DWORD
	v_mul_u32_u24_sdwa v63, v18, v143 dst_sel:DWORD dst_unused:UNUSED_PAD src0_sel:WORD_0 src1_sel:DWORD
	v_mul_u32_u24_sdwa v64, v18, v143 dst_sel:DWORD dst_unused:UNUSED_PAD src0_sel:WORD_1 src1_sel:DWORD
	;; [unrolled: 2-line block ×4, first 2 shown]
	v_pk_fma_f16 v17, v49, v23, v22
	v_pk_fma_f16 v18, v49, v24, v40
	;; [unrolled: 1-line block ×16, first 2 shown]
	ds_read2_b32 v[20:21], v118 offset1:32
	ds_read_b128 v[50:53], v140 offset:768
	s_waitcnt lgkmcnt(0)
	v_mul_u32_u24_sdwa v54, v50, v143 dst_sel:DWORD dst_unused:UNUSED_PAD src0_sel:WORD_0 src1_sel:DWORD
	v_mul_u32_u24_sdwa v55, v50, v143 dst_sel:DWORD dst_unused:UNUSED_PAD src0_sel:WORD_1 src1_sel:DWORD
	v_mul_u32_u24_sdwa v56, v51, v143 dst_sel:DWORD dst_unused:UNUSED_PAD src0_sel:WORD_0 src1_sel:DWORD
	v_mul_u32_u24_sdwa v57, v51, v143 dst_sel:DWORD dst_unused:UNUSED_PAD src0_sel:WORD_1 src1_sel:DWORD
	;; [unrolled: 2-line block ×4, first 2 shown]
	ds_read_b128 v[50:53], v140 offset:1792
	v_pk_fma_f16 v22, v20, v57, v22
	v_pk_fma_f16 v23, v20, v58, v23
	;; [unrolled: 1-line block ×5, first 2 shown]
	s_waitcnt lgkmcnt(0)
	v_mul_u32_u24_sdwa v62, v50, v143 dst_sel:DWORD dst_unused:UNUSED_PAD src0_sel:WORD_0 src1_sel:DWORD
	v_mul_u32_u24_sdwa v63, v50, v143 dst_sel:DWORD dst_unused:UNUSED_PAD src0_sel:WORD_1 src1_sel:DWORD
	v_mul_u32_u24_sdwa v64, v51, v143 dst_sel:DWORD dst_unused:UNUSED_PAD src0_sel:WORD_0 src1_sel:DWORD
	v_mul_u32_u24_sdwa v65, v51, v143 dst_sel:DWORD dst_unused:UNUSED_PAD src0_sel:WORD_1 src1_sel:DWORD
	;; [unrolled: 2-line block ×4, first 2 shown]
	v_pk_fma_f16 v50, v20, v54, v17
	v_pk_fma_f16 v51, v20, v55, v18
	;; [unrolled: 1-line block ×11, first 2 shown]
	ds_read_b128 v[17:20], v140 offset:784
	s_waitcnt lgkmcnt(0)
	v_mul_u32_u24_sdwa v53, v17, v143 dst_sel:DWORD dst_unused:UNUSED_PAD src0_sel:WORD_0 src1_sel:DWORD
	v_mul_u32_u24_sdwa v54, v17, v143 dst_sel:DWORD dst_unused:UNUSED_PAD src0_sel:WORD_1 src1_sel:DWORD
	v_mul_u32_u24_sdwa v55, v18, v143 dst_sel:DWORD dst_unused:UNUSED_PAD src0_sel:WORD_0 src1_sel:DWORD
	v_mul_u32_u24_sdwa v56, v18, v143 dst_sel:DWORD dst_unused:UNUSED_PAD src0_sel:WORD_1 src1_sel:DWORD
	;; [unrolled: 2-line block ×4, first 2 shown]
	ds_read_b128 v[17:20], v140 offset:1808
	v_pk_fma_f16 v50, v21, v53, v50
	v_pk_fma_f16 v51, v21, v54, v51
	;; [unrolled: 1-line block ×8, first 2 shown]
	s_waitcnt lgkmcnt(0)
	v_mul_u32_u24_sdwa v61, v17, v143 dst_sel:DWORD dst_unused:UNUSED_PAD src0_sel:WORD_0 src1_sel:DWORD
	v_mul_u32_u24_sdwa v17, v17, v143 dst_sel:DWORD dst_unused:UNUSED_PAD src0_sel:WORD_1 src1_sel:DWORD
	v_mul_u32_u24_sdwa v62, v18, v143 dst_sel:DWORD dst_unused:UNUSED_PAD src0_sel:WORD_0 src1_sel:DWORD
	v_mul_u32_u24_sdwa v18, v18, v143 dst_sel:DWORD dst_unused:UNUSED_PAD src0_sel:WORD_1 src1_sel:DWORD
	;; [unrolled: 2-line block ×4, first 2 shown]
	v_pk_fma_f16 v42, v21, v61, v42
	v_pk_fma_f16 v43, v21, v17, v43
	;; [unrolled: 1-line block ×8, first 2 shown]
	ds_read2_b32 v[21:22], v118 offset0:64 offset1:96
	ds_read_b128 v[17:20], v140 offset:800
	s_waitcnt lgkmcnt(0)
	v_mul_u32_u24_sdwa v54, v17, v143 dst_sel:DWORD dst_unused:UNUSED_PAD src0_sel:WORD_0 src1_sel:DWORD
	v_mul_u32_u24_sdwa v55, v17, v143 dst_sel:DWORD dst_unused:UNUSED_PAD src0_sel:WORD_1 src1_sel:DWORD
	v_mul_u32_u24_sdwa v56, v18, v143 dst_sel:DWORD dst_unused:UNUSED_PAD src0_sel:WORD_0 src1_sel:DWORD
	v_mul_u32_u24_sdwa v57, v18, v143 dst_sel:DWORD dst_unused:UNUSED_PAD src0_sel:WORD_1 src1_sel:DWORD
	;; [unrolled: 2-line block ×4, first 2 shown]
	ds_read_b128 v[17:20], v140 offset:1824
	v_pk_fma_f16 v50, v21, v54, v50
	v_pk_fma_f16 v51, v21, v55, v51
	;; [unrolled: 1-line block ×8, first 2 shown]
	s_waitcnt lgkmcnt(0)
	v_mul_u32_u24_sdwa v62, v17, v143 dst_sel:DWORD dst_unused:UNUSED_PAD src0_sel:WORD_0 src1_sel:DWORD
	v_mul_u32_u24_sdwa v17, v17, v143 dst_sel:DWORD dst_unused:UNUSED_PAD src0_sel:WORD_1 src1_sel:DWORD
	v_mul_u32_u24_sdwa v63, v18, v143 dst_sel:DWORD dst_unused:UNUSED_PAD src0_sel:WORD_0 src1_sel:DWORD
	v_mul_u32_u24_sdwa v18, v18, v143 dst_sel:DWORD dst_unused:UNUSED_PAD src0_sel:WORD_1 src1_sel:DWORD
	;; [unrolled: 2-line block ×4, first 2 shown]
	v_pk_fma_f16 v42, v21, v62, v42
	v_pk_fma_f16 v43, v21, v17, v43
	;; [unrolled: 1-line block ×8, first 2 shown]
	ds_read_b128 v[17:20], v140 offset:816
	s_waitcnt lgkmcnt(0)
	v_mul_u32_u24_sdwa v49, v17, v143 dst_sel:DWORD dst_unused:UNUSED_PAD src0_sel:WORD_0 src1_sel:DWORD
	v_mul_u32_u24_sdwa v54, v17, v143 dst_sel:DWORD dst_unused:UNUSED_PAD src0_sel:WORD_1 src1_sel:DWORD
	v_mul_u32_u24_sdwa v55, v18, v143 dst_sel:DWORD dst_unused:UNUSED_PAD src0_sel:WORD_0 src1_sel:DWORD
	v_mul_u32_u24_sdwa v56, v18, v143 dst_sel:DWORD dst_unused:UNUSED_PAD src0_sel:WORD_1 src1_sel:DWORD
	;; [unrolled: 2-line block ×4, first 2 shown]
	ds_read_b128 v[17:20], v140 offset:1840
	v_pk_fma_f16 v49, v22, v49, v50
	v_pk_fma_f16 v50, v22, v54, v51
	;; [unrolled: 1-line block ×8, first 2 shown]
	s_waitcnt lgkmcnt(0)
	v_mul_u32_u24_sdwa v61, v17, v143 dst_sel:DWORD dst_unused:UNUSED_PAD src0_sel:WORD_0 src1_sel:DWORD
	v_mul_u32_u24_sdwa v17, v17, v143 dst_sel:DWORD dst_unused:UNUSED_PAD src0_sel:WORD_1 src1_sel:DWORD
	v_mul_u32_u24_sdwa v62, v18, v143 dst_sel:DWORD dst_unused:UNUSED_PAD src0_sel:WORD_0 src1_sel:DWORD
	v_mul_u32_u24_sdwa v18, v18, v143 dst_sel:DWORD dst_unused:UNUSED_PAD src0_sel:WORD_1 src1_sel:DWORD
	;; [unrolled: 2-line block ×4, first 2 shown]
	v_pk_fma_f16 v42, v22, v61, v42
	v_pk_fma_f16 v43, v22, v17, v43
	;; [unrolled: 1-line block ×8, first 2 shown]
	ds_read2_b32 v[21:22], v118 offset0:128 offset1:160
	ds_read_b128 v[17:20], v140 offset:832
	s_waitcnt lgkmcnt(0)
	v_mul_u32_u24_sdwa v54, v17, v143 dst_sel:DWORD dst_unused:UNUSED_PAD src0_sel:WORD_0 src1_sel:DWORD
	v_mul_u32_u24_sdwa v55, v17, v143 dst_sel:DWORD dst_unused:UNUSED_PAD src0_sel:WORD_1 src1_sel:DWORD
	v_mul_u32_u24_sdwa v56, v18, v143 dst_sel:DWORD dst_unused:UNUSED_PAD src0_sel:WORD_0 src1_sel:DWORD
	v_mul_u32_u24_sdwa v57, v18, v143 dst_sel:DWORD dst_unused:UNUSED_PAD src0_sel:WORD_1 src1_sel:DWORD
	;; [unrolled: 2-line block ×4, first 2 shown]
	ds_read_b128 v[17:20], v140 offset:1856
	v_pk_fma_f16 v49, v21, v54, v49
	v_pk_fma_f16 v50, v21, v55, v50
	;; [unrolled: 1-line block ×8, first 2 shown]
	s_waitcnt lgkmcnt(0)
	v_mul_u32_u24_sdwa v62, v17, v143 dst_sel:DWORD dst_unused:UNUSED_PAD src0_sel:WORD_0 src1_sel:DWORD
	v_mul_u32_u24_sdwa v17, v17, v143 dst_sel:DWORD dst_unused:UNUSED_PAD src0_sel:WORD_1 src1_sel:DWORD
	v_mul_u32_u24_sdwa v63, v18, v143 dst_sel:DWORD dst_unused:UNUSED_PAD src0_sel:WORD_0 src1_sel:DWORD
	v_mul_u32_u24_sdwa v18, v18, v143 dst_sel:DWORD dst_unused:UNUSED_PAD src0_sel:WORD_1 src1_sel:DWORD
	;; [unrolled: 2-line block ×4, first 2 shown]
	v_pk_fma_f16 v42, v21, v62, v42
	v_pk_fma_f16 v43, v21, v17, v43
	;; [unrolled: 1-line block ×8, first 2 shown]
	ds_read_b128 v[17:20], v140 offset:848
	s_waitcnt lgkmcnt(0)
	v_mul_u32_u24_sdwa v53, v17, v143 dst_sel:DWORD dst_unused:UNUSED_PAD src0_sel:WORD_0 src1_sel:DWORD
	v_mul_u32_u24_sdwa v54, v17, v143 dst_sel:DWORD dst_unused:UNUSED_PAD src0_sel:WORD_1 src1_sel:DWORD
	v_mul_u32_u24_sdwa v55, v18, v143 dst_sel:DWORD dst_unused:UNUSED_PAD src0_sel:WORD_0 src1_sel:DWORD
	v_mul_u32_u24_sdwa v56, v18, v143 dst_sel:DWORD dst_unused:UNUSED_PAD src0_sel:WORD_1 src1_sel:DWORD
	v_mul_u32_u24_sdwa v57, v19, v143 dst_sel:DWORD dst_unused:UNUSED_PAD src0_sel:WORD_0 src1_sel:DWORD
	v_mul_u32_u24_sdwa v58, v19, v143 dst_sel:DWORD dst_unused:UNUSED_PAD src0_sel:WORD_1 src1_sel:DWORD
	v_mul_u32_u24_sdwa v59, v20, v143 dst_sel:DWORD dst_unused:UNUSED_PAD src0_sel:WORD_0 src1_sel:DWORD
	v_mul_u32_u24_sdwa v60, v20, v143 dst_sel:DWORD dst_unused:UNUSED_PAD src0_sel:WORD_1 src1_sel:DWORD
	ds_read_b128 v[17:20], v140 offset:1872
	v_pk_fma_f16 v49, v22, v53, v49
	v_pk_fma_f16 v50, v22, v54, v50
	;; [unrolled: 1-line block ×8, first 2 shown]
	s_waitcnt lgkmcnt(0)
	v_mul_u32_u24_sdwa v61, v17, v143 dst_sel:DWORD dst_unused:UNUSED_PAD src0_sel:WORD_0 src1_sel:DWORD
	v_mul_u32_u24_sdwa v17, v17, v143 dst_sel:DWORD dst_unused:UNUSED_PAD src0_sel:WORD_1 src1_sel:DWORD
	v_mul_u32_u24_sdwa v62, v18, v143 dst_sel:DWORD dst_unused:UNUSED_PAD src0_sel:WORD_0 src1_sel:DWORD
	v_mul_u32_u24_sdwa v18, v18, v143 dst_sel:DWORD dst_unused:UNUSED_PAD src0_sel:WORD_1 src1_sel:DWORD
	;; [unrolled: 2-line block ×4, first 2 shown]
	v_pk_fma_f16 v42, v22, v61, v42
	v_pk_fma_f16 v43, v22, v17, v43
	;; [unrolled: 1-line block ×8, first 2 shown]
	ds_read2_b32 v[21:22], v118 offset0:192 offset1:224
	ds_read_b128 v[17:20], v140 offset:864
	s_waitcnt lgkmcnt(0)
	v_mul_u32_u24_sdwa v54, v17, v143 dst_sel:DWORD dst_unused:UNUSED_PAD src0_sel:WORD_0 src1_sel:DWORD
	v_mul_u32_u24_sdwa v55, v17, v143 dst_sel:DWORD dst_unused:UNUSED_PAD src0_sel:WORD_1 src1_sel:DWORD
	v_mul_u32_u24_sdwa v56, v18, v143 dst_sel:DWORD dst_unused:UNUSED_PAD src0_sel:WORD_0 src1_sel:DWORD
	v_mul_u32_u24_sdwa v57, v18, v143 dst_sel:DWORD dst_unused:UNUSED_PAD src0_sel:WORD_1 src1_sel:DWORD
	v_mul_u32_u24_sdwa v58, v19, v143 dst_sel:DWORD dst_unused:UNUSED_PAD src0_sel:WORD_0 src1_sel:DWORD
	v_mul_u32_u24_sdwa v59, v19, v143 dst_sel:DWORD dst_unused:UNUSED_PAD src0_sel:WORD_1 src1_sel:DWORD
	v_mul_u32_u24_sdwa v60, v20, v143 dst_sel:DWORD dst_unused:UNUSED_PAD src0_sel:WORD_0 src1_sel:DWORD
	v_mul_u32_u24_sdwa v61, v20, v143 dst_sel:DWORD dst_unused:UNUSED_PAD src0_sel:WORD_1 src1_sel:DWORD
	ds_read_b128 v[17:20], v140 offset:1888
	v_pk_fma_f16 v49, v21, v54, v49
	v_pk_fma_f16 v50, v21, v55, v50
	v_pk_fma_f16 v51, v21, v56, v51
	v_pk_fma_f16 v52, v21, v57, v52
	v_pk_fma_f16 v23, v21, v58, v23
	v_pk_fma_f16 v24, v21, v59, v24
	v_pk_fma_f16 v40, v21, v60, v40
	v_pk_fma_f16 v41, v21, v61, v41
	s_waitcnt lgkmcnt(0)
	v_mul_u32_u24_sdwa v62, v17, v143 dst_sel:DWORD dst_unused:UNUSED_PAD src0_sel:WORD_0 src1_sel:DWORD
	v_mul_u32_u24_sdwa v17, v17, v143 dst_sel:DWORD dst_unused:UNUSED_PAD src0_sel:WORD_1 src1_sel:DWORD
	v_mul_u32_u24_sdwa v63, v18, v143 dst_sel:DWORD dst_unused:UNUSED_PAD src0_sel:WORD_0 src1_sel:DWORD
	v_mul_u32_u24_sdwa v18, v18, v143 dst_sel:DWORD dst_unused:UNUSED_PAD src0_sel:WORD_1 src1_sel:DWORD
	;; [unrolled: 2-line block ×4, first 2 shown]
	v_pk_fma_f16 v42, v21, v62, v42
	v_pk_fma_f16 v43, v21, v17, v43
	;; [unrolled: 1-line block ×8, first 2 shown]
	ds_read_b128 v[17:20], v140 offset:880
	s_waitcnt lgkmcnt(0)
	v_mul_u32_u24_sdwa v53, v17, v143 dst_sel:DWORD dst_unused:UNUSED_PAD src0_sel:WORD_0 src1_sel:DWORD
	v_mul_u32_u24_sdwa v54, v17, v143 dst_sel:DWORD dst_unused:UNUSED_PAD src0_sel:WORD_1 src1_sel:DWORD
	v_mul_u32_u24_sdwa v55, v18, v143 dst_sel:DWORD dst_unused:UNUSED_PAD src0_sel:WORD_0 src1_sel:DWORD
	v_mul_u32_u24_sdwa v56, v18, v143 dst_sel:DWORD dst_unused:UNUSED_PAD src0_sel:WORD_1 src1_sel:DWORD
	;; [unrolled: 2-line block ×4, first 2 shown]
	ds_read_b128 v[17:20], v140 offset:1904
	v_pk_fma_f16 v49, v22, v53, v49
	v_pk_fma_f16 v50, v22, v54, v50
	;; [unrolled: 1-line block ×8, first 2 shown]
	s_waitcnt lgkmcnt(0)
	v_mul_u32_u24_sdwa v61, v17, v143 dst_sel:DWORD dst_unused:UNUSED_PAD src0_sel:WORD_0 src1_sel:DWORD
	v_mul_u32_u24_sdwa v17, v17, v143 dst_sel:DWORD dst_unused:UNUSED_PAD src0_sel:WORD_1 src1_sel:DWORD
	v_mul_u32_u24_sdwa v62, v18, v143 dst_sel:DWORD dst_unused:UNUSED_PAD src0_sel:WORD_0 src1_sel:DWORD
	v_mul_u32_u24_sdwa v18, v18, v143 dst_sel:DWORD dst_unused:UNUSED_PAD src0_sel:WORD_1 src1_sel:DWORD
	;; [unrolled: 2-line block ×4, first 2 shown]
	v_pk_fma_f16 v42, v22, v61, v42
	v_pk_fma_f16 v43, v22, v17, v43
	;; [unrolled: 1-line block ×8, first 2 shown]
	ds_read2_b32 v[21:22], v150 offset1:32
	ds_read_b128 v[17:20], v140 offset:896
	s_waitcnt lgkmcnt(0)
	v_mul_u32_u24_sdwa v54, v17, v143 dst_sel:DWORD dst_unused:UNUSED_PAD src0_sel:WORD_0 src1_sel:DWORD
	v_mul_u32_u24_sdwa v55, v17, v143 dst_sel:DWORD dst_unused:UNUSED_PAD src0_sel:WORD_1 src1_sel:DWORD
	v_mul_u32_u24_sdwa v56, v18, v143 dst_sel:DWORD dst_unused:UNUSED_PAD src0_sel:WORD_0 src1_sel:DWORD
	v_mul_u32_u24_sdwa v57, v18, v143 dst_sel:DWORD dst_unused:UNUSED_PAD src0_sel:WORD_1 src1_sel:DWORD
	;; [unrolled: 2-line block ×4, first 2 shown]
	ds_read_b128 v[17:20], v140 offset:1920
	v_pk_fma_f16 v49, v21, v54, v49
	v_pk_fma_f16 v50, v21, v55, v50
	v_pk_fma_f16 v51, v21, v56, v51
	v_pk_fma_f16 v52, v21, v57, v52
	v_pk_fma_f16 v23, v21, v58, v23
	v_pk_fma_f16 v24, v21, v59, v24
	v_pk_fma_f16 v40, v21, v60, v40
	v_pk_fma_f16 v41, v21, v61, v41
	s_waitcnt lgkmcnt(0)
	v_mul_u32_u24_sdwa v62, v17, v143 dst_sel:DWORD dst_unused:UNUSED_PAD src0_sel:WORD_0 src1_sel:DWORD
	v_mul_u32_u24_sdwa v17, v17, v143 dst_sel:DWORD dst_unused:UNUSED_PAD src0_sel:WORD_1 src1_sel:DWORD
	v_mul_u32_u24_sdwa v63, v18, v143 dst_sel:DWORD dst_unused:UNUSED_PAD src0_sel:WORD_0 src1_sel:DWORD
	v_mul_u32_u24_sdwa v18, v18, v143 dst_sel:DWORD dst_unused:UNUSED_PAD src0_sel:WORD_1 src1_sel:DWORD
	;; [unrolled: 2-line block ×4, first 2 shown]
	v_pk_fma_f16 v42, v21, v62, v42
	v_pk_fma_f16 v43, v21, v17, v43
	;; [unrolled: 1-line block ×8, first 2 shown]
	ds_read_b128 v[17:20], v140 offset:912
	s_waitcnt lgkmcnt(0)
	v_mul_u32_u24_sdwa v53, v17, v143 dst_sel:DWORD dst_unused:UNUSED_PAD src0_sel:WORD_0 src1_sel:DWORD
	v_mul_u32_u24_sdwa v54, v17, v143 dst_sel:DWORD dst_unused:UNUSED_PAD src0_sel:WORD_1 src1_sel:DWORD
	v_mul_u32_u24_sdwa v55, v18, v143 dst_sel:DWORD dst_unused:UNUSED_PAD src0_sel:WORD_0 src1_sel:DWORD
	v_mul_u32_u24_sdwa v56, v18, v143 dst_sel:DWORD dst_unused:UNUSED_PAD src0_sel:WORD_1 src1_sel:DWORD
	;; [unrolled: 2-line block ×4, first 2 shown]
	ds_read_b128 v[17:20], v140 offset:1936
	v_pk_fma_f16 v49, v22, v53, v49
	v_pk_fma_f16 v50, v22, v54, v50
	;; [unrolled: 1-line block ×8, first 2 shown]
	s_waitcnt lgkmcnt(0)
	v_mul_u32_u24_sdwa v61, v17, v143 dst_sel:DWORD dst_unused:UNUSED_PAD src0_sel:WORD_0 src1_sel:DWORD
	v_mul_u32_u24_sdwa v17, v17, v143 dst_sel:DWORD dst_unused:UNUSED_PAD src0_sel:WORD_1 src1_sel:DWORD
	v_mul_u32_u24_sdwa v62, v18, v143 dst_sel:DWORD dst_unused:UNUSED_PAD src0_sel:WORD_0 src1_sel:DWORD
	v_mul_u32_u24_sdwa v18, v18, v143 dst_sel:DWORD dst_unused:UNUSED_PAD src0_sel:WORD_1 src1_sel:DWORD
	;; [unrolled: 2-line block ×4, first 2 shown]
	v_pk_fma_f16 v42, v22, v61, v42
	v_pk_fma_f16 v43, v22, v17, v43
	;; [unrolled: 1-line block ×8, first 2 shown]
	ds_read2_b32 v[21:22], v150 offset0:64 offset1:96
	ds_read_b128 v[17:20], v140 offset:928
	s_waitcnt lgkmcnt(0)
	v_mul_u32_u24_sdwa v54, v17, v143 dst_sel:DWORD dst_unused:UNUSED_PAD src0_sel:WORD_0 src1_sel:DWORD
	v_mul_u32_u24_sdwa v55, v17, v143 dst_sel:DWORD dst_unused:UNUSED_PAD src0_sel:WORD_1 src1_sel:DWORD
	v_mul_u32_u24_sdwa v56, v18, v143 dst_sel:DWORD dst_unused:UNUSED_PAD src0_sel:WORD_0 src1_sel:DWORD
	v_mul_u32_u24_sdwa v57, v18, v143 dst_sel:DWORD dst_unused:UNUSED_PAD src0_sel:WORD_1 src1_sel:DWORD
	;; [unrolled: 2-line block ×4, first 2 shown]
	ds_read_b128 v[17:20], v140 offset:1952
	v_pk_fma_f16 v49, v21, v54, v49
	v_pk_fma_f16 v50, v21, v55, v50
	;; [unrolled: 1-line block ×8, first 2 shown]
	s_waitcnt lgkmcnt(0)
	v_mul_u32_u24_sdwa v62, v17, v143 dst_sel:DWORD dst_unused:UNUSED_PAD src0_sel:WORD_0 src1_sel:DWORD
	v_mul_u32_u24_sdwa v17, v17, v143 dst_sel:DWORD dst_unused:UNUSED_PAD src0_sel:WORD_1 src1_sel:DWORD
	v_mul_u32_u24_sdwa v63, v18, v143 dst_sel:DWORD dst_unused:UNUSED_PAD src0_sel:WORD_0 src1_sel:DWORD
	v_mul_u32_u24_sdwa v18, v18, v143 dst_sel:DWORD dst_unused:UNUSED_PAD src0_sel:WORD_1 src1_sel:DWORD
	;; [unrolled: 2-line block ×4, first 2 shown]
	v_pk_fma_f16 v42, v21, v62, v42
	v_pk_fma_f16 v43, v21, v17, v43
	;; [unrolled: 1-line block ×8, first 2 shown]
	ds_read_b128 v[17:20], v140 offset:944
	s_waitcnt lgkmcnt(0)
	v_mul_u32_u24_sdwa v53, v17, v143 dst_sel:DWORD dst_unused:UNUSED_PAD src0_sel:WORD_0 src1_sel:DWORD
	v_mul_u32_u24_sdwa v54, v17, v143 dst_sel:DWORD dst_unused:UNUSED_PAD src0_sel:WORD_1 src1_sel:DWORD
	v_mul_u32_u24_sdwa v55, v18, v143 dst_sel:DWORD dst_unused:UNUSED_PAD src0_sel:WORD_0 src1_sel:DWORD
	v_mul_u32_u24_sdwa v56, v18, v143 dst_sel:DWORD dst_unused:UNUSED_PAD src0_sel:WORD_1 src1_sel:DWORD
	;; [unrolled: 2-line block ×4, first 2 shown]
	ds_read_b128 v[17:20], v140 offset:1968
	v_pk_fma_f16 v49, v22, v53, v49
	v_pk_fma_f16 v50, v22, v54, v50
	;; [unrolled: 1-line block ×8, first 2 shown]
	s_waitcnt lgkmcnt(0)
	v_mul_u32_u24_sdwa v61, v17, v143 dst_sel:DWORD dst_unused:UNUSED_PAD src0_sel:WORD_0 src1_sel:DWORD
	v_mul_u32_u24_sdwa v17, v17, v143 dst_sel:DWORD dst_unused:UNUSED_PAD src0_sel:WORD_1 src1_sel:DWORD
	v_mul_u32_u24_sdwa v62, v18, v143 dst_sel:DWORD dst_unused:UNUSED_PAD src0_sel:WORD_0 src1_sel:DWORD
	v_mul_u32_u24_sdwa v18, v18, v143 dst_sel:DWORD dst_unused:UNUSED_PAD src0_sel:WORD_1 src1_sel:DWORD
	;; [unrolled: 2-line block ×4, first 2 shown]
	v_pk_fma_f16 v42, v22, v61, v42
	v_pk_fma_f16 v43, v22, v17, v43
	;; [unrolled: 1-line block ×8, first 2 shown]
	ds_read2_b32 v[21:22], v150 offset0:128 offset1:160
	ds_read_b128 v[17:20], v140 offset:960
	s_waitcnt lgkmcnt(0)
	v_mul_u32_u24_sdwa v54, v17, v143 dst_sel:DWORD dst_unused:UNUSED_PAD src0_sel:WORD_0 src1_sel:DWORD
	v_mul_u32_u24_sdwa v55, v17, v143 dst_sel:DWORD dst_unused:UNUSED_PAD src0_sel:WORD_1 src1_sel:DWORD
	v_mul_u32_u24_sdwa v56, v18, v143 dst_sel:DWORD dst_unused:UNUSED_PAD src0_sel:WORD_0 src1_sel:DWORD
	v_mul_u32_u24_sdwa v57, v18, v143 dst_sel:DWORD dst_unused:UNUSED_PAD src0_sel:WORD_1 src1_sel:DWORD
	;; [unrolled: 2-line block ×4, first 2 shown]
	ds_read_b128 v[17:20], v140 offset:1984
	v_pk_fma_f16 v49, v21, v54, v49
	v_pk_fma_f16 v50, v21, v55, v50
	;; [unrolled: 1-line block ×8, first 2 shown]
	s_waitcnt lgkmcnt(0)
	v_mul_u32_u24_sdwa v62, v17, v143 dst_sel:DWORD dst_unused:UNUSED_PAD src0_sel:WORD_0 src1_sel:DWORD
	v_mul_u32_u24_sdwa v17, v17, v143 dst_sel:DWORD dst_unused:UNUSED_PAD src0_sel:WORD_1 src1_sel:DWORD
	v_mul_u32_u24_sdwa v63, v18, v143 dst_sel:DWORD dst_unused:UNUSED_PAD src0_sel:WORD_0 src1_sel:DWORD
	v_mul_u32_u24_sdwa v18, v18, v143 dst_sel:DWORD dst_unused:UNUSED_PAD src0_sel:WORD_1 src1_sel:DWORD
	;; [unrolled: 2-line block ×4, first 2 shown]
	v_pk_fma_f16 v42, v21, v62, v42
	v_pk_fma_f16 v43, v21, v17, v43
	;; [unrolled: 1-line block ×8, first 2 shown]
	ds_read_b128 v[17:20], v140 offset:976
	s_waitcnt lgkmcnt(0)
	v_mul_u32_u24_sdwa v53, v17, v143 dst_sel:DWORD dst_unused:UNUSED_PAD src0_sel:WORD_0 src1_sel:DWORD
	v_mul_u32_u24_sdwa v54, v17, v143 dst_sel:DWORD dst_unused:UNUSED_PAD src0_sel:WORD_1 src1_sel:DWORD
	v_mul_u32_u24_sdwa v55, v18, v143 dst_sel:DWORD dst_unused:UNUSED_PAD src0_sel:WORD_0 src1_sel:DWORD
	v_mul_u32_u24_sdwa v56, v18, v143 dst_sel:DWORD dst_unused:UNUSED_PAD src0_sel:WORD_1 src1_sel:DWORD
	;; [unrolled: 2-line block ×4, first 2 shown]
	ds_read_b128 v[17:20], v140 offset:2000
	v_pk_fma_f16 v49, v22, v53, v49
	v_pk_fma_f16 v51, v22, v55, v51
	;; [unrolled: 1-line block ×8, first 2 shown]
	s_waitcnt lgkmcnt(0)
	v_mul_u32_u24_sdwa v61, v17, v143 dst_sel:DWORD dst_unused:UNUSED_PAD src0_sel:WORD_0 src1_sel:DWORD
	v_mul_u32_u24_sdwa v17, v17, v143 dst_sel:DWORD dst_unused:UNUSED_PAD src0_sel:WORD_1 src1_sel:DWORD
	v_mul_u32_u24_sdwa v64, v20, v143 dst_sel:DWORD dst_unused:UNUSED_PAD src0_sel:WORD_0 src1_sel:DWORD
	v_mul_u32_u24_sdwa v20, v20, v143 dst_sel:DWORD dst_unused:UNUSED_PAD src0_sel:WORD_1 src1_sel:DWORD
	v_mul_u32_u24_sdwa v62, v18, v143 dst_sel:DWORD dst_unused:UNUSED_PAD src0_sel:WORD_0 src1_sel:DWORD
	v_pk_fma_f16 v57, v22, v61, v42
	v_pk_fma_f16 v17, v22, v17, v43
	v_mul_u32_u24_sdwa v18, v18, v143 dst_sel:DWORD dst_unused:UNUSED_PAD src0_sel:WORD_1 src1_sel:DWORD
	v_pk_fma_f16 v61, v22, v20, v21
	ds_read2_b32 v[20:21], v150 offset0:192 offset1:224
	ds_read_b128 v[40:43], v140 offset:992
	v_mul_u32_u24_sdwa v63, v19, v143 dst_sel:DWORD dst_unused:UNUSED_PAD src0_sel:WORD_0 src1_sel:DWORD
	v_mul_u32_u24_sdwa v19, v19, v143 dst_sel:DWORD dst_unused:UNUSED_PAD src0_sel:WORD_1 src1_sel:DWORD
	v_pk_fma_f16 v58, v22, v62, v44
	v_pk_fma_f16 v18, v22, v18, v45
	;; [unrolled: 1-line block ×5, first 2 shown]
	s_waitcnt lgkmcnt(0)
	v_mul_u32_u24_sdwa v22, v40, v143 dst_sel:DWORD dst_unused:UNUSED_PAD src0_sel:WORD_0 src1_sel:DWORD
	v_mul_u32_u24_sdwa v23, v40, v143 dst_sel:DWORD dst_unused:UNUSED_PAD src0_sel:WORD_1 src1_sel:DWORD
	v_mul_u32_u24_sdwa v24, v41, v143 dst_sel:DWORD dst_unused:UNUSED_PAD src0_sel:WORD_0 src1_sel:DWORD
	v_mul_u32_u24_sdwa v44, v41, v143 dst_sel:DWORD dst_unused:UNUSED_PAD src0_sel:WORD_1 src1_sel:DWORD
	;; [unrolled: 2-line block ×4, first 2 shown]
	ds_read_b128 v[40:43], v140 offset:2016
	v_pk_fma_f16 v22, v20, v22, v49
	v_pk_fma_f16 v23, v20, v23, v50
	;; [unrolled: 1-line block ×3, first 2 shown]
	s_waitcnt lgkmcnt(0)
	v_mul_u32_u24_sdwa v62, v40, v143 dst_sel:DWORD dst_unused:UNUSED_PAD src0_sel:WORD_0 src1_sel:DWORD
	v_mul_u32_u24_sdwa v63, v40, v143 dst_sel:DWORD dst_unused:UNUSED_PAD src0_sel:WORD_1 src1_sel:DWORD
	v_mul_u32_u24_sdwa v64, v41, v143 dst_sel:DWORD dst_unused:UNUSED_PAD src0_sel:WORD_0 src1_sel:DWORD
	v_mul_u32_u24_sdwa v65, v41, v143 dst_sel:DWORD dst_unused:UNUSED_PAD src0_sel:WORD_1 src1_sel:DWORD
	;; [unrolled: 2-line block ×4, first 2 shown]
	v_pk_fma_f16 v40, v20, v44, v52
	v_pk_fma_f16 v41, v20, v45, v53
	;; [unrolled: 1-line block ×13, first 2 shown]
	ds_read_b128 v[17:20], v140 offset:1008
	s_waitcnt lgkmcnt(0)
	v_mul_u32_u24_sdwa v53, v17, v143 dst_sel:DWORD dst_unused:UNUSED_PAD src0_sel:WORD_0 src1_sel:DWORD
	v_mul_u32_u24_sdwa v54, v17, v143 dst_sel:DWORD dst_unused:UNUSED_PAD src0_sel:WORD_1 src1_sel:DWORD
	v_mul_u32_u24_sdwa v55, v18, v143 dst_sel:DWORD dst_unused:UNUSED_PAD src0_sel:WORD_0 src1_sel:DWORD
	v_mul_u32_u24_sdwa v56, v18, v143 dst_sel:DWORD dst_unused:UNUSED_PAD src0_sel:WORD_1 src1_sel:DWORD
	;; [unrolled: 2-line block ×4, first 2 shown]
	ds_read_b128 v[17:20], v140 offset:2032
	s_waitcnt lgkmcnt(0)
	s_barrier
	buffer_gl0_inv
	s_load_dword s15, s[0:1], 0x4
	v_pk_fma_f16 v172, v21, v53, v22
	v_pk_fma_f16 v171, v21, v54, v23
	;; [unrolled: 1-line block ×8, first 2 shown]
	v_mul_u32_u24_sdwa v61, v17, v143 dst_sel:DWORD dst_unused:UNUSED_PAD src0_sel:WORD_0 src1_sel:DWORD
	v_mul_u32_u24_sdwa v17, v17, v143 dst_sel:DWORD dst_unused:UNUSED_PAD src0_sel:WORD_1 src1_sel:DWORD
	v_mul_u32_u24_sdwa v62, v18, v143 dst_sel:DWORD dst_unused:UNUSED_PAD src0_sel:WORD_0 src1_sel:DWORD
	v_mul_u32_u24_sdwa v18, v18, v143 dst_sel:DWORD dst_unused:UNUSED_PAD src0_sel:WORD_1 src1_sel:DWORD
	;; [unrolled: 2-line block ×4, first 2 shown]
	s_waitcnt lgkmcnt(0)
	s_lshl_b32 s15, s15, 6
	v_pk_fma_f16 v158, v21, v61, v45
	v_pk_fma_f16 v157, v21, v17, v46
	;; [unrolled: 1-line block ×8, first 2 shown]
	s_add_i32 s6, s15, s6
	s_cmp_ge_i32 s6, s34
	s_cbranch_scc0 .LBB33_9
; %bb.10:
	s_clause 0x1b
	buffer_load_dword v135, off, s[44:47], 0 offset:68
	buffer_load_dword v136, off, s[44:47], 0 offset:72
	;; [unrolled: 1-line block ×28, first 2 shown]
	v_mov_b32_e32 v17, v119
	v_mov_b32_e32 v23, 32
.LBB33_11:
	v_lshlrev_b32_e32 v61, 1, v78
	v_cmp_lt_i32_e32 vcc_lo, v126, v23
	s_cmp_lg_u64 s[16:17], 0
	s_cselect_b32 s0, -1, 0
	s_cmp_eq_u32 s28, 0
	v_cndmask_b32_e32 v0, v17, v126, vcc_lo
	v_cmp_lt_i32_e32 vcc_lo, v127, v23
	s_cselect_b32 s1, -1, 0
	s_and_b32 s0, s1, s0
	v_lshlrev_b32_e32 v0, 2, v0
	v_cndmask_b32_e32 v18, v17, v127, vcc_lo
	v_cmp_lt_i32_e32 vcc_lo, v124, v23
	ds_bpermute_b32 v21, v0, v25
	ds_bpermute_b32 v22, v0, v26
	v_cndmask_b32_e32 v19, v17, v124, vcc_lo
	v_cmp_lt_i32_e32 vcc_lo, v125, v23
	ds_bpermute_b32 v24, v0, v28
	ds_bpermute_b32 v40, v0, v29
	v_lshlrev_b32_e32 v18, 2, v18
	ds_bpermute_b32 v41, v0, v30
	v_cndmask_b32_e32 v20, v17, v125, vcc_lo
	v_cmp_lt_i32_e32 vcc_lo, v122, v23
	ds_bpermute_b32 v23, v0, v27
	ds_bpermute_b32 v42, v0, v31
	;; [unrolled: 1-line block ×9, first 2 shown]
	v_lshlrev_b32_e32 v19, 2, v19
	s_waitcnt lgkmcnt(13)
	v_add_f32_e32 v21, v25, v21
	s_waitcnt lgkmcnt(12)
	v_add_f32_e32 v22, v26, v22
	ds_bpermute_b32 v25, v0, v39
	ds_bpermute_b32 v0, v0, v120
	s_waitcnt lgkmcnt(13)
	v_add_f32_e32 v24, v28, v24
	ds_bpermute_b32 v26, v18, v21
	s_waitcnt lgkmcnt(13)
	v_add_f32_e32 v28, v29, v40
	s_waitcnt lgkmcnt(12)
	v_add_f32_e32 v30, v30, v41
	v_lshlrev_b32_e32 v20, 2, v20
	ds_bpermute_b32 v40, v18, v24
	s_waitcnt lgkmcnt(12)
	v_add_f32_e32 v23, v27, v23
	ds_bpermute_b32 v27, v18, v22
	s_waitcnt lgkmcnt(12)
	v_add_f32_e32 v31, v31, v42
	ds_bpermute_b32 v41, v18, v28
	s_waitcnt lgkmcnt(12)
	v_add_f32_e32 v32, v32, v43
	ds_bpermute_b32 v29, v18, v23
	s_waitcnt lgkmcnt(12)
	v_add_f32_e32 v35, v35, v46
	ds_bpermute_b32 v42, v18, v30
	ds_bpermute_b32 v43, v18, v31
	s_waitcnt lgkmcnt(13)
	v_add_f32_e32 v33, v33, v44
	s_waitcnt lgkmcnt(12)
	v_add_f32_e32 v34, v34, v45
	;; [unrolled: 2-line block ×7, first 2 shown]
	ds_bpermute_b32 v26, v18, v35
	v_add_f32_e32 v0, v120, v0
	ds_bpermute_b32 v44, v18, v32
	ds_bpermute_b32 v45, v18, v33
	;; [unrolled: 1-line block ×3, first 2 shown]
	s_waitcnt lgkmcnt(8)
	v_add_f32_e32 v22, v22, v27
	ds_bpermute_b32 v27, v18, v36
	ds_bpermute_b32 v48, v18, v37
	v_add_f32_e32 v24, v24, v40
	s_waitcnt lgkmcnt(8)
	v_add_f32_e32 v23, v23, v29
	ds_bpermute_b32 v29, v19, v21
	ds_bpermute_b32 v40, v18, v38
	;; [unrolled: 1-line block ×4, first 2 shown]
	v_add_f32_e32 v28, v28, v41
	ds_bpermute_b32 v47, v19, v22
	ds_bpermute_b32 v39, v19, v23
	;; [unrolled: 1-line block ×3, first 2 shown]
	s_waitcnt lgkmcnt(14)
	v_add_f32_e32 v30, v30, v42
	s_waitcnt lgkmcnt(13)
	v_add_f32_e32 v31, v31, v43
	;; [unrolled: 2-line block ×3, first 2 shown]
	v_cndmask_b32_e32 v17, v17, v122, vcc_lo
	s_waitcnt lgkmcnt(11)
	v_add_f32_e32 v32, v32, v44
	ds_bpermute_b32 v35, v19, v30
	ds_bpermute_b32 v42, v19, v31
	s_waitcnt lgkmcnt(12)
	v_add_f32_e32 v33, v33, v45
	s_waitcnt lgkmcnt(11)
	v_add_f32_e32 v34, v34, v46
	;; [unrolled: 2-line block ×4, first 2 shown]
	ds_bpermute_b32 v45, v19, v26
	s_waitcnt lgkmcnt(9)
	v_add_f32_e32 v21, v21, v29
	ds_bpermute_b32 v29, v19, v28
	s_waitcnt lgkmcnt(9)
	v_add_f32_e32 v38, v38, v40
	s_waitcnt lgkmcnt(8)
	v_add_f32_e32 v25, v25, v49
	;; [unrolled: 2-line block ×6, first 2 shown]
	ds_bpermute_b32 v18, v19, v32
	ds_bpermute_b32 v40, v19, v33
	;; [unrolled: 1-line block ×11, first 2 shown]
	s_waitcnt lgkmcnt(12)
	v_add_f32_e32 v26, v26, v45
	ds_bpermute_b32 v36, v20, v21
	s_waitcnt lgkmcnt(12)
	v_add_f32_e32 v28, v28, v29
	v_add_f32_e32 v29, v30, v35
	;; [unrolled: 1-line block ×3, first 2 shown]
	v_lshlrev_b32_e32 v17, 2, v17
	s_and_b32 vcc_lo, exec_lo, s0
	ds_bpermute_b32 v31, v20, v28
	s_waitcnt lgkmcnt(12)
	v_add_f32_e32 v18, v32, v18
	s_waitcnt lgkmcnt(11)
	v_add_f32_e32 v33, v33, v40
	;; [unrolled: 2-line block ×10, first 2 shown]
	ds_bpermute_b32 v39, v20, v29
	ds_bpermute_b32 v42, v20, v30
	s_waitcnt lgkmcnt(4)
	v_add_f32_e32 v24, v24, v44
	ds_bpermute_b32 v40, v20, v18
	ds_bpermute_b32 v41, v20, v33
	;; [unrolled: 1-line block ×6, first 2 shown]
	s_waitcnt lgkmcnt(8)
	v_add_f32_e32 v28, v28, v31
	ds_bpermute_b32 v19, v20, v38
	ds_bpermute_b32 v31, v20, v25
	;; [unrolled: 1-line block ×3, first 2 shown]
	v_add_f32_e32 v21, v21, v36
	ds_bpermute_b32 v36, v17, v22
	ds_bpermute_b32 v32, v17, v23
	;; [unrolled: 1-line block ×3, first 2 shown]
	s_waitcnt lgkmcnt(13)
	v_add_f32_e32 v29, v29, v39
	s_waitcnt lgkmcnt(12)
	v_add_f32_e32 v30, v30, v42
	ds_bpermute_b32 v39, v17, v24
	s_waitcnt lgkmcnt(12)
	v_add_f32_e32 v18, v18, v40
	s_waitcnt lgkmcnt(11)
	v_add_f32_e32 v33, v33, v41
	;; [unrolled: 2-line block ×6, first 2 shown]
	ds_bpermute_b32 v40, v17, v28
	s_waitcnt lgkmcnt(7)
	v_add_f32_e32 v19, v38, v19
	s_waitcnt lgkmcnt(6)
	v_add_f32_e32 v25, v25, v31
	;; [unrolled: 2-line block ×3, first 2 shown]
	ds_bpermute_b32 v42, v17, v29
	ds_bpermute_b32 v47, v17, v30
	;; [unrolled: 1-line block ×11, first 2 shown]
	s_waitcnt lgkmcnt(13)
	v_add_f32_e32 v60, v21, v35
	v_add_f32_e32 v57, v22, v36
	v_add_f32_e32 v55, v23, v32
	s_waitcnt lgkmcnt(12)
	v_add_f32_e32 v53, v24, v39
	s_waitcnt lgkmcnt(11)
	v_add_f32_e32 v51, v28, v40
	;; [unrolled: 2-line block ×13, first 2 shown]
	s_cbranch_vccz .LBB33_13
; %bb.12:
	s_ashr_i32 s31, s30, 31
	v_mov_b32_e32 v0, 0
	s_lshl_b64 s[0:1], s[30:31], 2
	v_max_f32_e32 v17, v1, v1
	s_add_u32 s0, s16, s0
	s_addc_u32 s1, s17, s1
	v_max_f32_e32 v18, v2, v2
	global_load_dwordx2 v[58:59], v0, s[0:1]
	v_max_f32_e32 v0, v3, v3
	v_max_f32_e32 v20, v4, v4
	;; [unrolled: 1-line block ×8, first 2 shown]
	v_mov_b32_e32 v167, v78
	v_max_f32_e32 v27, v11, v11
	v_max_f32_e32 v28, v12, v12
	v_mov_b32_e32 v34, 0x10001
	v_max_f32_e32 v29, v13, v13
	s_waitcnt vmcnt(0)
	v_max_f32_e32 v31, v58, v58
	v_max_f32_e32 v36, v59, v59
	;; [unrolled: 1-line block ×7, first 2 shown]
	v_sub_f32_e32 v0, v1, v17
	v_sub_f32_e32 v1, v58, v17
	;; [unrolled: 1-line block ×5, first 2 shown]
	v_mul_f32_e32 v63, 0x3fb8aa3b, v0
	v_mul_f32_e32 v64, 0x3fb8aa3b, v1
	;; [unrolled: 1-line block ×4, first 2 shown]
	v_sub_f32_e32 v40, v58, v19
	v_fma_f32 v87, 0x3fb8aa3b, v0, -v63
	v_rndne_f32_e32 v88, v63
	v_fma_f32 v89, 0x3fb8aa3b, v1, -v64
	v_rndne_f32_e32 v90, v64
	v_fma_f32 v91, 0x3fb8aa3b, v2, -v65
	v_fmac_f32_e32 v87, 0x32a5705f, v0
	v_sub_f32_e32 v63, v63, v88
	v_rndne_f32_e32 v92, v65
	v_fmac_f32_e32 v89, 0x32a5705f, v1
	v_sub_f32_e32 v64, v64, v90
	v_mul_f32_e32 v67, 0x3fb8aa3b, v3
	v_add_f32_e32 v63, v63, v87
	v_fma_f32 v93, 0x3fb8aa3b, v38, -v66
	v_rndne_f32_e32 v94, v66
	v_fmac_f32_e32 v91, 0x32a5705f, v2
	v_sub_f32_e32 v65, v65, v92
	v_add_f32_e32 v64, v64, v89
	v_exp_f32_e32 v63, v63
	v_sub_f32_e32 v4, v4, v20
	v_mul_f32_e32 v68, 0x3fb8aa3b, v40
	v_fma_f32 v95, 0x3fb8aa3b, v3, -v67
	v_rndne_f32_e32 v96, v67
	v_cvt_i32_f32_e32 v88, v88
	v_fmac_f32_e32 v93, 0x32a5705f, v38
	v_sub_f32_e32 v66, v66, v94
	v_add_f32_e32 v65, v65, v91
	v_exp_f32_e32 v64, v64
	v_sub_f32_e32 v42, v59, v20
	v_mul_f32_e32 v69, 0x3fb8aa3b, v4
	v_fma_f32 v97, 0x3fb8aa3b, v40, -v68
	v_rndne_f32_e32 v98, v68
	v_cvt_i32_f32_e32 v90, v90
	v_fmac_f32_e32 v95, 0x32a5705f, v3
	v_sub_f32_e32 v67, v67, v96
	v_add_f32_e32 v66, v66, v93
	v_exp_f32_e32 v65, v65
	v_ldexp_f32 v63, v63, v88
	v_cmp_ngt_f32_e32 vcc_lo, 0xc2ce8ed0, v0
	v_sub_f32_e32 v5, v5, v21
	v_mul_f32_e32 v70, 0x3fb8aa3b, v42
	v_fma_f32 v99, 0x3fb8aa3b, v4, -v69
	v_rndne_f32_e32 v100, v69
	v_cvt_i32_f32_e32 v92, v92
	v_fmac_f32_e32 v97, 0x32a5705f, v40
	v_sub_f32_e32 v68, v68, v98
	v_add_f32_e32 v67, v67, v95
	v_exp_f32_e32 v66, v66
	v_ldexp_f32 v64, v64, v90
	v_cndmask_b32_e32 v63, 0, v63, vcc_lo
	v_cmp_ngt_f32_e32 vcc_lo, 0xc2ce8ed0, v1
	v_max_f32_e32 v22, v22, v36
	v_sub_f32_e32 v44, v58, v21
	v_mul_f32_e32 v71, 0x3fb8aa3b, v5
	v_fma_f32 v101, 0x3fb8aa3b, v42, -v70
	v_rndne_f32_e32 v102, v70
	v_cvt_i32_f32_e32 v94, v94
	v_fmac_f32_e32 v99, 0x32a5705f, v4
	v_sub_f32_e32 v69, v69, v100
	v_add_f32_e32 v68, v68, v97
	v_exp_f32_e32 v67, v67
	v_ldexp_f32 v65, v65, v92
	v_cndmask_b32_e32 v64, 0, v64, vcc_lo
	v_cmp_ngt_f32_e32 vcc_lo, 0xc2ce8ed0, v2
	v_sub_f32_e32 v6, v6, v22
	v_mul_f32_e32 v72, 0x3fb8aa3b, v44
	v_fma_f32 v103, 0x3fb8aa3b, v5, -v71
	v_rndne_f32_e32 v104, v71
	v_cvt_i32_f32_e32 v96, v96
	v_fmac_f32_e32 v101, 0x32a5705f, v42
	v_sub_f32_e32 v70, v70, v102
	v_add_f32_e32 v69, v69, v99
	v_exp_f32_e32 v68, v68
	v_ldexp_f32 v66, v66, v94
	v_cndmask_b32_e32 v65, 0, v65, vcc_lo
	v_cmp_ngt_f32_e32 vcc_lo, 0xc2ce8ed0, v38
	v_max_f32_e32 v23, v23, v31
	v_sub_f32_e32 v46, v59, v22
	v_mul_f32_e32 v73, 0x3fb8aa3b, v6
	v_fma_f32 v105, 0x3fb8aa3b, v44, -v72
	v_rndne_f32_e32 v106, v72
	v_cvt_i32_f32_e32 v98, v98
	v_fmac_f32_e32 v103, 0x32a5705f, v5
	v_sub_f32_e32 v71, v71, v104
	v_add_f32_e32 v70, v70, v101
	v_exp_f32_e32 v69, v69
	v_ldexp_f32 v67, v67, v96
	v_cndmask_b32_e32 v66, 0, v66, vcc_lo
	;; [unrolled: 25-line block ×6, first 2 shown]
	v_cmp_ngt_f32_e32 vcc_lo, 0xc2ce8ed0, v7
	v_sub_f32_e32 v11, v11, v27
	v_mul_f32_e32 v82, 0x3fb8aa3b, v54
	v_fma_f32 v123, 0x3fb8aa3b, v10, -v81
	v_rndne_f32_e32 v124, v81
	v_cvt_i32_f32_e32 v116, v116
	v_fmac_f32_e32 v121, 0x32a5705f, v52
	v_sub_f32_e32 v80, v80, v122
	v_add_f32_e32 v79, v79, v119
	v_exp_f32_e32 v78, v78
	v_ldexp_f32 v76, v76, v114
	v_cndmask_b32_e32 v75, 0, v75, vcc_lo
	v_cmp_ngt_f32_e32 vcc_lo, 0xc2ce8ed0, v48
	v_sub_f32_e32 v56, v58, v27
	v_mul_f32_e32 v83, 0x3fb8aa3b, v11
	v_fma_f32 v125, 0x3fb8aa3b, v54, -v82
	v_rndne_f32_e32 v126, v82
	v_cvt_i32_f32_e32 v118, v118
	v_fmac_f32_e32 v123, 0x32a5705f, v10
	v_sub_f32_e32 v81, v81, v124
	v_add_f32_e32 v80, v80, v121
	v_exp_f32_e32 v79, v79
	v_ldexp_f32 v77, v77, v116
	v_cndmask_b32_e32 v76, 0, v76, vcc_lo
	v_cmp_ngt_f32_e32 vcc_lo, 0xc2ce8ed0, v8
	v_mul_f32_e32 v84, 0x3fb8aa3b, v56
	v_fma_f32 v127, 0x3fb8aa3b, v11, -v83
	v_rndne_f32_e32 v128, v83
	v_cvt_i32_f32_e32 v120, v120
	v_fmac_f32_e32 v125, 0x32a5705f, v54
	v_sub_f32_e32 v82, v82, v126
	v_add_f32_e32 v81, v81, v123
	v_exp_f32_e32 v80, v80
	v_ldexp_f32 v78, v78, v118
	v_cndmask_b32_e32 v77, 0, v77, vcc_lo
	v_cmp_ngt_f32_e32 vcc_lo, 0xc2ce8ed0, v50
	v_fma_f32 v129, 0x3fb8aa3b, v56, -v84
	v_rndne_f32_e32 v130, v84
	v_cvt_i32_f32_e32 v122, v122
	v_fmac_f32_e32 v127, 0x32a5705f, v11
	v_sub_f32_e32 v83, v83, v128
	v_add_f32_e32 v82, v82, v125
	v_exp_f32_e32 v81, v81
	v_ldexp_f32 v79, v79, v120
	v_cndmask_b32_e32 v78, 0, v78, vcc_lo
	v_cmp_ngt_f32_e32 vcc_lo, 0xc2ce8ed0, v9
	v_cvt_i32_f32_e32 v124, v124
	v_fmac_f32_e32 v129, 0x32a5705f, v56
	v_sub_f32_e32 v84, v84, v130
	v_add_f32_e32 v83, v83, v127
	v_exp_f32_e32 v82, v82
	v_ldexp_f32 v80, v80, v122
	v_cndmask_b32_e32 v79, 0, v79, vcc_lo
	v_cmp_ngt_f32_e32 vcc_lo, 0xc2ce8ed0, v52
	v_cvt_i32_f32_e32 v126, v126
	v_add_f32_e32 v84, v84, v129
	v_exp_f32_e32 v83, v83
	v_ldexp_f32 v81, v81, v124
	v_cndmask_b32_e32 v80, 0, v80, vcc_lo
	v_cmp_ngt_f32_e32 vcc_lo, 0xc2ce8ed0, v10
	v_cvt_i32_f32_e32 v128, v128
	v_exp_f32_e32 v84, v84
	v_ldexp_f32 v82, v82, v126
	v_cvt_i32_f32_e32 v130, v130
	v_cndmask_b32_e32 v81, 0, v81, vcc_lo
	v_cmp_ngt_f32_e32 vcc_lo, 0xc2ce8ed0, v54
	v_ldexp_f32 v83, v83, v128
	v_max_f32_e32 v28, v28, v36
	v_max_f32_e32 v29, v29, v31
	v_cndmask_b32_e32 v82, 0, v82, vcc_lo
	v_cmp_ngt_f32_e32 vcc_lo, 0xc2ce8ed0, v11
	v_ldexp_f32 v84, v84, v130
	v_sub_f32_e32 v12, v12, v28
	v_sub_f32_e32 v62, v59, v28
	v_cndmask_b32_e32 v83, 0, v83, vcc_lo
	v_cmp_ngt_f32_e32 vcc_lo, 0xc2ce8ed0, v56
	v_mul_f32_e32 v85, 0x3fb8aa3b, v12
	v_mul_f32_e32 v86, 0x3fb8aa3b, v62
	v_cndmask_b32_e32 v84, 0, v84, vcc_lo
	v_cmp_nlt_f32_e32 vcc_lo, 0x42b17218, v0
	v_fma_f32 v131, 0x3fb8aa3b, v12, -v85
	v_rndne_f32_e32 v132, v85
	v_fma_f32 v133, 0x3fb8aa3b, v62, -v86
	v_rndne_f32_e32 v134, v86
	v_cndmask_b32_e32 v0, 0x7f800000, v63, vcc_lo
	v_cmp_nlt_f32_e32 vcc_lo, 0x42b17218, v1
	v_fmac_f32_e32 v131, 0x32a5705f, v12
	v_sub_f32_e32 v85, v85, v132
	v_fmac_f32_e32 v133, 0x32a5705f, v62
	v_sub_f32_e32 v86, v86, v134
	v_cndmask_b32_e32 v63, 0x7f800000, v64, vcc_lo
	v_cmp_nlt_f32_e32 vcc_lo, 0x42b17218, v2
	v_add_f32_e32 v85, v85, v131
	v_add_f32_e32 v86, v86, v133
	v_fmac_f32_e32 v63, v60, v0
	v_cndmask_b32_e32 v1, 0x7f800000, v65, vcc_lo
	v_cmp_nlt_f32_e32 vcc_lo, 0x42b17218, v38
	v_exp_f32_e32 v85, v85
	v_cvt_f16_f32_e32 v0, v0
	v_mov_b32_e32 v60, v63
	v_cndmask_b32_e32 v38, 0x7f800000, v66, vcc_lo
	v_cmp_nlt_f32_e32 vcc_lo, 0x42b17218, v3
	v_mul_u32_u24_sdwa v0, v0, v34 dst_sel:DWORD dst_unused:UNUSED_PAD src0_sel:WORD_0 src1_sel:DWORD
	v_fmac_f32_e32 v38, v57, v1
	v_cndmask_b32_e32 v2, 0x7f800000, v67, vcc_lo
	v_cmp_nlt_f32_e32 vcc_lo, 0x42b17218, v40
	v_cvt_f16_f32_e32 v1, v1
	v_pk_mul_f16 v172, v172, v0
	v_mov_b32_e32 v57, v38
	v_cndmask_b32_e32 v40, 0x7f800000, v68, vcc_lo
	v_cmp_nlt_f32_e32 vcc_lo, 0x42b17218, v4
	v_mul_u32_u24_sdwa v1, v1, v34 dst_sel:DWORD dst_unused:UNUSED_PAD src0_sel:WORD_0 src1_sel:DWORD
	v_fmac_f32_e32 v40, v55, v2
	v_cndmask_b32_e32 v3, 0x7f800000, v69, vcc_lo
	v_cmp_nlt_f32_e32 vcc_lo, 0x42b17218, v42
	v_cvt_f16_f32_e32 v2, v2
	v_pk_mul_f16 v171, v171, v1
	v_cvt_i32_f32_e32 v1, v132
	v_mov_b32_e32 v55, v40
	v_cndmask_b32_e32 v42, 0x7f800000, v70, vcc_lo
	v_cmp_nlt_f32_e32 vcc_lo, 0x42b17218, v5
	v_mul_u32_u24_sdwa v2, v2, v34 dst_sel:DWORD dst_unused:UNUSED_PAD src0_sel:WORD_0 src1_sel:DWORD
	v_ldexp_f32 v1, v85, v1
	v_fmac_f32_e32 v42, v53, v3
	v_cndmask_b32_e32 v4, 0x7f800000, v71, vcc_lo
	v_cmp_nlt_f32_e32 vcc_lo, 0x42b17218, v44
	v_cvt_f16_f32_e32 v3, v3
	v_pk_mul_f16 v170, v170, v2
	v_exp_f32_e32 v2, v86
	v_mov_b32_e32 v53, v42
	v_cndmask_b32_e32 v44, 0x7f800000, v72, vcc_lo
	v_cmp_nlt_f32_e32 vcc_lo, 0x42b17218, v6
	v_mul_u32_u24_sdwa v3, v3, v34 dst_sel:DWORD dst_unused:UNUSED_PAD src0_sel:WORD_0 src1_sel:DWORD
	v_fmac_f32_e32 v44, v51, v4
	v_cndmask_b32_e32 v5, 0x7f800000, v73, vcc_lo
	v_cmp_nlt_f32_e32 vcc_lo, 0x42b17218, v46
	v_cvt_f16_f32_e32 v4, v4
	v_pk_mul_f16 v169, v169, v3
	v_sub_f32_e32 v3, v13, v29
	v_mov_b32_e32 v51, v44
	v_cndmask_b32_e32 v46, 0x7f800000, v74, vcc_lo
	v_cmp_nlt_f32_e32 vcc_lo, 0x42b17218, v7
	v_mul_u32_u24_sdwa v4, v4, v34 dst_sel:DWORD dst_unused:UNUSED_PAD src0_sel:WORD_0 src1_sel:DWORD
	v_fmac_f32_e32 v46, v49, v5
	v_cndmask_b32_e32 v6, 0x7f800000, v75, vcc_lo
	v_cmp_nlt_f32_e32 vcc_lo, 0x42b17218, v48
	v_cvt_f16_f32_e32 v5, v5
	v_pk_mul_f16 v162, v162, v4
	v_mov_b32_e32 v49, v46
	v_cndmask_b32_e32 v48, 0x7f800000, v76, vcc_lo
	v_cmp_nlt_f32_e32 vcc_lo, 0x42b17218, v8
	v_mul_u32_u24_sdwa v5, v5, v34 dst_sel:DWORD dst_unused:UNUSED_PAD src0_sel:WORD_0 src1_sel:DWORD
	v_fmac_f32_e32 v48, v47, v6
	v_cndmask_b32_e32 v7, 0x7f800000, v77, vcc_lo
	v_cmp_nlt_f32_e32 vcc_lo, 0x42b17218, v50
	v_cvt_f16_f32_e32 v6, v6
	v_pk_mul_f16 v161, v161, v5
	v_cvt_i32_f32_e32 v5, v134
	v_mov_b32_e32 v47, v48
	v_cndmask_b32_e32 v50, 0x7f800000, v78, vcc_lo
	v_cmp_nlt_f32_e32 vcc_lo, 0x42b17218, v9
	v_mul_u32_u24_sdwa v6, v6, v34 dst_sel:DWORD dst_unused:UNUSED_PAD src0_sel:WORD_0 src1_sel:DWORD
	v_ldexp_f32 v2, v2, v5
	v_mov_b32_e32 v78, v167
	v_fmac_f32_e32 v50, v45, v7
	v_cndmask_b32_e32 v8, 0x7f800000, v79, vcc_lo
	v_cmp_nlt_f32_e32 vcc_lo, 0x42b17218, v52
	v_cvt_f16_f32_e32 v7, v7
	v_pk_mul_f16 v160, v160, v6
	v_mul_f32_e32 v6, 0x3fb8aa3b, v3
	v_mov_b32_e32 v45, v50
	v_cndmask_b32_e32 v52, 0x7f800000, v80, vcc_lo
	v_cmp_nlt_f32_e32 vcc_lo, 0x42b17218, v10
	v_mul_u32_u24_sdwa v7, v7, v34 dst_sel:DWORD dst_unused:UNUSED_PAD src0_sel:WORD_0 src1_sel:DWORD
	v_rndne_f32_e32 v5, v6
	v_fmac_f32_e32 v52, v43, v8
	v_cndmask_b32_e32 v9, 0x7f800000, v81, vcc_lo
	v_cmp_nlt_f32_e32 vcc_lo, 0x42b17218, v54
	v_cvt_f16_f32_e32 v8, v8
	v_pk_mul_f16 v159, v159, v7
	v_sub_f32_e32 v7, v58, v29
	v_mov_b32_e32 v43, v52
	v_cndmask_b32_e32 v54, 0x7f800000, v82, vcc_lo
	v_cmp_nlt_f32_e32 vcc_lo, 0x42b17218, v11
	v_mul_u32_u24_sdwa v8, v8, v34 dst_sel:DWORD dst_unused:UNUSED_PAD src0_sel:WORD_0 src1_sel:DWORD
	v_fmac_f32_e32 v54, v41, v9
	v_cndmask_b32_e32 v10, 0x7f800000, v83, vcc_lo
	v_cmp_nlt_f32_e32 vcc_lo, 0x42b17218, v56
	v_cvt_f16_f32_e32 v9, v9
	v_pk_mul_f16 v158, v158, v8
	v_mov_b32_e32 v41, v54
	v_cvt_f16_f32_e32 v11, v10
	v_cndmask_b32_e32 v0, 0x7f800000, v84, vcc_lo
	v_cmp_ngt_f32_e32 vcc_lo, 0xc2ce8ed0, v12
	v_mul_u32_u24_sdwa v9, v9, v34 dst_sel:DWORD dst_unused:UNUSED_PAD src0_sel:WORD_0 src1_sel:DWORD
	v_mul_u32_u24_sdwa v4, v11, v34 dst_sel:DWORD dst_unused:UNUSED_PAD src0_sel:WORD_0 src1_sel:DWORD
	v_fmac_f32_e32 v0, v32, v10
	v_cndmask_b32_e32 v1, 0, v1, vcc_lo
	v_cmp_nlt_f32_e32 vcc_lo, 0x42b17218, v12
	v_pk_mul_f16 v157, v157, v9
	v_pk_mul_f16 v156, v156, v4
	v_fma_f32 v4, 0x3fb8aa3b, v3, -v6
	v_sub_f32_e32 v6, v6, v5
	v_cndmask_b32_e32 v1, 0x7f800000, v1, vcc_lo
	v_cmp_ngt_f32_e32 vcc_lo, 0xc2ce8ed0, v62
	v_cvt_i32_f32_e32 v5, v5
	v_fmac_f32_e32 v4, 0x32a5705f, v3
	v_cvt_f16_f32_e32 v8, v1
	v_cndmask_b32_e32 v2, 0, v2, vcc_lo
	v_cmp_nlt_f32_e32 vcc_lo, 0x42b17218, v62
	v_add_f32_e32 v4, v6, v4
	v_mul_f32_e32 v6, 0x3fb8aa3b, v7
	v_cndmask_b32_e32 v56, 0x7f800000, v2, vcc_lo
	v_max_f32_e32 v2, v14, v14
	v_cmp_ngt_f32_e32 vcc_lo, 0xc2ce8ed0, v3
	v_fmac_f32_e32 v56, v30, v1
	v_max_f32_e32 v30, v2, v36
	v_mul_u32_u24_sdwa v1, v8, v34 dst_sel:DWORD dst_unused:UNUSED_PAD src0_sel:WORD_0 src1_sel:DWORD
	v_exp_f32_e32 v2, v4
	v_fma_f32 v4, 0x3fb8aa3b, v7, -v6
	v_rndne_f32_e32 v8, v6
	v_sub_f32_e32 v9, v14, v30
	v_sub_f32_e32 v10, v59, v30
	v_pk_mul_f16 v155, v155, v1
	v_fmac_f32_e32 v4, 0x32a5705f, v7
	v_sub_f32_e32 v6, v6, v8
	v_mul_f32_e32 v11, 0x3fb8aa3b, v9
	v_mul_f32_e32 v1, 0x3fb8aa3b, v10
	v_ldexp_f32 v2, v2, v5
	v_cvt_i32_f32_e32 v8, v8
	v_add_f32_e32 v4, v6, v4
	v_fma_f32 v5, 0x3fb8aa3b, v9, -v11
	v_rndne_f32_e32 v6, v11
	v_fma_f32 v12, 0x3fb8aa3b, v10, -v1
	v_rndne_f32_e32 v13, v1
	v_exp_f32_e32 v4, v4
	v_fmac_f32_e32 v5, 0x32a5705f, v9
	v_sub_f32_e32 v11, v11, v6
	v_fmac_f32_e32 v12, 0x32a5705f, v10
	v_sub_f32_e32 v1, v1, v13
	v_cndmask_b32_e32 v2, 0, v2, vcc_lo
	v_cmp_nlt_f32_e32 vcc_lo, 0x42b17218, v3
	v_add_f32_e32 v5, v11, v5
	v_cvt_i32_f32_e32 v6, v6
	v_add_f32_e32 v1, v1, v12
	v_ldexp_f32 v4, v4, v8
	v_cndmask_b32_e32 v2, 0x7f800000, v2, vcc_lo
	v_exp_f32_e32 v3, v5
	v_cmp_ngt_f32_e32 vcc_lo, 0xc2ce8ed0, v7
	v_exp_f32_e32 v1, v1
	v_cvt_i32_f32_e32 v8, v13
	v_cvt_f16_f32_e32 v5, v2
	v_max_f32_e32 v11, v15, v15
	v_cndmask_b32_e32 v4, 0, v4, vcc_lo
	v_cmp_nlt_f32_e32 vcc_lo, 0x42b17218, v7
	v_ldexp_f32 v3, v3, v6
	v_max_f32_e32 v31, v11, v31
	v_cndmask_b32_e32 v62, 0x7f800000, v4, vcc_lo
	v_cmp_ngt_f32_e32 vcc_lo, 0xc2ce8ed0, v9
	v_ldexp_f32 v1, v1, v8
	v_mul_u32_u24_sdwa v4, v5, v34 dst_sel:DWORD dst_unused:UNUSED_PAD src0_sel:WORD_0 src1_sel:DWORD
	v_max_f32_e32 v5, v16, v16
	v_sub_f32_e32 v6, v15, v31
	v_cndmask_b32_e32 v3, 0, v3, vcc_lo
	v_cmp_ngt_f32_e32 vcc_lo, 0xc2ce8ed0, v10
	v_fmac_f32_e32 v62, v39, v2
	v_max_f32_e32 v32, v5, v36
	v_pk_mul_f16 v154, v154, v4
	v_sub_f32_e32 v8, v58, v31
	v_cndmask_b32_e32 v1, 0, v1, vcc_lo
	v_cmp_nlt_f32_e32 vcc_lo, 0x42b17218, v9
	v_sub_f32_e32 v2, v16, v32
	v_sub_f32_e32 v12, v59, v32
	v_mul_f32_e32 v11, 0x3fb8aa3b, v8
	v_mov_b32_e32 v39, v62
	v_cndmask_b32_e32 v3, 0x7f800000, v3, vcc_lo
	v_cmp_nlt_f32_e32 vcc_lo, 0x42b17218, v10
	v_mul_f32_e32 v7, 0x3fb8aa3b, v2
	v_mul_f32_e32 v13, 0x3fb8aa3b, v12
	v_rndne_f32_e32 v14, v11
	v_cndmask_b32_e32 v36, 0x7f800000, v1, vcc_lo
	v_mul_f32_e32 v1, 0x3fb8aa3b, v6
	v_fma_f32 v9, 0x3fb8aa3b, v2, -v7
	v_rndne_f32_e32 v10, v7
	v_rndne_f32_e32 v15, v13
	v_cmp_ngt_f32_e32 vcc_lo, 0xc2ce8ed0, v6
	v_fma_f32 v4, 0x3fb8aa3b, v6, -v1
	v_rndne_f32_e32 v5, v1
	v_fmac_f32_e32 v9, 0x32a5705f, v2
	v_fmac_f32_e32 v36, v37, v3
	v_cvt_f16_f32_e32 v3, v3
	v_fmac_f32_e32 v4, 0x32a5705f, v6
	v_sub_f32_e32 v1, v1, v5
	v_cvt_i32_f32_e32 v5, v5
	v_mov_b32_e32 v37, v36
	v_mul_u32_u24_sdwa v3, v3, v34 dst_sel:DWORD dst_unused:UNUSED_PAD src0_sel:WORD_0 src1_sel:DWORD
	v_add_f32_e32 v1, v1, v4
	v_sub_f32_e32 v4, v7, v10
	v_fma_f32 v7, 0x3fb8aa3b, v8, -v11
	v_sub_f32_e32 v11, v11, v14
	v_cvt_i32_f32_e32 v10, v10
	v_exp_f32_e32 v1, v1
	v_add_f32_e32 v4, v4, v9
	v_fmac_f32_e32 v7, 0x32a5705f, v8
	v_fma_f32 v9, 0x3fb8aa3b, v12, -v13
	v_sub_f32_e32 v13, v13, v15
	v_pk_mul_f16 v153, v153, v3
	v_exp_f32_e32 v4, v4
	v_add_f32_e32 v7, v11, v7
	v_fmac_f32_e32 v9, 0x32a5705f, v12
	v_ldexp_f32 v1, v1, v5
	v_exp_f32_e32 v7, v7
	v_add_f32_e32 v5, v13, v9
	v_cvt_i32_f32_e32 v9, v14
	v_cndmask_b32_e32 v1, 0, v1, vcc_lo
	v_ldexp_f32 v4, v4, v10
	v_cmp_ngt_f32_e32 vcc_lo, 0xc2ce8ed0, v2
	v_exp_f32_e32 v5, v5
	v_cvt_i32_f32_e32 v10, v15
	v_cndmask_b32_e32 v4, 0, v4, vcc_lo
	v_cmp_nlt_f32_e32 vcc_lo, 0x42b17218, v6
	v_ldexp_f32 v6, v7, v9
	v_cndmask_b32_e32 v1, 0x7f800000, v1, vcc_lo
	v_cmp_nlt_f32_e32 vcc_lo, 0x42b17218, v2
	v_cndmask_b32_e32 v2, 0x7f800000, v4, vcc_lo
	v_cmp_ngt_f32_e32 vcc_lo, 0xc2ce8ed0, v8
	v_ldexp_f32 v4, v5, v10
	v_cvt_f16_f32_e32 v7, v2
	v_cndmask_b32_e32 v5, 0, v6, vcc_lo
	v_cmp_ngt_f32_e32 vcc_lo, 0xc2ce8ed0, v12
	v_cvt_f16_f32_e32 v6, v1
	v_cndmask_b32_e32 v4, 0, v4, vcc_lo
	v_cmp_nlt_f32_e32 vcc_lo, 0x42b17218, v8
	v_cndmask_b32_e32 v58, 0x7f800000, v5, vcc_lo
	v_cmp_nlt_f32_e32 vcc_lo, 0x42b17218, v12
	v_mul_u32_u24_sdwa v5, v6, v34 dst_sel:DWORD dst_unused:UNUSED_PAD src0_sel:WORD_0 src1_sel:DWORD
	v_fmac_f32_e32 v58, v35, v1
	v_cndmask_b32_e32 v59, 0x7f800000, v4, vcc_lo
	v_mul_u32_u24_sdwa v4, v7, v34 dst_sel:DWORD dst_unused:UNUSED_PAD src0_sel:WORD_0 src1_sel:DWORD
	v_pk_mul_f16 v152, v152, v5
	v_mov_b32_e32 v35, v58
	v_fmac_f32_e32 v59, v33, v2
	v_pk_mul_f16 v151, v151, v4
	v_mov_b32_e32 v1, v17
	v_mov_b32_e32 v2, v18
	;; [unrolled: 1-line block ×19, first 2 shown]
.LBB33_13:
	s_mov_b32 s0, exec_lo
	s_waitcnt vmcnt(0)
	v_cmpx_gt_i32_e64 s2, v179
	s_cbranch_execz .LBB33_92
; %bb.14:
	s_load_dword s1, s[4:5], 0xd4
	v_mov_b32_e32 v20, 1.0
	s_waitcnt lgkmcnt(0)
	s_cmp_lg_u32 s1, 1
	s_cselect_b32 s5, -1, 0
	s_cmp_eq_u32 s1, 1
	s_cselect_b32 s6, -1, 0
	s_and_b32 vcc_lo, exec_lo, s5
	s_cbranch_vccnz .LBB33_16
; %bb.15:
	v_div_scale_f32 v0, null, v60, v60, 1.0
	v_rcp_f32_e32 v17, v0
	v_fma_f32 v18, -v0, v17, 1.0
	v_fmac_f32_e32 v17, v18, v17
	v_div_scale_f32 v18, vcc_lo, 1.0, v60, 1.0
	v_mul_f32_e32 v19, v18, v17
	v_fma_f32 v20, -v0, v19, v18
	v_fmac_f32_e32 v19, v20, v17
	v_fma_f32 v0, -v0, v19, v18
	v_div_fmas_f32 v0, v0, v17, v19
	v_div_fixup_f32 v20, v0, v60, 1.0
.LBB33_16:
	s_mul_i32 s4, s7, s2
	v_mov_b32_e32 v22, 0
	s_add_i32 s4, s4, s14
	v_cmp_eq_u32_e32 vcc_lo, 0, v78
	v_add_nc_u32_e32 v0, s4, v178
	s_and_b32 s5, vcc_lo, s5
	v_mul_lo_u32 v19, v0, s3
	v_add_nc_u32_e32 v0, s30, v19
	v_mad_u64_u32 v[17:18], null, s1, v0, s[28:29]
	v_cvt_f32_f16_e32 v0, v172
	v_cvt_f32_f16_sdwa v18, v172 dst_sel:DWORD dst_unused:UNUSED_PAD src0_sel:WORD_1
	v_mul_f32_e32 v23, v20, v0
	v_lshl_add_u32 v21, v17, 6, v61
	v_mul_f32_e32 v24, v20, v18
	v_lshlrev_b64 v[21:22], 2, v[21:22]
	v_add_co_u32 v20, s0, s20, v21
	v_add_co_ci_u32_e64 v21, null, s21, v22, s0
	global_store_dwordx2 v[20:21], v[23:24], off
	s_and_saveexec_b32 s0, s5
	s_cbranch_execz .LBB33_18
; %bb.17:
	v_ashrrev_i32_e32 v18, 31, v17
	v_mov_b32_e32 v59, v1
	v_lshlrev_b64 v[17:18], 3, v[17:18]
	v_add_co_u32 v17, vcc_lo, s22, v17
	v_add_co_ci_u32_e64 v18, null, s23, v18, vcc_lo
	global_store_dwordx2 v[17:18], v[59:60], off
.LBB33_18:
	s_or_b32 exec_lo, exec_lo, s0
	v_cndmask_b32_e64 v17, 0, 1, s6
	v_mov_b32_e32 v18, 1.0
	s_andn2_b32 vcc_lo, exec_lo, s6
	s_cbranch_vccnz .LBB33_20
; %bb.19:
	v_div_scale_f32 v0, null, v57, v57, 1.0
	v_rcp_f32_e32 v1, v0
	v_fma_f32 v18, -v0, v1, 1.0
	v_fmac_f32_e32 v1, v18, v1
	v_div_scale_f32 v18, vcc_lo, 1.0, v57, 1.0
	v_mul_f32_e32 v20, v18, v1
	v_fma_f32 v21, -v0, v20, v18
	v_fmac_f32_e32 v20, v21, v1
	v_fma_f32 v0, -v0, v20, v18
	v_div_fmas_f32 v0, v0, v1, v20
	v_div_fixup_f32 v18, v0, v57, 1.0
.LBB33_20:
	s_add_i32 s0, s30, 1
	v_mov_b32_e32 v20, 0
	v_add_nc_u32_e32 v0, s0, v19
	v_cvt_f32_f16_sdwa v22, v171 dst_sel:DWORD dst_unused:UNUSED_PAD src0_sel:WORD_1
	v_mad_u64_u32 v[0:1], null, s1, v0, s[28:29]
	v_cvt_f32_f16_e32 v1, v171
	v_mul_f32_e32 v22, v18, v22
	v_mul_f32_e32 v21, v18, v1
	v_lshl_add_u32 v19, v0, 6, v61
	v_lshlrev_b64 v[19:20], 2, v[19:20]
	v_add_co_u32 v18, vcc_lo, s20, v19
	v_add_co_ci_u32_e64 v19, null, s21, v20, vcc_lo
	global_store_dwordx2 v[18:19], v[21:22], off
	s_and_saveexec_b32 s6, s5
	s_cbranch_execz .LBB33_22
; %bb.21:
	v_ashrrev_i32_e32 v1, 31, v0
	v_mov_b32_e32 v56, v2
	v_lshlrev_b64 v[0:1], 3, v[0:1]
	v_add_co_u32 v0, vcc_lo, s22, v0
	v_add_co_ci_u32_e64 v1, null, s23, v1, vcc_lo
	global_store_dwordx2 v[0:1], v[56:57], off
.LBB33_22:
	s_or_b32 exec_lo, exec_lo, s6
	v_cmp_gt_i32_e32 vcc_lo, s2, v177
	s_and_b32 exec_lo, exec_lo, vcc_lo
	s_cbranch_execz .LBB33_92
; %bb.23:
	v_cmp_ne_u32_e32 vcc_lo, 1, v17
	v_mov_b32_e32 v2, 1.0
	s_cbranch_vccnz .LBB33_25
; %bb.24:
	v_div_scale_f32 v0, null, v55, v55, 1.0
	v_rcp_f32_e32 v1, v0
	v_fma_f32 v2, -v0, v1, 1.0
	v_fmac_f32_e32 v1, v2, v1
	v_div_scale_f32 v2, vcc_lo, 1.0, v55, 1.0
	v_mul_f32_e32 v18, v2, v1
	v_fma_f32 v19, -v0, v18, v2
	v_fmac_f32_e32 v18, v19, v1
	v_fma_f32 v0, -v0, v18, v2
	v_div_fmas_f32 v0, v0, v1, v18
	v_div_fixup_f32 v2, v0, v55, 1.0
.LBB33_25:
	v_add_nc_u32_e32 v0, s4, v176
	v_mov_b32_e32 v19, 0
	v_cvt_f32_f16_sdwa v20, v170 dst_sel:DWORD dst_unused:UNUSED_PAD src0_sel:WORD_1
	v_mad_u64_u32 v[0:1], null, v0, s3, s[30:31]
	v_mad_u64_u32 v[0:1], null, s1, v0, s[28:29]
	v_cvt_f32_f16_e32 v1, v170
	v_mul_f32_e32 v1, v2, v1
	v_lshl_add_u32 v18, v0, 6, v61
	v_mul_f32_e32 v2, v2, v20
	v_lshlrev_b64 v[18:19], 2, v[18:19]
	v_add_co_u32 v18, vcc_lo, s20, v18
	v_add_co_ci_u32_e64 v19, null, s21, v19, vcc_lo
	global_store_dwordx2 v[18:19], v[1:2], off
	s_and_saveexec_b32 s6, s5
	s_cbranch_execz .LBB33_27
; %bb.26:
	v_ashrrev_i32_e32 v1, 31, v0
	v_mov_b32_e32 v54, v3
	v_lshlrev_b64 v[0:1], 3, v[0:1]
	v_add_co_u32 v0, vcc_lo, s22, v0
	v_add_co_ci_u32_e64 v1, null, s23, v1, vcc_lo
	global_store_dwordx2 v[0:1], v[54:55], off
.LBB33_27:
	s_or_b32 exec_lo, exec_lo, s6
	v_cmp_gt_i32_e32 vcc_lo, s2, v175
	s_and_b32 exec_lo, exec_lo, vcc_lo
	s_cbranch_execz .LBB33_92
; %bb.28:
	v_cmp_ne_u32_e32 vcc_lo, 1, v17
	v_mov_b32_e32 v2, 1.0
	s_cbranch_vccnz .LBB33_30
; %bb.29:
	v_div_scale_f32 v0, null, v53, v53, 1.0
	v_rcp_f32_e32 v1, v0
	v_fma_f32 v2, -v0, v1, 1.0
	v_fmac_f32_e32 v1, v2, v1
	v_div_scale_f32 v2, vcc_lo, 1.0, v53, 1.0
	v_mul_f32_e32 v3, v2, v1
	v_fma_f32 v18, -v0, v3, v2
	v_fmac_f32_e32 v3, v18, v1
	v_fma_f32 v0, -v0, v3, v2
	v_div_fmas_f32 v0, v0, v1, v3
	v_div_fixup_f32 v2, v0, v53, 1.0
.LBB33_30:
	v_add_nc_u32_e32 v0, s4, v173
	v_mov_b32_e32 v19, 0
	v_cvt_f32_f16_sdwa v3, v169 dst_sel:DWORD dst_unused:UNUSED_PAD src0_sel:WORD_1
	v_mad_u64_u32 v[0:1], null, v0, s3, s[0:1]
	v_mad_u64_u32 v[0:1], null, s1, v0, s[28:29]
	v_cvt_f32_f16_e32 v1, v169
	v_mul_f32_e32 v1, v2, v1
	v_lshl_add_u32 v18, v0, 6, v61
	v_mul_f32_e32 v2, v2, v3
	;; [unrolled: 44-line block ×13, first 2 shown]
	v_lshlrev_b64 v[3:4], 2, v[3:4]
	v_add_co_u32 v3, vcc_lo, s20, v3
	v_add_co_ci_u32_e64 v4, null, s21, v4, vcc_lo
	global_store_dwordx2 v[3:4], v[1:2], off
	s_and_saveexec_b32 s6, s5
	s_cbranch_execz .LBB33_87
; %bb.86:
	v_ashrrev_i32_e32 v1, 31, v0
	v_mov_b32_e32 v34, v15
	v_lshlrev_b64 v[0:1], 3, v[0:1]
	v_add_co_u32 v0, vcc_lo, s22, v0
	v_add_co_ci_u32_e64 v1, null, s23, v1, vcc_lo
	global_store_dwordx2 v[0:1], v[34:35], off
.LBB33_87:
	s_or_b32 exec_lo, exec_lo, s6
	buffer_load_dword v0, off, s[44:47], 0 offset:60 ; 4-byte Folded Reload
	s_waitcnt vmcnt(0)
	v_cmp_gt_i32_e32 vcc_lo, s2, v0
	s_and_b32 exec_lo, exec_lo, vcc_lo
	s_cbranch_execz .LBB33_92
; %bb.88:
	v_cmp_ne_u32_e32 vcc_lo, 1, v17
	v_mov_b32_e32 v2, 1.0
	s_cbranch_vccnz .LBB33_90
; %bb.89:
	v_div_scale_f32 v0, null, v33, v33, 1.0
	v_rcp_f32_e32 v1, v0
	v_fma_f32 v2, -v0, v1, 1.0
	v_fmac_f32_e32 v1, v2, v1
	v_div_scale_f32 v2, vcc_lo, 1.0, v33, 1.0
	v_mul_f32_e32 v3, v2, v1
	v_fma_f32 v4, -v0, v3, v2
	v_fmac_f32_e32 v3, v4, v1
	v_fma_f32 v0, -v0, v3, v2
	v_div_fmas_f32 v0, v0, v1, v3
	v_div_fixup_f32 v2, v0, v33, 1.0
.LBB33_90:
	buffer_load_dword v0, off, s[44:47], 0 offset:64 ; 4-byte Folded Reload
	v_mov_b32_e32 v4, 0
	v_cvt_f32_f16_sdwa v5, v151 dst_sel:DWORD dst_unused:UNUSED_PAD src0_sel:WORD_1
	s_waitcnt vmcnt(0)
	v_add_nc_u32_e32 v0, s4, v0
	v_mad_u64_u32 v[0:1], null, v0, s3, s[0:1]
	v_mad_u64_u32 v[0:1], null, s1, v0, s[28:29]
	v_cvt_f32_f16_e32 v1, v151
	v_mul_f32_e32 v1, v2, v1
	v_lshl_add_u32 v3, v0, 6, v61
	v_mul_f32_e32 v2, v2, v5
	v_lshlrev_b64 v[3:4], 2, v[3:4]
	v_add_co_u32 v3, vcc_lo, s20, v3
	v_add_co_ci_u32_e64 v4, null, s21, v4, vcc_lo
	global_store_dwordx2 v[3:4], v[1:2], off
	s_and_b32 exec_lo, exec_lo, s5
	s_cbranch_execz .LBB33_92
; %bb.91:
	v_ashrrev_i32_e32 v1, 31, v0
	v_mov_b32_e32 v32, v16
	v_lshlrev_b64 v[0:1], 3, v[0:1]
	v_add_co_u32 v0, vcc_lo, s22, v0
	v_add_co_ci_u32_e64 v1, null, s23, v1, vcc_lo
	global_store_dwordx2 v[0:1], v[32:33], off
.LBB33_92:
	s_endpgm
	.section	.rodata,"a",@progbits
	.p2align	6, 0x0
	.amdhsa_kernel _ZL15flash_attn_tileILi64ELi64ELi32ELi2ELb0EEvPKcS1_S1_S1_S1_PKiPfP15HIP_vector_typeIfLj2EEffffjfiS5_IjLj3EEiiiiiiiiiiiliiliiiiil
		.amdhsa_group_segment_fixed_size 25600
		.amdhsa_private_segment_fixed_size 184
		.amdhsa_kernarg_size 464
		.amdhsa_user_sgpr_count 6
		.amdhsa_user_sgpr_private_segment_buffer 1
		.amdhsa_user_sgpr_dispatch_ptr 0
		.amdhsa_user_sgpr_queue_ptr 0
		.amdhsa_user_sgpr_kernarg_segment_ptr 1
		.amdhsa_user_sgpr_dispatch_id 0
		.amdhsa_user_sgpr_flat_scratch_init 0
		.amdhsa_user_sgpr_private_segment_size 0
		.amdhsa_wavefront_size32 1
		.amdhsa_uses_dynamic_stack 0
		.amdhsa_system_sgpr_private_segment_wavefront_offset 1
		.amdhsa_system_sgpr_workgroup_id_x 1
		.amdhsa_system_sgpr_workgroup_id_y 1
		.amdhsa_system_sgpr_workgroup_id_z 1
		.amdhsa_system_sgpr_workgroup_info 0
		.amdhsa_system_vgpr_workitem_id 1
		.amdhsa_next_free_vgpr 192
		.amdhsa_next_free_sgpr 48
		.amdhsa_reserve_vcc 1
		.amdhsa_reserve_flat_scratch 0
		.amdhsa_float_round_mode_32 0
		.amdhsa_float_round_mode_16_64 0
		.amdhsa_float_denorm_mode_32 3
		.amdhsa_float_denorm_mode_16_64 3
		.amdhsa_dx10_clamp 1
		.amdhsa_ieee_mode 1
		.amdhsa_fp16_overflow 0
		.amdhsa_workgroup_processor_mode 1
		.amdhsa_memory_ordered 1
		.amdhsa_forward_progress 1
		.amdhsa_shared_vgpr_count 0
		.amdhsa_exception_fp_ieee_invalid_op 0
		.amdhsa_exception_fp_denorm_src 0
		.amdhsa_exception_fp_ieee_div_zero 0
		.amdhsa_exception_fp_ieee_overflow 0
		.amdhsa_exception_fp_ieee_underflow 0
		.amdhsa_exception_fp_ieee_inexact 0
		.amdhsa_exception_int_div_zero 0
	.end_amdhsa_kernel
	.section	.text._ZL15flash_attn_tileILi64ELi64ELi32ELi2ELb0EEvPKcS1_S1_S1_S1_PKiPfP15HIP_vector_typeIfLj2EEffffjfiS5_IjLj3EEiiiiiiiiiiiliiliiiiil,"axG",@progbits,_ZL15flash_attn_tileILi64ELi64ELi32ELi2ELb0EEvPKcS1_S1_S1_S1_PKiPfP15HIP_vector_typeIfLj2EEffffjfiS5_IjLj3EEiiiiiiiiiiiliiliiiiil,comdat
.Lfunc_end33:
	.size	_ZL15flash_attn_tileILi64ELi64ELi32ELi2ELb0EEvPKcS1_S1_S1_S1_PKiPfP15HIP_vector_typeIfLj2EEffffjfiS5_IjLj3EEiiiiiiiiiiiliiliiiiil, .Lfunc_end33-_ZL15flash_attn_tileILi64ELi64ELi32ELi2ELb0EEvPKcS1_S1_S1_S1_PKiPfP15HIP_vector_typeIfLj2EEffffjfiS5_IjLj3EEiiiiiiiiiiiliiliiiiil
                                        ; -- End function
	.set _ZL15flash_attn_tileILi64ELi64ELi32ELi2ELb0EEvPKcS1_S1_S1_S1_PKiPfP15HIP_vector_typeIfLj2EEffffjfiS5_IjLj3EEiiiiiiiiiiiliiliiiiil.num_vgpr, 192
	.set _ZL15flash_attn_tileILi64ELi64ELi32ELi2ELb0EEvPKcS1_S1_S1_S1_PKiPfP15HIP_vector_typeIfLj2EEffffjfiS5_IjLj3EEiiiiiiiiiiiliiliiiiil.num_agpr, 0
	.set _ZL15flash_attn_tileILi64ELi64ELi32ELi2ELb0EEvPKcS1_S1_S1_S1_PKiPfP15HIP_vector_typeIfLj2EEffffjfiS5_IjLj3EEiiiiiiiiiiiliiliiiiil.numbered_sgpr, 48
	.set _ZL15flash_attn_tileILi64ELi64ELi32ELi2ELb0EEvPKcS1_S1_S1_S1_PKiPfP15HIP_vector_typeIfLj2EEffffjfiS5_IjLj3EEiiiiiiiiiiiliiliiiiil.num_named_barrier, 0
	.set _ZL15flash_attn_tileILi64ELi64ELi32ELi2ELb0EEvPKcS1_S1_S1_S1_PKiPfP15HIP_vector_typeIfLj2EEffffjfiS5_IjLj3EEiiiiiiiiiiiliiliiiiil.private_seg_size, 184
	.set _ZL15flash_attn_tileILi64ELi64ELi32ELi2ELb0EEvPKcS1_S1_S1_S1_PKiPfP15HIP_vector_typeIfLj2EEffffjfiS5_IjLj3EEiiiiiiiiiiiliiliiiiil.uses_vcc, 1
	.set _ZL15flash_attn_tileILi64ELi64ELi32ELi2ELb0EEvPKcS1_S1_S1_S1_PKiPfP15HIP_vector_typeIfLj2EEffffjfiS5_IjLj3EEiiiiiiiiiiiliiliiiiil.uses_flat_scratch, 0
	.set _ZL15flash_attn_tileILi64ELi64ELi32ELi2ELb0EEvPKcS1_S1_S1_S1_PKiPfP15HIP_vector_typeIfLj2EEffffjfiS5_IjLj3EEiiiiiiiiiiiliiliiiiil.has_dyn_sized_stack, 0
	.set _ZL15flash_attn_tileILi64ELi64ELi32ELi2ELb0EEvPKcS1_S1_S1_S1_PKiPfP15HIP_vector_typeIfLj2EEffffjfiS5_IjLj3EEiiiiiiiiiiiliiliiiiil.has_recursion, 0
	.set _ZL15flash_attn_tileILi64ELi64ELi32ELi2ELb0EEvPKcS1_S1_S1_S1_PKiPfP15HIP_vector_typeIfLj2EEffffjfiS5_IjLj3EEiiiiiiiiiiiliiliiiiil.has_indirect_call, 0
	.section	.AMDGPU.csdata,"",@progbits
; Kernel info:
; codeLenInByte = 62756
; TotalNumSgprs: 50
; NumVgprs: 192
; ScratchSize: 184
; MemoryBound: 0
; FloatMode: 240
; IeeeMode: 1
; LDSByteSize: 25600 bytes/workgroup (compile time only)
; SGPRBlocks: 0
; VGPRBlocks: 23
; NumSGPRsForWavesPerEU: 50
; NumVGPRsForWavesPerEU: 192
; Occupancy: 5
; WaveLimiterHint : 0
; COMPUTE_PGM_RSRC2:SCRATCH_EN: 1
; COMPUTE_PGM_RSRC2:USER_SGPR: 6
; COMPUTE_PGM_RSRC2:TRAP_HANDLER: 0
; COMPUTE_PGM_RSRC2:TGID_X_EN: 1
; COMPUTE_PGM_RSRC2:TGID_Y_EN: 1
; COMPUTE_PGM_RSRC2:TGID_Z_EN: 1
; COMPUTE_PGM_RSRC2:TIDIG_COMP_CNT: 1
	.section	.text._ZL25flash_attn_mask_to_KV_maxILi32EEvPK7__half2Piiii,"axG",@progbits,_ZL25flash_attn_mask_to_KV_maxILi32EEvPK7__half2Piiii,comdat
	.globl	_ZL25flash_attn_mask_to_KV_maxILi32EEvPK7__half2Piiii ; -- Begin function _ZL25flash_attn_mask_to_KV_maxILi32EEvPK7__half2Piiii
	.p2align	8
	.type	_ZL25flash_attn_mask_to_KV_maxILi32EEvPK7__half2Piiii,@function
_ZL25flash_attn_mask_to_KV_maxILi32EEvPK7__half2Piiii: ; @_ZL25flash_attn_mask_to_KV_maxILi32EEvPK7__half2Piiii
; %bb.0:
	s_load_dwordx4 s[8:11], s[4:5], 0x0
	s_mov_b32 s0, exec_lo
	v_cmpx_gt_u32_e32 32, v0
; %bb.1:
	v_lshlrev_b32_e32 v1, 2, v0
	v_mov_b32_e32 v2, 1
	ds_write_b32 v1, v2
; %bb.2:
	s_or_b32 exec_lo, exec_lo, s0
	s_clause 0x1
	s_load_dwordx4 s[12:15], s[4:5], 0x10
	s_load_dword s1, s[4:5], 0x20
	v_and_b32_e32 v1, 31, v0
	v_lshrrev_b32_e32 v5, 3, v0
	v_mov_b32_e32 v2, 0
	v_mov_b32_e32 v6, 0x204
	s_waitcnt lgkmcnt(0)
	v_lshlrev_b32_e32 v7, 2, v1
	s_barrier
	buffer_gl0_inv
	s_mul_i32 s0, s6, s13
	s_mul_i32 s2, s14, s7
	s_lshl_b32 s0, s0, 5
	s_add_i32 s2, s2, s0
	v_cmp_eq_u32_e64 s0, 0, v1
	s_ashr_i32 s3, s2, 31
	s_lshl_b64 s[4:5], s[2:3], 2
	s_add_u32 s3, s8, s4
	s_addc_u32 s4, s9, s5
	s_lshl_b32 s5, s12, 8
	s_branch .LBB34_4
.LBB34_3:                               ;   in Loop: Header=BB34_4 Depth=1
	s_or_b32 exec_lo, exec_lo, s8
	s_waitcnt lgkmcnt(0)
	s_barrier
	buffer_gl0_inv
	ds_read_b32 v1, v7
	s_waitcnt lgkmcnt(0)
	s_barrier
	buffer_gl0_inv
	v_cmp_ne_u32_e32 vcc_lo, 0, v1
	s_cmp_lg_u32 vcc_lo, exec_lo
	s_cselect_b32 s8, -1, 0
	s_and_b32 vcc_lo, exec_lo, s8
	s_cbranch_vccnz .LBB34_132
.LBB34_4:                               ; =>This Inner Loop Header: Depth=1
	s_mov_b32 s2, s5
	s_addk_i32 s5, 0xff00
	s_cmp_lt_i32 s5, 0
	s_cbranch_scc1 .LBB34_131
; %bb.5:                                ;   in Loop: Header=BB34_4 Depth=1
	s_lshr_b32 s8, s5, 1
	v_add_nc_u32_e32 v1, s8, v0
	v_lshlrev_b64 v[3:4], 2, v[1:2]
	v_add_co_u32 v3, vcc_lo, s3, v3
	v_add_co_ci_u32_e64 v4, null, s4, v4, vcc_lo
	global_load_dword v3, v[3:4], off
	s_waitcnt vmcnt(0)
	v_cmp_class_f16_e64 s8, v3, 0x204
	v_cmp_class_f16_sdwa s9, v3, v6 src0_sel:WORD_1 src1_sel:DWORD
	s_and_b32 s12, s8, s9
	s_mov_b32 s9, 0
	s_and_saveexec_b32 s8, s12
	s_cbranch_execz .LBB34_129
; %bb.6:                                ;   in Loop: Header=BB34_4 Depth=1
	v_add_nc_u32_e32 v3, s13, v1
	s_mov_b32 s12, 0
	v_ashrrev_i32_e32 v4, 31, v3
	v_lshlrev_b64 v[8:9], 2, v[3:4]
	v_add_co_u32 v8, vcc_lo, s3, v8
	v_add_co_ci_u32_e64 v9, null, s4, v9, vcc_lo
	global_load_dword v1, v[8:9], off
	s_waitcnt vmcnt(0)
	v_cmp_class_f16_e64 s14, v1, 0x204
	s_and_saveexec_b32 s9, s14
	s_cbranch_execz .LBB34_128
; %bb.7:                                ;   in Loop: Header=BB34_4 Depth=1
	v_cmp_class_f16_sdwa s15, v1, v6 src0_sel:WORD_1 src1_sel:DWORD
	s_mov_b32 s14, 0
	s_and_saveexec_b32 s12, s15
	s_cbranch_execz .LBB34_127
; %bb.8:                                ;   in Loop: Header=BB34_4 Depth=1
	v_add_nc_u32_e32 v3, s13, v3
	s_mov_b32 s15, 0
	v_ashrrev_i32_e32 v4, 31, v3
	v_lshlrev_b64 v[8:9], 2, v[3:4]
	v_add_co_u32 v8, vcc_lo, s3, v8
	v_add_co_ci_u32_e64 v9, null, s4, v9, vcc_lo
	global_load_dword v1, v[8:9], off
	s_waitcnt vmcnt(0)
	v_cmp_class_f16_e64 s16, v1, 0x204
	s_and_saveexec_b32 s14, s16
	s_cbranch_execz .LBB34_126
; %bb.9:                                ;   in Loop: Header=BB34_4 Depth=1
	v_cmp_class_f16_sdwa s17, v1, v6 src0_sel:WORD_1 src1_sel:DWORD
	s_mov_b32 s16, 0
	s_and_saveexec_b32 s15, s17
	s_cbranch_execz .LBB34_125
; %bb.10:                               ;   in Loop: Header=BB34_4 Depth=1
	v_add_nc_u32_e32 v3, s13, v3
	s_mov_b32 s17, 0
	v_ashrrev_i32_e32 v4, 31, v3
	v_lshlrev_b64 v[8:9], 2, v[3:4]
	v_add_co_u32 v8, vcc_lo, s3, v8
	v_add_co_ci_u32_e64 v9, null, s4, v9, vcc_lo
	global_load_dword v1, v[8:9], off
	s_waitcnt vmcnt(0)
	v_cmp_class_f16_e64 s18, v1, 0x204
	s_and_saveexec_b32 s16, s18
	s_cbranch_execz .LBB34_124
; %bb.11:                               ;   in Loop: Header=BB34_4 Depth=1
	v_cmp_class_f16_sdwa s19, v1, v6 src0_sel:WORD_1 src1_sel:DWORD
	s_mov_b32 s18, 0
	s_and_saveexec_b32 s17, s19
	s_cbranch_execz .LBB34_123
; %bb.12:                               ;   in Loop: Header=BB34_4 Depth=1
	v_add_nc_u32_e32 v3, s13, v3
	s_mov_b32 s19, 0
	v_ashrrev_i32_e32 v4, 31, v3
	v_lshlrev_b64 v[8:9], 2, v[3:4]
	v_add_co_u32 v8, vcc_lo, s3, v8
	v_add_co_ci_u32_e64 v9, null, s4, v9, vcc_lo
	global_load_dword v1, v[8:9], off
	s_waitcnt vmcnt(0)
	v_cmp_class_f16_e64 s20, v1, 0x204
	s_and_saveexec_b32 s18, s20
	s_cbranch_execz .LBB34_122
; %bb.13:                               ;   in Loop: Header=BB34_4 Depth=1
	;; [unrolled: 17-line block ×28, first 2 shown]
	v_cmp_class_f16_sdwa s74, v1, v6 src0_sel:WORD_1 src1_sel:DWORD
	s_mov_b32 s73, 0
	s_and_saveexec_b32 s72, s74
	s_cbranch_execz .LBB34_69
; %bb.66:                               ;   in Loop: Header=BB34_4 Depth=1
	v_add_nc_u32_e32 v3, s13, v3
	v_ashrrev_i32_e32 v4, 31, v3
	v_lshlrev_b64 v[3:4], 2, v[3:4]
	v_add_co_u32 v3, vcc_lo, s3, v3
	v_add_co_ci_u32_e64 v4, null, s4, v4, vcc_lo
	global_load_dword v1, v[3:4], off
	s_waitcnt vmcnt(0)
	v_cmp_class_f16_e64 s75, v1, 0x204
	s_and_saveexec_b32 s74, s75
; %bb.67:                               ;   in Loop: Header=BB34_4 Depth=1
	v_cmp_class_f16_sdwa s73, v1, v6 src0_sel:WORD_1 src1_sel:DWORD
	s_and_b32 s73, s73, exec_lo
; %bb.68:                               ;   in Loop: Header=BB34_4 Depth=1
	s_or_b32 exec_lo, exec_lo, s74
	s_and_b32 s73, s73, exec_lo
.LBB34_69:                              ;   in Loop: Header=BB34_4 Depth=1
	s_or_b32 exec_lo, exec_lo, s72
	s_and_b32 s72, s73, exec_lo
.LBB34_70:                              ;   in Loop: Header=BB34_4 Depth=1
	s_or_b32 exec_lo, exec_lo, s71
	s_and_b32 s71, s72, exec_lo
.LBB34_71:                              ;   in Loop: Header=BB34_4 Depth=1
	s_or_b32 exec_lo, exec_lo, s70
	s_and_b32 s70, s71, exec_lo
.LBB34_72:                              ;   in Loop: Header=BB34_4 Depth=1
	s_or_b32 exec_lo, exec_lo, s69
	s_and_b32 s69, s70, exec_lo
.LBB34_73:                              ;   in Loop: Header=BB34_4 Depth=1
	s_or_b32 exec_lo, exec_lo, s68
	s_and_b32 s68, s69, exec_lo
.LBB34_74:                              ;   in Loop: Header=BB34_4 Depth=1
	s_or_b32 exec_lo, exec_lo, s67
	s_and_b32 s67, s68, exec_lo
.LBB34_75:                              ;   in Loop: Header=BB34_4 Depth=1
	s_or_b32 exec_lo, exec_lo, s66
	s_and_b32 s66, s67, exec_lo
.LBB34_76:                              ;   in Loop: Header=BB34_4 Depth=1
	s_or_b32 exec_lo, exec_lo, s65
	s_and_b32 s65, s66, exec_lo
.LBB34_77:                              ;   in Loop: Header=BB34_4 Depth=1
	s_or_b32 exec_lo, exec_lo, s64
	s_and_b32 s64, s65, exec_lo
.LBB34_78:                              ;   in Loop: Header=BB34_4 Depth=1
	s_or_b32 exec_lo, exec_lo, s63
	s_and_b32 s63, s64, exec_lo
.LBB34_79:                              ;   in Loop: Header=BB34_4 Depth=1
	s_or_b32 exec_lo, exec_lo, s62
	s_and_b32 s62, s63, exec_lo
.LBB34_80:                              ;   in Loop: Header=BB34_4 Depth=1
	s_or_b32 exec_lo, exec_lo, s61
	s_and_b32 s61, s62, exec_lo
.LBB34_81:                              ;   in Loop: Header=BB34_4 Depth=1
	s_or_b32 exec_lo, exec_lo, s60
	s_and_b32 s60, s61, exec_lo
.LBB34_82:                              ;   in Loop: Header=BB34_4 Depth=1
	s_or_b32 exec_lo, exec_lo, s59
	s_and_b32 s59, s60, exec_lo
.LBB34_83:                              ;   in Loop: Header=BB34_4 Depth=1
	s_or_b32 exec_lo, exec_lo, s58
	s_and_b32 s58, s59, exec_lo
.LBB34_84:                              ;   in Loop: Header=BB34_4 Depth=1
	s_or_b32 exec_lo, exec_lo, s57
	s_and_b32 s57, s58, exec_lo
.LBB34_85:                              ;   in Loop: Header=BB34_4 Depth=1
	s_or_b32 exec_lo, exec_lo, s56
	s_and_b32 s56, s57, exec_lo
.LBB34_86:                              ;   in Loop: Header=BB34_4 Depth=1
	s_or_b32 exec_lo, exec_lo, s55
	s_and_b32 s55, s56, exec_lo
.LBB34_87:                              ;   in Loop: Header=BB34_4 Depth=1
	s_or_b32 exec_lo, exec_lo, s54
	s_and_b32 s54, s55, exec_lo
.LBB34_88:                              ;   in Loop: Header=BB34_4 Depth=1
	s_or_b32 exec_lo, exec_lo, s53
	s_and_b32 s53, s54, exec_lo
.LBB34_89:                              ;   in Loop: Header=BB34_4 Depth=1
	s_or_b32 exec_lo, exec_lo, s52
	s_and_b32 s52, s53, exec_lo
.LBB34_90:                              ;   in Loop: Header=BB34_4 Depth=1
	s_or_b32 exec_lo, exec_lo, s51
	s_and_b32 s51, s52, exec_lo
.LBB34_91:                              ;   in Loop: Header=BB34_4 Depth=1
	s_or_b32 exec_lo, exec_lo, s50
	s_and_b32 s50, s51, exec_lo
.LBB34_92:                              ;   in Loop: Header=BB34_4 Depth=1
	s_or_b32 exec_lo, exec_lo, s49
	s_and_b32 s49, s50, exec_lo
.LBB34_93:                              ;   in Loop: Header=BB34_4 Depth=1
	s_or_b32 exec_lo, exec_lo, s48
	s_and_b32 s48, s49, exec_lo
.LBB34_94:                              ;   in Loop: Header=BB34_4 Depth=1
	s_or_b32 exec_lo, exec_lo, s47
	s_and_b32 s47, s48, exec_lo
.LBB34_95:                              ;   in Loop: Header=BB34_4 Depth=1
	s_or_b32 exec_lo, exec_lo, s46
	s_and_b32 s46, s47, exec_lo
.LBB34_96:                              ;   in Loop: Header=BB34_4 Depth=1
	s_or_b32 exec_lo, exec_lo, s45
	s_and_b32 s45, s46, exec_lo
.LBB34_97:                              ;   in Loop: Header=BB34_4 Depth=1
	s_or_b32 exec_lo, exec_lo, s44
	s_and_b32 s44, s45, exec_lo
.LBB34_98:                              ;   in Loop: Header=BB34_4 Depth=1
	s_or_b32 exec_lo, exec_lo, s43
	s_and_b32 s43, s44, exec_lo
.LBB34_99:                              ;   in Loop: Header=BB34_4 Depth=1
	s_or_b32 exec_lo, exec_lo, s42
	s_and_b32 s42, s43, exec_lo
.LBB34_100:                             ;   in Loop: Header=BB34_4 Depth=1
	s_or_b32 exec_lo, exec_lo, s41
	s_and_b32 s41, s42, exec_lo
.LBB34_101:                             ;   in Loop: Header=BB34_4 Depth=1
	s_or_b32 exec_lo, exec_lo, s40
	s_and_b32 s40, s41, exec_lo
.LBB34_102:                             ;   in Loop: Header=BB34_4 Depth=1
	s_or_b32 exec_lo, exec_lo, s39
	s_and_b32 s39, s40, exec_lo
.LBB34_103:                             ;   in Loop: Header=BB34_4 Depth=1
	s_or_b32 exec_lo, exec_lo, s38
	s_and_b32 s38, s39, exec_lo
.LBB34_104:                             ;   in Loop: Header=BB34_4 Depth=1
	s_or_b32 exec_lo, exec_lo, s37
	s_and_b32 s37, s38, exec_lo
.LBB34_105:                             ;   in Loop: Header=BB34_4 Depth=1
	s_or_b32 exec_lo, exec_lo, s36
	s_and_b32 s36, s37, exec_lo
.LBB34_106:                             ;   in Loop: Header=BB34_4 Depth=1
	s_or_b32 exec_lo, exec_lo, s35
	s_and_b32 s35, s36, exec_lo
.LBB34_107:                             ;   in Loop: Header=BB34_4 Depth=1
	s_or_b32 exec_lo, exec_lo, s34
	s_and_b32 s34, s35, exec_lo
.LBB34_108:                             ;   in Loop: Header=BB34_4 Depth=1
	s_or_b32 exec_lo, exec_lo, s33
	s_and_b32 s33, s34, exec_lo
.LBB34_109:                             ;   in Loop: Header=BB34_4 Depth=1
	s_or_b32 exec_lo, exec_lo, s31
	s_and_b32 s31, s33, exec_lo
.LBB34_110:                             ;   in Loop: Header=BB34_4 Depth=1
	s_or_b32 exec_lo, exec_lo, s30
	s_and_b32 s30, s31, exec_lo
.LBB34_111:                             ;   in Loop: Header=BB34_4 Depth=1
	s_or_b32 exec_lo, exec_lo, s29
	s_and_b32 s29, s30, exec_lo
.LBB34_112:                             ;   in Loop: Header=BB34_4 Depth=1
	s_or_b32 exec_lo, exec_lo, s28
	s_and_b32 s28, s29, exec_lo
.LBB34_113:                             ;   in Loop: Header=BB34_4 Depth=1
	s_or_b32 exec_lo, exec_lo, s27
	s_and_b32 s27, s28, exec_lo
.LBB34_114:                             ;   in Loop: Header=BB34_4 Depth=1
	s_or_b32 exec_lo, exec_lo, s26
	s_and_b32 s26, s27, exec_lo
.LBB34_115:                             ;   in Loop: Header=BB34_4 Depth=1
	s_or_b32 exec_lo, exec_lo, s25
	s_and_b32 s25, s26, exec_lo
.LBB34_116:                             ;   in Loop: Header=BB34_4 Depth=1
	s_or_b32 exec_lo, exec_lo, s24
	s_and_b32 s24, s25, exec_lo
.LBB34_117:                             ;   in Loop: Header=BB34_4 Depth=1
	s_or_b32 exec_lo, exec_lo, s23
	s_and_b32 s23, s24, exec_lo
.LBB34_118:                             ;   in Loop: Header=BB34_4 Depth=1
	s_or_b32 exec_lo, exec_lo, s22
	s_and_b32 s22, s23, exec_lo
.LBB34_119:                             ;   in Loop: Header=BB34_4 Depth=1
	s_or_b32 exec_lo, exec_lo, s21
	s_and_b32 s21, s22, exec_lo
.LBB34_120:                             ;   in Loop: Header=BB34_4 Depth=1
	s_or_b32 exec_lo, exec_lo, s20
	s_and_b32 s20, s21, exec_lo
.LBB34_121:                             ;   in Loop: Header=BB34_4 Depth=1
	s_or_b32 exec_lo, exec_lo, s19
	s_and_b32 s19, s20, exec_lo
.LBB34_122:                             ;   in Loop: Header=BB34_4 Depth=1
	s_or_b32 exec_lo, exec_lo, s18
	s_and_b32 s18, s19, exec_lo
.LBB34_123:                             ;   in Loop: Header=BB34_4 Depth=1
	s_or_b32 exec_lo, exec_lo, s17
	s_and_b32 s17, s18, exec_lo
.LBB34_124:                             ;   in Loop: Header=BB34_4 Depth=1
	s_or_b32 exec_lo, exec_lo, s16
	s_and_b32 s16, s17, exec_lo
.LBB34_125:                             ;   in Loop: Header=BB34_4 Depth=1
	s_or_b32 exec_lo, exec_lo, s15
	s_and_b32 s15, s16, exec_lo
.LBB34_126:                             ;   in Loop: Header=BB34_4 Depth=1
	s_or_b32 exec_lo, exec_lo, s14
	s_and_b32 s14, s15, exec_lo
.LBB34_127:                             ;   in Loop: Header=BB34_4 Depth=1
	s_or_b32 exec_lo, exec_lo, s12
	s_and_b32 s12, s14, exec_lo
.LBB34_128:                             ;   in Loop: Header=BB34_4 Depth=1
	s_or_b32 exec_lo, exec_lo, s9
	s_and_b32 s9, s12, exec_lo
.LBB34_129:                             ;   in Loop: Header=BB34_4 Depth=1
	s_or_b32 exec_lo, exec_lo, s8
	v_cndmask_b32_e64 v1, 0, 1, s9
	s_mov_b32 s12, exec_lo
	v_cmp_ne_u32_e32 vcc_lo, 0, v1
	s_and_saveexec_b32 s8, s0
	s_cbranch_execz .LBB34_3
; %bb.130:                              ;   in Loop: Header=BB34_4 Depth=1
	s_cmp_eq_u32 vcc_lo, s12
	s_cselect_b32 s9, -1, 0
	v_cndmask_b32_e64 v1, 0, 1, s9
	ds_write_b32 v5, v1
	s_branch .LBB34_3
.LBB34_131:                             ;   in Loop: Header=BB34_4 Depth=1
	s_cbranch_execz .LBB34_4
.LBB34_132:
	s_mov_b32 s0, exec_lo
	v_cmpx_eq_u32_e32 0, v0
	s_cbranch_execz .LBB34_134
; %bb.133:
	s_mul_i32 s0, s1, s7
	v_mov_b32_e32 v0, 0
	s_add_i32 s0, s0, s6
	v_mov_b32_e32 v1, s2
	s_ashr_i32 s1, s0, 31
	s_lshl_b64 s[0:1], s[0:1], 2
	s_add_u32 s0, s10, s0
	s_addc_u32 s1, s11, s1
	global_store_dword v0, v1, s[0:1]
.LBB34_134:
	s_endpgm
	.section	.rodata,"a",@progbits
	.p2align	6, 0x0
	.amdhsa_kernel _ZL25flash_attn_mask_to_KV_maxILi32EEvPK7__half2Piiii
		.amdhsa_group_segment_fixed_size 128
		.amdhsa_private_segment_fixed_size 0
		.amdhsa_kernarg_size 288
		.amdhsa_user_sgpr_count 6
		.amdhsa_user_sgpr_private_segment_buffer 1
		.amdhsa_user_sgpr_dispatch_ptr 0
		.amdhsa_user_sgpr_queue_ptr 0
		.amdhsa_user_sgpr_kernarg_segment_ptr 1
		.amdhsa_user_sgpr_dispatch_id 0
		.amdhsa_user_sgpr_flat_scratch_init 0
		.amdhsa_user_sgpr_private_segment_size 0
		.amdhsa_wavefront_size32 1
		.amdhsa_uses_dynamic_stack 0
		.amdhsa_system_sgpr_private_segment_wavefront_offset 0
		.amdhsa_system_sgpr_workgroup_id_x 1
		.amdhsa_system_sgpr_workgroup_id_y 1
		.amdhsa_system_sgpr_workgroup_id_z 0
		.amdhsa_system_sgpr_workgroup_info 0
		.amdhsa_system_vgpr_workitem_id 0
		.amdhsa_next_free_vgpr 10
		.amdhsa_next_free_sgpr 76
		.amdhsa_reserve_vcc 1
		.amdhsa_reserve_flat_scratch 0
		.amdhsa_float_round_mode_32 0
		.amdhsa_float_round_mode_16_64 0
		.amdhsa_float_denorm_mode_32 3
		.amdhsa_float_denorm_mode_16_64 3
		.amdhsa_dx10_clamp 1
		.amdhsa_ieee_mode 1
		.amdhsa_fp16_overflow 0
		.amdhsa_workgroup_processor_mode 1
		.amdhsa_memory_ordered 1
		.amdhsa_forward_progress 1
		.amdhsa_shared_vgpr_count 0
		.amdhsa_exception_fp_ieee_invalid_op 0
		.amdhsa_exception_fp_denorm_src 0
		.amdhsa_exception_fp_ieee_div_zero 0
		.amdhsa_exception_fp_ieee_overflow 0
		.amdhsa_exception_fp_ieee_underflow 0
		.amdhsa_exception_fp_ieee_inexact 0
		.amdhsa_exception_int_div_zero 0
	.end_amdhsa_kernel
	.section	.text._ZL25flash_attn_mask_to_KV_maxILi32EEvPK7__half2Piiii,"axG",@progbits,_ZL25flash_attn_mask_to_KV_maxILi32EEvPK7__half2Piiii,comdat
.Lfunc_end34:
	.size	_ZL25flash_attn_mask_to_KV_maxILi32EEvPK7__half2Piiii, .Lfunc_end34-_ZL25flash_attn_mask_to_KV_maxILi32EEvPK7__half2Piiii
                                        ; -- End function
	.set _ZL25flash_attn_mask_to_KV_maxILi32EEvPK7__half2Piiii.num_vgpr, 10
	.set _ZL25flash_attn_mask_to_KV_maxILi32EEvPK7__half2Piiii.num_agpr, 0
	.set _ZL25flash_attn_mask_to_KV_maxILi32EEvPK7__half2Piiii.numbered_sgpr, 76
	.set _ZL25flash_attn_mask_to_KV_maxILi32EEvPK7__half2Piiii.num_named_barrier, 0
	.set _ZL25flash_attn_mask_to_KV_maxILi32EEvPK7__half2Piiii.private_seg_size, 0
	.set _ZL25flash_attn_mask_to_KV_maxILi32EEvPK7__half2Piiii.uses_vcc, 1
	.set _ZL25flash_attn_mask_to_KV_maxILi32EEvPK7__half2Piiii.uses_flat_scratch, 0
	.set _ZL25flash_attn_mask_to_KV_maxILi32EEvPK7__half2Piiii.has_dyn_sized_stack, 0
	.set _ZL25flash_attn_mask_to_KV_maxILi32EEvPK7__half2Piiii.has_recursion, 0
	.set _ZL25flash_attn_mask_to_KV_maxILi32EEvPK7__half2Piiii.has_indirect_call, 0
	.section	.AMDGPU.csdata,"",@progbits
; Kernel info:
; codeLenInByte = 3620
; TotalNumSgprs: 78
; NumVgprs: 10
; ScratchSize: 0
; MemoryBound: 0
; FloatMode: 240
; IeeeMode: 1
; LDSByteSize: 128 bytes/workgroup (compile time only)
; SGPRBlocks: 0
; VGPRBlocks: 1
; NumSGPRsForWavesPerEU: 78
; NumVGPRsForWavesPerEU: 10
; Occupancy: 16
; WaveLimiterHint : 0
; COMPUTE_PGM_RSRC2:SCRATCH_EN: 0
; COMPUTE_PGM_RSRC2:USER_SGPR: 6
; COMPUTE_PGM_RSRC2:TRAP_HANDLER: 0
; COMPUTE_PGM_RSRC2:TGID_X_EN: 1
; COMPUTE_PGM_RSRC2:TGID_Y_EN: 1
; COMPUTE_PGM_RSRC2:TGID_Z_EN: 0
; COMPUTE_PGM_RSRC2:TIDIG_COMP_CNT: 0
	.section	.text._ZL33flash_attn_stream_k_fixup_uniformILi64ELi32ELi2EEvPfPK15HIP_vector_typeIfLj2EEiiiiiiS1_IjLj3EES5_S5_,"axG",@progbits,_ZL33flash_attn_stream_k_fixup_uniformILi64ELi32ELi2EEvPfPK15HIP_vector_typeIfLj2EEiiiiiiS1_IjLj3EES5_S5_,comdat
	.globl	_ZL33flash_attn_stream_k_fixup_uniformILi64ELi32ELi2EEvPfPK15HIP_vector_typeIfLj2EEiiiiiiS1_IjLj3EES5_S5_ ; -- Begin function _ZL33flash_attn_stream_k_fixup_uniformILi64ELi32ELi2EEvPfPK15HIP_vector_typeIfLj2EEiiiiiiS1_IjLj3EES5_S5_
	.p2align	8
	.type	_ZL33flash_attn_stream_k_fixup_uniformILi64ELi32ELi2EEvPfPK15HIP_vector_typeIfLj2EEiiiiiiS1_IjLj3EES5_S5_,@function
_ZL33flash_attn_stream_k_fixup_uniformILi64ELi32ELi2EEvPfPK15HIP_vector_typeIfLj2EEiiiiiiS1_IjLj3EES5_S5_: ; @_ZL33flash_attn_stream_k_fixup_uniformILi64ELi32ELi2EEvPfPK15HIP_vector_typeIfLj2EEiiiiiiS1_IjLj3EES5_S5_
; %bb.0:
	s_clause 0x2
	s_load_dwordx8 s[12:19], s[4:5], 0x1c
	s_load_dwordx4 s[20:23], s[4:5], 0x3c
	s_load_dwordx2 s[10:11], s[4:5], 0x10
	s_waitcnt lgkmcnt(0)
	s_mul_hi_u32 s0, s15, s6
	s_add_i32 s0, s6, s0
	s_lshr_b32 s0, s0, s16
	s_mul_i32 s1, s0, s17
	s_sub_i32 s2, s6, s1
	s_mul_hi_u32 s1, s2, s18
	s_add_i32 s1, s2, s1
	s_lshr_b32 s1, s1, s19
	s_mul_i32 s3, s1, s20
	s_sub_i32 s2, s2, s3
	s_mul_hi_u32 s3, s2, s21
	s_add_i32 s3, s2, s3
	s_lshr_b32 s3, s3, s22
	s_mul_i32 s9, s3, s23
	s_lshl_b32 s15, s3, 1
	s_sub_i32 s9, s2, s9
	s_lshl_b32 s2, s9, 5
	s_add_i32 s2, s2, s7
	s_cmp_lt_i32 s2, s10
	s_cselect_b32 s2, -1, 0
	s_add_i32 s3, s15, s8
	s_cmp_lt_i32 s3, s13
	s_cselect_b32 s3, -1, 0
	s_and_b32 s2, s2, s3
	s_andn2_b32 vcc_lo, exec_lo, s2
	s_cbranch_vccnz .LBB35_6
; %bb.1:
	s_mul_i32 s0, s0, s10
	s_mul_i32 s10, s1, s13
	s_add_i32 s0, s0, s7
	s_mul_i32 s0, s0, s11
	s_add_i32 s13, s0, s8
	s_load_dwordx4 s[0:3], s[4:5], 0x0
	s_add_i32 s4, s13, s10
	s_mul_i32 s5, s11, s9
	s_add_i32 s4, s4, s15
	s_lshl_b32 s5, s5, 11
	s_lshl_b32 s4, s4, 6
	;; [unrolled: 1-line block ×3, first 2 shown]
	s_add_i32 s5, s5, s4
	s_mul_i32 s4, s14, s6
	v_or_b32_e32 v1, s5, v0
	s_add_i32 s11, s4, s14
	v_ashrrev_i32_e32 v2, 31, v1
	v_lshlrev_b64 v[1:2], 2, v[1:2]
	s_waitcnt lgkmcnt(0)
	v_add_co_u32 v1, vcc_lo, s0, v1
	v_add_co_ci_u32_e64 v2, null, s1, v2, vcc_lo
	s_add_i32 s0, s10, s8
	s_lshl_b32 s1, s11, 6
	s_add_i32 s0, s0, s1
	global_load_dword v5, v[1:2], off
	s_sub_i32 s0, s0, 64
	s_ashr_i32 s1, s0, 31
	s_lshl_b64 s[0:1], s[0:1], 3
	s_add_u32 s0, s2, s0
	s_addc_u32 s1, s3, s1
	s_add_i32 s5, s11, -2
	s_load_dword s13, s[0:1], 0x4
	s_cmp_lt_i32 s5, s4
	s_cbranch_scc1 .LBB35_4
; %bb.2:
	s_lshl_b32 s16, s12, 8
	s_load_dword s15, s[0:1], 0x0
	s_ashr_i32 s17, s16, 31
	s_waitcnt lgkmcnt(0)
	v_mov_b32_e32 v6, s13
	s_lshl_b64 s[0:1], s[16:17], 2
	s_add_u32 s5, s2, s0
	s_addc_u32 s9, s3, s1
	s_add_i32 s6, s6, 1
	s_lshl_b32 s0, s7, 7
	s_lshl_b32 s1, s8, 6
	s_mul_i32 s6, s14, s6
	s_add_i32 s0, s1, s0
	s_lshl_b32 s1, s6, 12
	s_add_i32 s0, s0, s1
	s_lshl_b32 s1, s6, 6
	v_or_b32_e32 v0, s0, v0
	s_lshl_b32 s0, s12, 6
	s_add_i32 s1, s8, s1
	s_add_i32 s6, s11, -1
	s_add_i32 s0, s1, s0
	v_add_nc_u32_e32 v3, 0xffffe000, v0
	v_mov_b32_e32 v0, s15
	s_add_i32 s0, s0, s10
	s_addk_i32 s0, 0xff80
.LBB35_3:                               ; =>This Inner Loop Header: Depth=1
	v_ashrrev_i32_e32 v4, 31, v3
	s_ashr_i32 s1, s0, 31
	s_lshl_b64 s[10:11], s[0:1], 3
	s_add_u32 s10, s2, s10
	v_lshlrev_b64 v[7:8], 2, v[3:4]
	s_addc_u32 s11, s3, s11
	v_add_nc_u32_e32 v3, 0xfffff000, v3
	s_add_i32 s6, s6, -1
	s_sub_i32 s0, s0, 64
	s_cmp_le_i32 s6, s4
	v_add_co_u32 v7, vcc_lo, s5, v7
	v_add_co_ci_u32_e64 v8, null, s9, v8, vcc_lo
	s_load_dwordx2 s[10:11], s[10:11], 0x0
	global_load_dword v4, v[7:8], off
	v_max_f32_e32 v7, v0, v0
	s_waitcnt lgkmcnt(0)
	v_max_f32_e64 v8, s10, s10
	v_max_f32_e32 v7, v7, v8
	v_sub_f32_e32 v8, s10, v7
	v_sub_f32_e32 v0, v0, v7
	v_mul_f32_e32 v9, 0x3fb8aa3b, v8
	v_mul_f32_e32 v12, 0x3fb8aa3b, v0
	v_cmp_ngt_f32_e32 vcc_lo, 0xc2ce8ed0, v8
	v_fma_f32 v10, 0x3fb8aa3b, v8, -v9
	v_rndne_f32_e32 v11, v9
	v_fma_f32 v13, 0x3fb8aa3b, v0, -v12
	v_rndne_f32_e32 v14, v12
	v_fmac_f32_e32 v10, 0x32a5705f, v8
	v_sub_f32_e32 v9, v9, v11
	v_fmac_f32_e32 v13, 0x32a5705f, v0
	v_cvt_i32_f32_e32 v11, v11
	v_add_f32_e32 v9, v9, v10
	v_sub_f32_e32 v10, v12, v14
	v_exp_f32_e32 v9, v9
	v_add_f32_e32 v10, v10, v13
	v_exp_f32_e32 v10, v10
	v_ldexp_f32 v9, v9, v11
	v_cvt_i32_f32_e32 v11, v14
	v_cndmask_b32_e32 v9, 0, v9, vcc_lo
	v_cmp_nlt_f32_e32 vcc_lo, 0x42b17218, v8
	v_ldexp_f32 v10, v10, v11
	v_mov_b32_e32 v11, v6
	v_cndmask_b32_e32 v9, 0x7f800000, v9, vcc_lo
	v_cmp_ngt_f32_e32 vcc_lo, 0xc2ce8ed0, v0
	v_cndmask_b32_e32 v10, 0, v10, vcc_lo
	v_cmp_le_f32_e32 vcc_lo, 0xc1a00000, v8
	v_cndmask_b32_e32 v8, 0, v9, vcc_lo
	v_cmp_nlt_f32_e32 vcc_lo, 0x42b17218, v0
	s_waitcnt vmcnt(1)
	v_mov_b32_e32 v9, v5
	v_cndmask_b32_e32 v5, 0x7f800000, v10, vcc_lo
	v_mul_f32_e32 v10, s11, v8
	v_cmp_le_f32_e32 vcc_lo, 0xc1a00000, v0
	v_mov_b32_e32 v0, v7
	v_mov_b32_e32 v6, v10
	v_cndmask_b32_e32 v12, 0, v5, vcc_lo
	v_fmac_f32_e32 v6, v11, v12
	s_waitcnt vmcnt(0)
	v_mul_f32_e32 v5, v4, v8
	v_fmac_f32_e32 v5, v9, v12
	s_cbranch_scc0 .LBB35_3
	s_branch .LBB35_5
.LBB35_4:
	s_waitcnt lgkmcnt(0)
	v_mov_b32_e32 v6, s13
.LBB35_5:
	s_waitcnt vmcnt(0)
	v_div_scale_f32 v0, null, v6, v6, v5
	v_rcp_f32_e32 v3, v0
	v_fma_f32 v4, -v0, v3, 1.0
	v_fmac_f32_e32 v3, v4, v3
	v_div_scale_f32 v4, vcc_lo, v5, v6, v5
	v_mul_f32_e32 v7, v4, v3
	v_fma_f32 v8, -v0, v7, v4
	v_fmac_f32_e32 v7, v8, v3
	v_fma_f32 v0, -v0, v7, v4
	v_div_fmas_f32 v0, v0, v3, v7
	v_div_fixup_f32 v0, v0, v6, v5
	global_store_dword v[1:2], v0, off
.LBB35_6:
	s_endpgm
	.section	.rodata,"a",@progbits
	.p2align	6, 0x0
	.amdhsa_kernel _ZL33flash_attn_stream_k_fixup_uniformILi64ELi32ELi2EEvPfPK15HIP_vector_typeIfLj2EEiiiiiiS1_IjLj3EES5_S5_
		.amdhsa_group_segment_fixed_size 0
		.amdhsa_private_segment_fixed_size 0
		.amdhsa_kernarg_size 76
		.amdhsa_user_sgpr_count 6
		.amdhsa_user_sgpr_private_segment_buffer 1
		.amdhsa_user_sgpr_dispatch_ptr 0
		.amdhsa_user_sgpr_queue_ptr 0
		.amdhsa_user_sgpr_kernarg_segment_ptr 1
		.amdhsa_user_sgpr_dispatch_id 0
		.amdhsa_user_sgpr_flat_scratch_init 0
		.amdhsa_user_sgpr_private_segment_size 0
		.amdhsa_wavefront_size32 1
		.amdhsa_uses_dynamic_stack 0
		.amdhsa_system_sgpr_private_segment_wavefront_offset 0
		.amdhsa_system_sgpr_workgroup_id_x 1
		.amdhsa_system_sgpr_workgroup_id_y 1
		.amdhsa_system_sgpr_workgroup_id_z 1
		.amdhsa_system_sgpr_workgroup_info 0
		.amdhsa_system_vgpr_workitem_id 0
		.amdhsa_next_free_vgpr 15
		.amdhsa_next_free_sgpr 24
		.amdhsa_reserve_vcc 1
		.amdhsa_reserve_flat_scratch 0
		.amdhsa_float_round_mode_32 0
		.amdhsa_float_round_mode_16_64 0
		.amdhsa_float_denorm_mode_32 3
		.amdhsa_float_denorm_mode_16_64 3
		.amdhsa_dx10_clamp 1
		.amdhsa_ieee_mode 1
		.amdhsa_fp16_overflow 0
		.amdhsa_workgroup_processor_mode 1
		.amdhsa_memory_ordered 1
		.amdhsa_forward_progress 1
		.amdhsa_shared_vgpr_count 0
		.amdhsa_exception_fp_ieee_invalid_op 0
		.amdhsa_exception_fp_denorm_src 0
		.amdhsa_exception_fp_ieee_div_zero 0
		.amdhsa_exception_fp_ieee_overflow 0
		.amdhsa_exception_fp_ieee_underflow 0
		.amdhsa_exception_fp_ieee_inexact 0
		.amdhsa_exception_int_div_zero 0
	.end_amdhsa_kernel
	.section	.text._ZL33flash_attn_stream_k_fixup_uniformILi64ELi32ELi2EEvPfPK15HIP_vector_typeIfLj2EEiiiiiiS1_IjLj3EES5_S5_,"axG",@progbits,_ZL33flash_attn_stream_k_fixup_uniformILi64ELi32ELi2EEvPfPK15HIP_vector_typeIfLj2EEiiiiiiS1_IjLj3EES5_S5_,comdat
.Lfunc_end35:
	.size	_ZL33flash_attn_stream_k_fixup_uniformILi64ELi32ELi2EEvPfPK15HIP_vector_typeIfLj2EEiiiiiiS1_IjLj3EES5_S5_, .Lfunc_end35-_ZL33flash_attn_stream_k_fixup_uniformILi64ELi32ELi2EEvPfPK15HIP_vector_typeIfLj2EEiiiiiiS1_IjLj3EES5_S5_
                                        ; -- End function
	.set _ZL33flash_attn_stream_k_fixup_uniformILi64ELi32ELi2EEvPfPK15HIP_vector_typeIfLj2EEiiiiiiS1_IjLj3EES5_S5_.num_vgpr, 15
	.set _ZL33flash_attn_stream_k_fixup_uniformILi64ELi32ELi2EEvPfPK15HIP_vector_typeIfLj2EEiiiiiiS1_IjLj3EES5_S5_.num_agpr, 0
	.set _ZL33flash_attn_stream_k_fixup_uniformILi64ELi32ELi2EEvPfPK15HIP_vector_typeIfLj2EEiiiiiiS1_IjLj3EES5_S5_.numbered_sgpr, 24
	.set _ZL33flash_attn_stream_k_fixup_uniformILi64ELi32ELi2EEvPfPK15HIP_vector_typeIfLj2EEiiiiiiS1_IjLj3EES5_S5_.num_named_barrier, 0
	.set _ZL33flash_attn_stream_k_fixup_uniformILi64ELi32ELi2EEvPfPK15HIP_vector_typeIfLj2EEiiiiiiS1_IjLj3EES5_S5_.private_seg_size, 0
	.set _ZL33flash_attn_stream_k_fixup_uniformILi64ELi32ELi2EEvPfPK15HIP_vector_typeIfLj2EEiiiiiiS1_IjLj3EES5_S5_.uses_vcc, 1
	.set _ZL33flash_attn_stream_k_fixup_uniformILi64ELi32ELi2EEvPfPK15HIP_vector_typeIfLj2EEiiiiiiS1_IjLj3EES5_S5_.uses_flat_scratch, 0
	.set _ZL33flash_attn_stream_k_fixup_uniformILi64ELi32ELi2EEvPfPK15HIP_vector_typeIfLj2EEiiiiiiS1_IjLj3EES5_S5_.has_dyn_sized_stack, 0
	.set _ZL33flash_attn_stream_k_fixup_uniformILi64ELi32ELi2EEvPfPK15HIP_vector_typeIfLj2EEiiiiiiS1_IjLj3EES5_S5_.has_recursion, 0
	.set _ZL33flash_attn_stream_k_fixup_uniformILi64ELi32ELi2EEvPfPK15HIP_vector_typeIfLj2EEiiiiiiS1_IjLj3EES5_S5_.has_indirect_call, 0
	.section	.AMDGPU.csdata,"",@progbits
; Kernel info:
; codeLenInByte = 848
; TotalNumSgprs: 26
; NumVgprs: 15
; ScratchSize: 0
; MemoryBound: 0
; FloatMode: 240
; IeeeMode: 1
; LDSByteSize: 0 bytes/workgroup (compile time only)
; SGPRBlocks: 0
; VGPRBlocks: 1
; NumSGPRsForWavesPerEU: 26
; NumVGPRsForWavesPerEU: 15
; Occupancy: 16
; WaveLimiterHint : 0
; COMPUTE_PGM_RSRC2:SCRATCH_EN: 0
; COMPUTE_PGM_RSRC2:USER_SGPR: 6
; COMPUTE_PGM_RSRC2:TRAP_HANDLER: 0
; COMPUTE_PGM_RSRC2:TGID_X_EN: 1
; COMPUTE_PGM_RSRC2:TGID_Y_EN: 1
; COMPUTE_PGM_RSRC2:TGID_Z_EN: 1
; COMPUTE_PGM_RSRC2:TIDIG_COMP_CNT: 0
	.section	.text._ZL33flash_attn_stream_k_fixup_generalILi64ELi32ELi2EEvPfPK15HIP_vector_typeIfLj2EEiiiiS1_IjLj3EES5_S5_S5_,"axG",@progbits,_ZL33flash_attn_stream_k_fixup_generalILi64ELi32ELi2EEvPfPK15HIP_vector_typeIfLj2EEiiiiS1_IjLj3EES5_S5_S5_,comdat
	.globl	_ZL33flash_attn_stream_k_fixup_generalILi64ELi32ELi2EEvPfPK15HIP_vector_typeIfLj2EEiiiiS1_IjLj3EES5_S5_S5_ ; -- Begin function _ZL33flash_attn_stream_k_fixup_generalILi64ELi32ELi2EEvPfPK15HIP_vector_typeIfLj2EEiiiiS1_IjLj3EES5_S5_S5_
	.p2align	8
	.type	_ZL33flash_attn_stream_k_fixup_generalILi64ELi32ELi2EEvPfPK15HIP_vector_typeIfLj2EEiiiiS1_IjLj3EES5_S5_S5_,@function
_ZL33flash_attn_stream_k_fixup_generalILi64ELi32ELi2EEvPfPK15HIP_vector_typeIfLj2EEiiiiS1_IjLj3EES5_S5_S5_: ; @_ZL33flash_attn_stream_k_fixup_generalILi64ELi32ELi2EEvPfPK15HIP_vector_typeIfLj2EEiiiiS1_IjLj3EES5_S5_S5_
; %bb.0:
	s_clause 0x1
	s_load_dwordx4 s[0:3], s[4:5], 0x10
	s_load_dword s9, s[4:5], 0x50
	s_mov_b32 s16, 0
	s_waitcnt lgkmcnt(0)
	s_mul_hi_i32 s17, s3, s6
	s_mul_i32 s18, s3, s6
	s_cmp_lg_u64 s[16:17], 0
	s_cbranch_scc0 .LBB36_21
; %bb.1:
	s_add_u32 s10, s9, 0
	s_addc_u32 s11, 0, 0
	s_xor_b64 s[10:11], s[10:11], 0
	v_cvt_f32_u32_e32 v1, s10
	v_cvt_f32_u32_e32 v2, s11
	s_sub_u32 s14, 0, s10
	s_subb_u32 s15, 0, s11
	v_fmamk_f32 v1, v2, 0x4f800000, v1
	v_rcp_f32_e32 v1, v1
	v_mul_f32_e32 v1, 0x5f7ffffc, v1
	v_mul_f32_e32 v2, 0x2f800000, v1
	v_trunc_f32_e32 v2, v2
	v_fmamk_f32 v1, v2, 0xcf800000, v1
	v_cvt_u32_f32_e32 v2, v2
	v_cvt_u32_f32_e32 v1, v1
	v_readfirstlane_b32 s12, v2
	v_readfirstlane_b32 s13, v1
	s_mul_i32 s19, s14, s12
	s_mul_hi_u32 s21, s14, s13
	s_mul_i32 s20, s15, s13
	s_add_i32 s19, s21, s19
	s_mul_i32 s22, s14, s13
	s_add_i32 s19, s19, s20
	s_mul_hi_u32 s21, s13, s22
	s_mul_i32 s24, s13, s19
	s_mul_hi_u32 s23, s12, s22
	s_mul_i32 s20, s12, s22
	s_mul_hi_u32 s22, s13, s19
	s_add_u32 s21, s21, s24
	s_addc_u32 s22, 0, s22
	s_mul_hi_u32 s25, s12, s19
	s_add_u32 s20, s21, s20
	s_mul_i32 s19, s12, s19
	s_addc_u32 s20, s22, s23
	s_addc_u32 s21, s25, 0
	s_add_u32 s19, s20, s19
	s_addc_u32 s20, 0, s21
	s_add_u32 s13, s13, s19
	s_cselect_b32 s19, -1, 0
	s_mul_hi_u32 s21, s14, s13
	s_cmp_lg_u32 s19, 0
	s_mul_i32 s19, s14, s13
	s_addc_u32 s12, s12, s20
	s_mul_i32 s15, s15, s13
	s_mul_i32 s14, s14, s12
	s_mul_hi_u32 s20, s13, s19
	s_add_i32 s14, s21, s14
	s_mul_hi_u32 s21, s12, s19
	s_add_i32 s14, s14, s15
	s_mul_i32 s15, s12, s19
	s_mul_i32 s23, s13, s14
	s_mul_hi_u32 s22, s13, s14
	s_add_u32 s20, s20, s23
	s_addc_u32 s22, 0, s22
	s_mul_hi_u32 s19, s12, s14
	s_add_u32 s15, s20, s15
	s_mul_i32 s14, s12, s14
	s_addc_u32 s15, s22, s21
	s_addc_u32 s19, s19, 0
	s_add_u32 s14, s15, s14
	s_addc_u32 s15, 0, s19
	s_add_u32 s19, s13, s14
	s_cselect_b32 s13, -1, 0
	s_cmp_lg_u32 s13, 0
	s_addc_u32 s20, s12, s15
	s_ashr_i32 s12, s17, 31
	s_add_u32 s14, s18, s12
	s_mov_b32 s13, s12
	s_addc_u32 s15, s17, s12
	s_xor_b64 s[14:15], s[14:15], s[12:13]
	s_mul_i32 s21, s14, s20
	s_mul_hi_u32 s22, s14, s19
	s_mul_hi_u32 s17, s14, s20
	;; [unrolled: 1-line block ×3, first 2 shown]
	s_mul_i32 s19, s15, s19
	s_add_u32 s21, s22, s21
	s_addc_u32 s17, 0, s17
	s_mul_hi_u32 s23, s15, s20
	s_add_u32 s19, s21, s19
	s_mul_i32 s20, s15, s20
	s_addc_u32 s17, s17, s24
	s_addc_u32 s19, s23, 0
	s_add_u32 s17, s17, s20
	s_addc_u32 s19, 0, s19
	s_mul_hi_u32 s20, s10, s17
	s_mul_i32 s21, s10, s19
	s_mul_i32 s22, s11, s17
	s_add_i32 s20, s20, s21
	s_mul_i32 s21, s10, s17
	s_add_i32 s20, s20, s22
	s_sub_i32 s22, s15, s20
	s_sub_u32 s14, s14, s21
	s_cselect_b32 s21, -1, 0
	s_cmp_lg_u32 s21, 0
	s_subb_u32 s22, s22, s11
	s_sub_u32 s23, s14, s10
	s_cselect_b32 s24, -1, 0
	s_cmp_lg_u32 s24, 0
	s_subb_u32 s22, s22, 0
	s_cmp_ge_u32 s22, s11
	s_cselect_b32 s24, -1, 0
	s_cmp_ge_u32 s23, s10
	s_cselect_b32 s23, -1, 0
	s_cmp_eq_u32 s22, s11
	s_cselect_b32 s22, s23, s24
	s_add_u32 s23, s17, 1
	s_addc_u32 s24, s19, 0
	s_add_u32 s25, s17, 2
	s_addc_u32 s26, s19, 0
	s_cmp_lg_u32 s22, 0
	s_cselect_b32 s22, s25, s23
	s_cselect_b32 s23, s26, s24
	s_cmp_lg_u32 s21, 0
	s_subb_u32 s15, s15, s20
	s_cmp_ge_u32 s15, s11
	s_cselect_b32 s20, -1, 0
	s_cmp_ge_u32 s14, s10
	s_cselect_b32 s10, -1, 0
	s_cmp_eq_u32 s15, s11
	s_cselect_b32 s10, s10, s20
	s_cmp_lg_u32 s10, 0
	s_cselect_b32 s11, s23, s19
	s_cselect_b32 s10, s22, s17
	s_xor_b64 s[12:13], s[12:13], 0
	s_xor_b64 s[10:11], s[10:11], s[12:13]
	s_sub_u32 s10, s10, s12
	s_load_dwordx4 s[12:15], s[4:5], 0x44
	s_andn2_b32 vcc_lo, exec_lo, s16
	s_cbranch_vccnz .LBB36_3
.LBB36_2:
	v_cvt_f32_u32_e32 v1, s9
	s_sub_i32 s11, 0, s9
	v_rcp_iflag_f32_e32 v1, v1
	v_mul_f32_e32 v1, 0x4f7ffffe, v1
	v_cvt_u32_f32_e32 v1, v1
	v_readfirstlane_b32 s10, v1
	s_mul_i32 s11, s11, s10
	s_mul_hi_u32 s11, s10, s11
	s_add_i32 s10, s10, s11
	s_mul_hi_u32 s10, s18, s10
	s_mul_i32 s11, s10, s9
	s_waitcnt lgkmcnt(0)
	s_add_i32 s15, s10, 1
	s_sub_i32 s11, s18, s11
	s_sub_i32 s16, s11, s9
	s_cmp_ge_u32 s11, s9
	s_cselect_b32 s10, s15, s10
	s_cselect_b32 s11, s16, s11
	s_add_i32 s15, s10, 1
	s_cmp_ge_u32 s11, s9
	s_cselect_b32 s10, s15, s10
.LBB36_3:
	s_add_i32 s11, s6, 1
	s_mov_b32 s16, 0
	s_mul_hi_i32 s17, s3, s11
	s_mul_i32 s11, s3, s11
	s_cmp_lg_u64 s[16:17], 0
	s_cbranch_scc0 .LBB36_22
; %bb.4:
	s_add_u32 s18, s9, 0
	s_addc_u32 s19, 0, 0
	s_xor_b64 s[18:19], s[18:19], 0
	v_cvt_f32_u32_e32 v1, s18
	v_cvt_f32_u32_e32 v2, s19
	s_sub_u32 s21, 0, s18
	s_subb_u32 s22, 0, s19
	v_fmamk_f32 v1, v2, 0x4f800000, v1
	v_rcp_f32_e32 v1, v1
	v_mul_f32_e32 v1, 0x5f7ffffc, v1
	v_mul_f32_e32 v2, 0x2f800000, v1
	v_trunc_f32_e32 v2, v2
	v_fmamk_f32 v1, v2, 0xcf800000, v1
	v_cvt_u32_f32_e32 v2, v2
	v_cvt_u32_f32_e32 v1, v1
	s_waitcnt lgkmcnt(0)
	v_readfirstlane_b32 s15, v2
	v_readfirstlane_b32 s20, v1
	s_mul_i32 s23, s21, s15
	s_mul_hi_u32 s25, s21, s20
	s_mul_i32 s24, s22, s20
	s_add_i32 s23, s25, s23
	s_mul_i32 s26, s21, s20
	s_add_i32 s23, s23, s24
	s_mul_hi_u32 s25, s20, s26
	s_mul_i32 s28, s20, s23
	s_mul_hi_u32 s27, s15, s26
	s_mul_i32 s24, s15, s26
	s_mul_hi_u32 s26, s20, s23
	s_add_u32 s25, s25, s28
	s_addc_u32 s26, 0, s26
	s_mul_hi_u32 s29, s15, s23
	s_add_u32 s24, s25, s24
	s_mul_i32 s23, s15, s23
	s_addc_u32 s24, s26, s27
	s_addc_u32 s25, s29, 0
	s_add_u32 s23, s24, s23
	s_addc_u32 s24, 0, s25
	s_add_u32 s20, s20, s23
	s_cselect_b32 s23, -1, 0
	s_mul_hi_u32 s25, s21, s20
	s_cmp_lg_u32 s23, 0
	s_mul_i32 s23, s21, s20
	s_addc_u32 s15, s15, s24
	s_mul_i32 s22, s22, s20
	s_mul_i32 s21, s21, s15
	s_mul_hi_u32 s24, s20, s23
	s_add_i32 s21, s25, s21
	s_mul_hi_u32 s25, s15, s23
	s_add_i32 s21, s21, s22
	s_mul_i32 s22, s15, s23
	s_mul_i32 s27, s20, s21
	s_mul_hi_u32 s26, s20, s21
	s_add_u32 s24, s24, s27
	s_addc_u32 s26, 0, s26
	s_mul_hi_u32 s23, s15, s21
	s_add_u32 s22, s24, s22
	s_mul_i32 s21, s15, s21
	s_addc_u32 s22, s26, s25
	s_addc_u32 s23, s23, 0
	s_add_u32 s21, s22, s21
	s_addc_u32 s22, 0, s23
	s_add_u32 s24, s20, s21
	s_cselect_b32 s20, -1, 0
	s_cmp_lg_u32 s20, 0
	s_addc_u32 s15, s15, s22
	s_ashr_i32 s20, s17, 31
	s_add_u32 s22, s11, s20
	s_mov_b32 s21, s20
	s_addc_u32 s23, s17, s20
	s_xor_b64 s[22:23], s[22:23], s[20:21]
	s_mul_i32 s25, s22, s15
	s_mul_hi_u32 s26, s22, s24
	s_mul_hi_u32 s17, s22, s15
	;; [unrolled: 1-line block ×3, first 2 shown]
	s_mul_i32 s24, s23, s24
	s_add_u32 s25, s26, s25
	s_addc_u32 s17, 0, s17
	s_mul_hi_u32 s27, s23, s15
	s_add_u32 s24, s25, s24
	s_mul_i32 s15, s23, s15
	s_addc_u32 s17, s17, s28
	s_addc_u32 s24, s27, 0
	s_add_u32 s15, s17, s15
	s_addc_u32 s17, 0, s24
	s_mul_hi_u32 s24, s18, s15
	s_mul_i32 s25, s18, s17
	s_mul_i32 s26, s19, s15
	s_add_i32 s24, s24, s25
	s_mul_i32 s25, s18, s15
	s_add_i32 s24, s24, s26
	s_sub_i32 s26, s23, s24
	s_sub_u32 s22, s22, s25
	s_cselect_b32 s25, -1, 0
	s_cmp_lg_u32 s25, 0
	s_subb_u32 s26, s26, s19
	s_sub_u32 s27, s22, s18
	s_cselect_b32 s28, -1, 0
	s_cmp_lg_u32 s28, 0
	s_subb_u32 s26, s26, 0
	s_cmp_ge_u32 s26, s19
	s_cselect_b32 s28, -1, 0
	s_cmp_ge_u32 s27, s18
	s_cselect_b32 s27, -1, 0
	s_cmp_eq_u32 s26, s19
	s_cselect_b32 s26, s27, s28
	s_add_u32 s27, s15, 1
	s_addc_u32 s28, s17, 0
	s_add_u32 s29, s15, 2
	s_addc_u32 s30, s17, 0
	s_cmp_lg_u32 s26, 0
	s_cselect_b32 s26, s29, s27
	s_cselect_b32 s27, s30, s28
	s_cmp_lg_u32 s25, 0
	s_subb_u32 s23, s23, s24
	s_cmp_ge_u32 s23, s19
	s_cselect_b32 s24, -1, 0
	s_cmp_ge_u32 s22, s18
	s_cselect_b32 s18, -1, 0
	s_cmp_eq_u32 s23, s19
	s_cselect_b32 s18, s18, s24
	s_cmp_lg_u32 s18, 0
	s_cselect_b32 s19, s27, s17
	s_cselect_b32 s18, s26, s15
	s_xor_b64 s[20:21], s[20:21], 0
	s_xor_b64 s[18:19], s[18:19], s[20:21]
	s_sub_u32 s18, s18, s20
	s_andn2_b32 vcc_lo, exec_lo, s16
	s_cbranch_vccnz .LBB36_6
.LBB36_5:
	v_cvt_f32_u32_e32 v1, s9
	s_sub_i32 s16, 0, s9
	v_rcp_iflag_f32_e32 v1, v1
	v_mul_f32_e32 v1, 0x4f7ffffe, v1
	v_cvt_u32_f32_e32 v1, v1
	s_waitcnt lgkmcnt(0)
	v_readfirstlane_b32 s15, v1
	s_mul_i32 s16, s16, s15
	s_mul_hi_u32 s16, s15, s16
	s_add_i32 s15, s15, s16
	s_mul_hi_u32 s15, s11, s15
	s_mul_i32 s16, s15, s9
	s_sub_i32 s11, s11, s16
	s_add_i32 s16, s15, 1
	s_sub_i32 s17, s11, s9
	s_cmp_ge_u32 s11, s9
	s_cselect_b32 s15, s16, s15
	s_cselect_b32 s11, s17, s11
	s_add_i32 s16, s15, 1
	s_cmp_ge_u32 s11, s9
	s_cselect_b32 s18, s16, s15
.LBB36_6:
	s_cmp_eq_u32 s10, s18
	s_waitcnt lgkmcnt(0)
	s_mul_hi_u32 s11, s10, s12
	s_cselect_b32 s15, -1, 0
	s_add_i32 s11, s11, s10
	s_lshr_b32 s11, s11, s13
	s_mul_i32 s16, s11, s14
	s_cmp_eq_u32 s16, s10
	s_mul_hi_u32 s16, s18, s12
	s_cselect_b32 s17, -1, 0
	s_add_i32 s16, s16, s18
	s_lshr_b32 s16, s16, s13
	s_cmp_eq_u32 s11, s16
	s_mul_i32 s16, s16, s14
	s_cselect_b32 s19, -1, 0
	s_cmp_lg_u32 s16, s18
	s_cselect_b32 s16, -1, 0
	s_or_b32 s15, s15, s17
	s_and_b32 s16, s19, s16
	s_or_b32 s15, s15, s16
	s_and_b32 vcc_lo, exec_lo, s15
	s_cbranch_vccnz .LBB36_24
; %bb.7:
	s_clause 0x1
	s_load_dwordx8 s[20:27], s[4:5], 0x20
	s_load_dword s16, s[4:5], 0x40
	s_waitcnt lgkmcnt(0)
	s_mul_hi_u32 s15, s10, s20
	s_add_i32 s15, s15, s10
	s_lshr_b32 s15, s15, s21
	s_mul_i32 s17, s15, s22
	s_sub_i32 s17, s10, s17
	s_mul_hi_u32 s18, s17, s23
	s_add_i32 s18, s17, s18
	s_lshr_b32 s22, s18, s24
	s_mul_i32 s18, s22, s25
	s_sub_i32 s17, s17, s18
	s_mul_hi_u32 s18, s17, s26
	s_add_i32 s18, s17, s18
	s_lshr_b32 s18, s18, s27
	s_mul_i32 s16, s18, s16
	s_lshl_b32 s24, s18, 1
	s_sub_i32 s16, s17, s16
	s_mul_hi_u32 s17, s16, s12
	s_add_i32 s16, s16, s17
	s_lshr_b32 s23, s16, s13
	s_lshl_b32 s16, s23, 5
	s_add_i32 s16, s16, s7
	s_cmp_lt_i32 s16, s0
	s_cselect_b32 s16, -1, 0
	s_add_i32 s17, s24, s8
	s_cmp_lt_i32 s17, s2
	s_cselect_b32 s17, -1, 0
	s_and_b32 s16, s16, s17
	s_andn2_b32 vcc_lo, exec_lo, s16
	s_cbranch_vccnz .LBB36_24
; %bb.8:
	s_load_dwordx4 s[16:19], s[4:5], 0x0
	s_mov_b32 s4, 0
	s_lshl_b32 s20, s9, 8
	s_mov_b32 s21, s4
	s_lshl_b32 s5, s7, 1
	s_lshl_b64 s[20:21], s[20:21], 2
	s_mul_i32 s0, s15, s0
	s_add_i32 s15, s5, s8
	s_mul_i32 s22, s22, s2
	v_cvt_f32_u32_e32 v4, s9
	v_rcp_iflag_f32_e32 v4, v4
	s_waitcnt lgkmcnt(0)
	s_add_u32 s20, s18, s20
	s_addc_u32 s21, s19, s21
	s_add_i32 s0, s0, s7
	s_mul_i32 s0, s0, s1
	s_mul_i32 s1, s1, s23
	s_add_i32 s0, s0, s8
	s_lshl_b32 s1, s1, 11
	s_add_i32 s0, s0, s22
	v_mul_f32_e32 v4, 0x4f7ffffe, v4
	s_add_i32 s0, s0, s24
	s_lshl_b32 s0, s0, 6
	s_add_i32 s1, s1, s0
	s_lshl_b32 s0, s6, 6
	v_or_b32_e32 v1, s1, v0
	s_add_i32 s0, s15, s0
	v_lshl_or_b32 v0, s15, 6, v0
	s_ashr_i32 s1, s0, 31
	v_cvt_u32_f32_e32 v4, v4
	v_ashrrev_i32_e32 v2, 31, v1
	s_lshl_b64 s[0:1], s[0:1], 3
	s_add_u32 s0, s18, s0
	s_addc_u32 s1, s19, s1
	v_lshlrev_b64 v[1:2], 2, v[1:2]
	s_load_dwordx2 s[0:1], s[0:1], 0x0
	s_add_i32 s8, s6, -1
	s_sub_i32 s2, 0, s9
	v_add_co_u32 v1, vcc_lo, s16, v1
	v_add_co_ci_u32_e64 v2, null, s17, v2, vcc_lo
	global_load_dword v3, v[1:2], off
	s_waitcnt lgkmcnt(0)
	v_mov_b32_e32 v5, s1
	v_mov_b32_e32 v6, s0
.LBB36_9:                               ; =>This Inner Loop Header: Depth=1
	s_mul_hi_i32 s5, s8, s3
	s_mul_i32 s6, s8, s3
	s_cmp_lg_u64 s[4:5], 0
	s_mov_b32 s7, -1
                                        ; implicit-def: $sgpr0_sgpr1
	s_cbranch_scc0 .LBB36_11
; %bb.10:                               ;   in Loop: Header=BB36_9 Depth=1
	s_add_u32 s0, s9, 0
	s_addc_u32 s1, 0, 0
	s_xor_b64 s[0:1], s[0:1], 0
	v_cvt_f32_u32_e32 v7, s0
	v_cvt_f32_u32_e32 v8, s1
	s_sub_u32 s17, 0, s0
	s_subb_u32 s22, 0, s1
	v_fmac_f32_e32 v7, 0x4f800000, v8
	v_rcp_f32_e32 v7, v7
	v_mul_f32_e32 v7, 0x5f7ffffc, v7
	v_mul_f32_e32 v8, 0x2f800000, v7
	v_trunc_f32_e32 v8, v8
	v_fmac_f32_e32 v7, 0xcf800000, v8
	v_cvt_u32_f32_e32 v8, v8
	v_cvt_u32_f32_e32 v7, v7
	v_readfirstlane_b32 s7, v8
	v_readfirstlane_b32 s16, v7
	s_mul_i32 s23, s17, s7
	s_mul_hi_u32 s25, s17, s16
	s_mul_i32 s24, s22, s16
	s_add_i32 s23, s25, s23
	s_mul_i32 s26, s17, s16
	s_add_i32 s23, s23, s24
	s_mul_hi_u32 s25, s16, s26
	s_mul_i32 s28, s16, s23
	s_mul_hi_u32 s27, s7, s26
	s_mul_i32 s24, s7, s26
	s_mul_hi_u32 s26, s16, s23
	s_add_u32 s25, s25, s28
	s_addc_u32 s26, 0, s26
	s_mul_hi_u32 s29, s7, s23
	s_add_u32 s24, s25, s24
	s_mul_i32 s23, s7, s23
	s_addc_u32 s24, s26, s27
	s_addc_u32 s25, s29, 0
	s_add_u32 s23, s24, s23
	s_addc_u32 s24, 0, s25
	s_add_u32 s16, s16, s23
	s_cselect_b32 s23, -1, 0
	s_mul_hi_u32 s25, s17, s16
	s_cmp_lg_u32 s23, 0
	s_mul_i32 s23, s17, s16
	s_addc_u32 s7, s7, s24
	s_mul_i32 s22, s22, s16
	s_mul_i32 s17, s17, s7
	s_mul_hi_u32 s24, s16, s23
	s_add_i32 s17, s25, s17
	s_mul_hi_u32 s25, s7, s23
	s_add_i32 s17, s17, s22
	s_mul_i32 s22, s7, s23
	s_mul_i32 s27, s16, s17
	s_mul_hi_u32 s26, s16, s17
	s_add_u32 s24, s24, s27
	s_addc_u32 s26, 0, s26
	s_mul_hi_u32 s23, s7, s17
	s_add_u32 s22, s24, s22
	s_mul_i32 s17, s7, s17
	s_addc_u32 s22, s26, s25
	s_addc_u32 s23, s23, 0
	s_add_u32 s17, s22, s17
	s_addc_u32 s22, 0, s23
	s_add_u32 s24, s16, s17
	s_cselect_b32 s16, -1, 0
	s_cmp_lg_u32 s16, 0
	s_addc_u32 s7, s7, s22
	s_ashr_i32 s16, s5, 31
	s_add_u32 s22, s6, s16
	s_mov_b32 s17, s16
	s_addc_u32 s23, s5, s16
	s_xor_b64 s[22:23], s[22:23], s[16:17]
	s_mul_i32 s25, s22, s7
	s_mul_hi_u32 s26, s22, s24
	s_mul_hi_u32 s5, s22, s7
	;; [unrolled: 1-line block ×3, first 2 shown]
	s_mul_i32 s24, s23, s24
	s_add_u32 s25, s26, s25
	s_addc_u32 s5, 0, s5
	s_mul_hi_u32 s27, s23, s7
	s_add_u32 s24, s25, s24
	s_mul_i32 s7, s23, s7
	s_addc_u32 s5, s5, s28
	s_addc_u32 s24, s27, 0
	s_add_u32 s5, s5, s7
	s_addc_u32 s7, 0, s24
	s_mul_hi_u32 s24, s0, s5
	s_mul_i32 s25, s0, s7
	s_mul_i32 s26, s1, s5
	s_add_i32 s24, s24, s25
	s_mul_i32 s25, s0, s5
	s_add_i32 s24, s24, s26
	s_sub_i32 s26, s23, s24
	s_sub_u32 s22, s22, s25
	s_cselect_b32 s25, -1, 0
	s_cmp_lg_u32 s25, 0
	s_subb_u32 s26, s26, s1
	s_sub_u32 s27, s22, s0
	s_cselect_b32 s28, -1, 0
	s_cmp_lg_u32 s28, 0
	s_subb_u32 s26, s26, 0
	s_cmp_ge_u32 s26, s1
	s_cselect_b32 s28, -1, 0
	s_cmp_ge_u32 s27, s0
	s_cselect_b32 s27, -1, 0
	s_cmp_eq_u32 s26, s1
	s_cselect_b32 s26, s27, s28
	s_add_u32 s27, s5, 1
	s_addc_u32 s28, s7, 0
	s_add_u32 s29, s5, 2
	s_addc_u32 s30, s7, 0
	s_cmp_lg_u32 s26, 0
	s_cselect_b32 s26, s29, s27
	s_cselect_b32 s27, s30, s28
	s_cmp_lg_u32 s25, 0
	s_subb_u32 s23, s23, s24
	s_cmp_ge_u32 s23, s1
	s_cselect_b32 s24, -1, 0
	s_cmp_ge_u32 s22, s0
	s_cselect_b32 s0, -1, 0
	s_cmp_eq_u32 s23, s1
	s_cselect_b32 s0, s0, s24
	s_cmp_lg_u32 s0, 0
	s_cselect_b32 s1, s27, s7
	s_cselect_b32 s0, s26, s5
	s_xor_b64 s[16:17], s[16:17], 0
	s_mov_b32 s7, 0
	s_xor_b64 s[0:1], s[0:1], s[16:17]
	s_sub_u32 s0, s0, s16
.LBB36_11:                              ;   in Loop: Header=BB36_9 Depth=1
	s_andn2_b32 vcc_lo, exec_lo, s7
	s_cbranch_vccnz .LBB36_13
; %bb.12:                               ;   in Loop: Header=BB36_9 Depth=1
	v_readfirstlane_b32 s0, v4
	s_mul_i32 s1, s2, s0
	s_mul_hi_u32 s1, s0, s1
	s_add_i32 s0, s0, s1
	s_mul_hi_u32 s0, s6, s0
	s_mul_i32 s1, s0, s9
	s_add_i32 s5, s0, 1
	s_sub_i32 s1, s6, s1
	s_sub_i32 s6, s1, s9
	s_cmp_ge_u32 s1, s9
	s_cselect_b32 s0, s5, s0
	s_cselect_b32 s1, s6, s1
	s_add_i32 s5, s0, 1
	s_cmp_ge_u32 s1, s9
	s_cselect_b32 s0, s5, s0
.LBB36_13:                              ;   in Loop: Header=BB36_9 Depth=1
	s_cmp_lg_u32 s10, s0
	s_mov_b32 s6, -1
                                        ; implicit-def: $sgpr5
                                        ; implicit-def: $vgpr8
                                        ; implicit-def: $vgpr7
                                        ; implicit-def: $vgpr9
                                        ; implicit-def: $sgpr1
                                        ; implicit-def: $sgpr16
	s_cbranch_scc0 .LBB36_18
; %bb.14:                               ;   in Loop: Header=BB36_9 Depth=1
	s_add_i32 s1, s8, s9
	s_mov_b32 s7, s4
	s_lshl_b32 s1, s1, 6
	s_mov_b32 s16, s10
	s_add_i32 s6, s1, s15
	s_mul_hi_u32 s1, s0, s12
	s_lshl_b64 s[6:7], s[6:7], 3
	s_add_u32 s6, s18, s6
	s_addc_u32 s7, s19, s7
	s_add_i32 s1, s1, s0
	s_lshr_b32 s1, s1, s13
	s_mul_i32 s5, s1, s14
	s_cmp_eq_u32 s5, s0
	s_cselect_b32 s5, -1, 0
	s_cmp_lt_u32 s1, s11
	s_cselect_b32 s1, -1, 0
	s_or_b32 s1, s1, s5
	s_mov_b32 s5, -1
	s_and_b32 vcc_lo, exec_lo, s1
	s_mov_b32 s1, s8
	s_cbranch_vccnz .LBB36_16
; %bb.15:                               ;   in Loop: Header=BB36_9 Depth=1
	s_add_i32 s1, s8, -1
	s_mov_b32 s5, 0
	s_mov_b32 s16, s0
.LBB36_16:                              ;   in Loop: Header=BB36_9 Depth=1
	v_lshl_add_u32 v7, s8, 12, v0
	s_load_dwordx2 s[6:7], s[6:7], 0x0
	v_ashrrev_i32_e32 v8, 31, v7
	v_lshlrev_b64 v[7:8], 2, v[7:8]
	v_add_co_u32 v7, vcc_lo, s20, v7
	v_add_co_ci_u32_e64 v8, null, s21, v8, vcc_lo
	s_waitcnt lgkmcnt(0)
	v_max_f32_e64 v9, s6, s6
	global_load_dword v8, v[7:8], off
	v_max_f32_e32 v7, v6, v6
	v_max_f32_e32 v7, v7, v9
	v_sub_f32_e32 v9, s6, v7
	v_sub_f32_e32 v10, v6, v7
	v_mul_f32_e32 v11, 0x3fb8aa3b, v9
	v_mul_f32_e32 v12, 0x3fb8aa3b, v10
	v_cmp_ngt_f32_e32 vcc_lo, 0xc2ce8ed0, v9
	v_fma_f32 v13, 0x3fb8aa3b, v9, -v11
	v_rndne_f32_e32 v14, v11
	v_fma_f32 v15, 0x3fb8aa3b, v10, -v12
	v_rndne_f32_e32 v16, v12
	v_fmac_f32_e32 v13, 0x32a5705f, v9
	v_sub_f32_e32 v11, v11, v14
	v_fmac_f32_e32 v15, 0x32a5705f, v10
	v_sub_f32_e32 v12, v12, v16
	v_add_f32_e32 v11, v11, v13
	v_cvt_i32_f32_e32 v13, v14
	v_add_f32_e32 v12, v12, v15
	v_cvt_i32_f32_e32 v14, v16
	v_exp_f32_e32 v11, v11
	v_exp_f32_e32 v12, v12
	v_ldexp_f32 v11, v11, v13
	v_ldexp_f32 v12, v12, v14
	v_cndmask_b32_e32 v11, 0, v11, vcc_lo
	v_cmp_ngt_f32_e32 vcc_lo, 0xc2ce8ed0, v10
	v_cndmask_b32_e32 v12, 0, v12, vcc_lo
	v_cmp_nlt_f32_e32 vcc_lo, 0x42b17218, v9
	v_cndmask_b32_e32 v11, 0x7f800000, v11, vcc_lo
	v_cmp_nlt_f32_e32 vcc_lo, 0x42b17218, v10
	v_cndmask_b32_e32 v12, 0x7f800000, v12, vcc_lo
	v_cmp_le_f32_e32 vcc_lo, 0xc1a00000, v9
	v_cndmask_b32_e32 v9, 0, v11, vcc_lo
	v_cmp_le_f32_e32 vcc_lo, 0xc1a00000, v10
	v_cndmask_b32_e32 v10, 0, v12, vcc_lo
	s_waitcnt vmcnt(0)
	v_mul_f32_e32 v8, v8, v9
	v_mul_f32_e32 v9, s7, v9
	v_fmac_f32_e32 v8, v3, v10
	v_fmac_f32_e32 v9, v5, v10
	s_cbranch_execz .LBB36_19
.LBB36_17:                              ;   in Loop: Header=BB36_9 Depth=1
	s_andn2_b32 vcc_lo, exec_lo, s5
	s_cbranch_vccnz .LBB36_20
	s_branch .LBB36_23
.LBB36_18:                              ;   in Loop: Header=BB36_9 Depth=1
	s_andn2_b32 vcc_lo, exec_lo, s6
	s_cbranch_vccnz .LBB36_17
.LBB36_19:                              ;   in Loop: Header=BB36_9 Depth=1
	v_mov_b32_e32 v9, v5
	v_mov_b32_e32 v7, v6
	s_waitcnt vmcnt(0)
	v_mov_b32_e32 v8, v3
	s_add_i32 s1, s8, -1
	s_mov_b32 s16, s10
	s_cbranch_execz .LBB36_23
.LBB36_20:                              ;   in Loop: Header=BB36_9 Depth=1
	v_mov_b32_e32 v5, v9
	v_mov_b32_e32 v6, v7
	s_waitcnt vmcnt(0)
	v_mov_b32_e32 v3, v8
	s_mov_b32 s10, s16
	s_mov_b32 s8, s1
	s_branch .LBB36_9
.LBB36_21:
                                        ; implicit-def: $sgpr10_sgpr11
	s_load_dwordx4 s[12:15], s[4:5], 0x44
	s_branch .LBB36_2
.LBB36_22:
                                        ; implicit-def: $sgpr18_sgpr19
	s_branch .LBB36_5
.LBB36_23:
	v_div_scale_f32 v0, null, v9, v9, v8
	s_waitcnt vmcnt(0)
	v_rcp_f32_e32 v3, v0
	v_fma_f32 v4, -v0, v3, 1.0
	v_fmac_f32_e32 v3, v4, v3
	v_div_scale_f32 v4, vcc_lo, v8, v9, v8
	v_mul_f32_e32 v5, v4, v3
	v_fma_f32 v6, -v0, v5, v4
	v_fmac_f32_e32 v5, v6, v3
	v_fma_f32 v0, -v0, v5, v4
	v_div_fmas_f32 v0, v0, v3, v5
	v_div_fixup_f32 v0, v0, v9, v8
	global_store_dword v[1:2], v0, off
.LBB36_24:
	s_endpgm
	.section	.rodata,"a",@progbits
	.p2align	6, 0x0
	.amdhsa_kernel _ZL33flash_attn_stream_k_fixup_generalILi64ELi32ELi2EEvPfPK15HIP_vector_typeIfLj2EEiiiiS1_IjLj3EES5_S5_S5_
		.amdhsa_group_segment_fixed_size 0
		.amdhsa_private_segment_fixed_size 0
		.amdhsa_kernarg_size 336
		.amdhsa_user_sgpr_count 6
		.amdhsa_user_sgpr_private_segment_buffer 1
		.amdhsa_user_sgpr_dispatch_ptr 0
		.amdhsa_user_sgpr_queue_ptr 0
		.amdhsa_user_sgpr_kernarg_segment_ptr 1
		.amdhsa_user_sgpr_dispatch_id 0
		.amdhsa_user_sgpr_flat_scratch_init 0
		.amdhsa_user_sgpr_private_segment_size 0
		.amdhsa_wavefront_size32 1
		.amdhsa_uses_dynamic_stack 0
		.amdhsa_system_sgpr_private_segment_wavefront_offset 0
		.amdhsa_system_sgpr_workgroup_id_x 1
		.amdhsa_system_sgpr_workgroup_id_y 1
		.amdhsa_system_sgpr_workgroup_id_z 1
		.amdhsa_system_sgpr_workgroup_info 0
		.amdhsa_system_vgpr_workitem_id 0
		.amdhsa_next_free_vgpr 17
		.amdhsa_next_free_sgpr 31
		.amdhsa_reserve_vcc 1
		.amdhsa_reserve_flat_scratch 0
		.amdhsa_float_round_mode_32 0
		.amdhsa_float_round_mode_16_64 0
		.amdhsa_float_denorm_mode_32 3
		.amdhsa_float_denorm_mode_16_64 3
		.amdhsa_dx10_clamp 1
		.amdhsa_ieee_mode 1
		.amdhsa_fp16_overflow 0
		.amdhsa_workgroup_processor_mode 1
		.amdhsa_memory_ordered 1
		.amdhsa_forward_progress 1
		.amdhsa_shared_vgpr_count 0
		.amdhsa_exception_fp_ieee_invalid_op 0
		.amdhsa_exception_fp_denorm_src 0
		.amdhsa_exception_fp_ieee_div_zero 0
		.amdhsa_exception_fp_ieee_overflow 0
		.amdhsa_exception_fp_ieee_underflow 0
		.amdhsa_exception_fp_ieee_inexact 0
		.amdhsa_exception_int_div_zero 0
	.end_amdhsa_kernel
	.section	.text._ZL33flash_attn_stream_k_fixup_generalILi64ELi32ELi2EEvPfPK15HIP_vector_typeIfLj2EEiiiiS1_IjLj3EES5_S5_S5_,"axG",@progbits,_ZL33flash_attn_stream_k_fixup_generalILi64ELi32ELi2EEvPfPK15HIP_vector_typeIfLj2EEiiiiS1_IjLj3EES5_S5_S5_,comdat
.Lfunc_end36:
	.size	_ZL33flash_attn_stream_k_fixup_generalILi64ELi32ELi2EEvPfPK15HIP_vector_typeIfLj2EEiiiiS1_IjLj3EES5_S5_S5_, .Lfunc_end36-_ZL33flash_attn_stream_k_fixup_generalILi64ELi32ELi2EEvPfPK15HIP_vector_typeIfLj2EEiiiiS1_IjLj3EES5_S5_S5_
                                        ; -- End function
	.set _ZL33flash_attn_stream_k_fixup_generalILi64ELi32ELi2EEvPfPK15HIP_vector_typeIfLj2EEiiiiS1_IjLj3EES5_S5_S5_.num_vgpr, 17
	.set _ZL33flash_attn_stream_k_fixup_generalILi64ELi32ELi2EEvPfPK15HIP_vector_typeIfLj2EEiiiiS1_IjLj3EES5_S5_S5_.num_agpr, 0
	.set _ZL33flash_attn_stream_k_fixup_generalILi64ELi32ELi2EEvPfPK15HIP_vector_typeIfLj2EEiiiiS1_IjLj3EES5_S5_S5_.numbered_sgpr, 31
	.set _ZL33flash_attn_stream_k_fixup_generalILi64ELi32ELi2EEvPfPK15HIP_vector_typeIfLj2EEiiiiS1_IjLj3EES5_S5_S5_.num_named_barrier, 0
	.set _ZL33flash_attn_stream_k_fixup_generalILi64ELi32ELi2EEvPfPK15HIP_vector_typeIfLj2EEiiiiS1_IjLj3EES5_S5_S5_.private_seg_size, 0
	.set _ZL33flash_attn_stream_k_fixup_generalILi64ELi32ELi2EEvPfPK15HIP_vector_typeIfLj2EEiiiiS1_IjLj3EES5_S5_S5_.uses_vcc, 1
	.set _ZL33flash_attn_stream_k_fixup_generalILi64ELi32ELi2EEvPfPK15HIP_vector_typeIfLj2EEiiiiS1_IjLj3EES5_S5_S5_.uses_flat_scratch, 0
	.set _ZL33flash_attn_stream_k_fixup_generalILi64ELi32ELi2EEvPfPK15HIP_vector_typeIfLj2EEiiiiS1_IjLj3EES5_S5_S5_.has_dyn_sized_stack, 0
	.set _ZL33flash_attn_stream_k_fixup_generalILi64ELi32ELi2EEvPfPK15HIP_vector_typeIfLj2EEiiiiS1_IjLj3EES5_S5_S5_.has_recursion, 0
	.set _ZL33flash_attn_stream_k_fixup_generalILi64ELi32ELi2EEvPfPK15HIP_vector_typeIfLj2EEiiiiS1_IjLj3EES5_S5_S5_.has_indirect_call, 0
	.section	.AMDGPU.csdata,"",@progbits
; Kernel info:
; codeLenInByte = 2944
; TotalNumSgprs: 33
; NumVgprs: 17
; ScratchSize: 0
; MemoryBound: 0
; FloatMode: 240
; IeeeMode: 1
; LDSByteSize: 0 bytes/workgroup (compile time only)
; SGPRBlocks: 0
; VGPRBlocks: 2
; NumSGPRsForWavesPerEU: 33
; NumVGPRsForWavesPerEU: 17
; Occupancy: 16
; WaveLimiterHint : 0
; COMPUTE_PGM_RSRC2:SCRATCH_EN: 0
; COMPUTE_PGM_RSRC2:USER_SGPR: 6
; COMPUTE_PGM_RSRC2:TRAP_HANDLER: 0
; COMPUTE_PGM_RSRC2:TGID_X_EN: 1
; COMPUTE_PGM_RSRC2:TGID_Y_EN: 1
; COMPUTE_PGM_RSRC2:TGID_Z_EN: 1
; COMPUTE_PGM_RSRC2:TIDIG_COMP_CNT: 0
	.section	.text._ZL15flash_attn_tileILi64ELi64ELi16ELi2ELb0EEvPKcS1_S1_S1_S1_PKiPfP15HIP_vector_typeIfLj2EEffffjfiS5_IjLj3EEiiiiiiiiiiiliiliiiiil,"axG",@progbits,_ZL15flash_attn_tileILi64ELi64ELi16ELi2ELb0EEvPKcS1_S1_S1_S1_PKiPfP15HIP_vector_typeIfLj2EEffffjfiS5_IjLj3EEiiiiiiiiiiiliiliiiiil,comdat
	.globl	_ZL15flash_attn_tileILi64ELi64ELi16ELi2ELb0EEvPKcS1_S1_S1_S1_PKiPfP15HIP_vector_typeIfLj2EEffffjfiS5_IjLj3EEiiiiiiiiiiiliiliiiiil ; -- Begin function _ZL15flash_attn_tileILi64ELi64ELi16ELi2ELb0EEvPKcS1_S1_S1_S1_PKiPfP15HIP_vector_typeIfLj2EEffffjfiS5_IjLj3EEiiiiiiiiiiiliiliiiiil
	.p2align	8
	.type	_ZL15flash_attn_tileILi64ELi64ELi16ELi2ELb0EEvPKcS1_S1_S1_S1_PKiPfP15HIP_vector_typeIfLj2EEffffjfiS5_IjLj3EEiiiiiiiiiiiliiliiiiil,@function
_ZL15flash_attn_tileILi64ELi64ELi16ELi2ELb0EEvPKcS1_S1_S1_S1_PKiPfP15HIP_vector_typeIfLj2EEffffjfiS5_IjLj3EEiiiiiiiiiiiliiliiiiil: ; @_ZL15flash_attn_tileILi64ELi64ELi16ELi2ELb0EEvPKcS1_S1_S1_S1_PKiPfP15HIP_vector_typeIfLj2EEffffjfiS5_IjLj3EEiiiiiiiiiiiliiliiiiil
; %bb.0:
	s_clause 0x1
	s_load_dwordx4 s[0:3], s[4:5], 0x5c
	s_load_dwordx2 s[34:35], s[4:5], 0x80
	s_mov_b32 s28, s7
	s_mov_b64 s[36:37], 0
	s_waitcnt lgkmcnt(0)
	s_lshr_b32 s7, s3, 31
	s_add_i32 s7, s3, s7
	s_ashr_i32 s7, s7, 1
	v_cvt_f32_u32_e32 v2, s7
	s_sub_i32 s10, 0, s7
	v_rcp_iflag_f32_e32 v2, v2
	v_mul_f32_e32 v2, 0x4f7ffffe, v2
	v_cvt_u32_f32_e32 v2, v2
	v_readfirstlane_b32 s9, v2
	s_mul_i32 s10, s10, s9
	s_mul_hi_u32 s10, s9, s10
	s_add_i32 s9, s9, s10
	s_mul_hi_u32 s9, s8, s9
	s_mul_i32 s10, s9, s7
	s_add_i32 s11, s9, 1
	s_sub_i32 s10, s8, s10
	s_sub_i32 s12, s10, s7
	s_cmp_ge_u32 s10, s7
	s_cselect_b32 s9, s11, s9
	s_cselect_b32 s10, s12, s10
	s_add_i32 s11, s9, 1
	s_cmp_ge_u32 s10, s7
	s_cselect_b32 s29, s11, s9
	s_abs_i32 s7, s35
	s_lshl_b32 s8, s8, 1
	v_cvt_f32_u32_e32 v2, s7
	s_sub_i32 s10, 0, s7
	s_mul_i32 s11, s29, s3
	s_abs_i32 s12, s3
	s_sub_i32 s30, s8, s11
	v_rcp_iflag_f32_e32 v2, v2
	v_mul_f32_e32 v2, 0x4f7ffffe, v2
	v_cvt_u32_f32_e32 v2, v2
	v_readfirstlane_b32 s9, v2
	s_mul_i32 s10, s10, s9
	s_mul_hi_u32 s10, s9, s10
	s_add_i32 s9, s9, s10
	s_mul_hi_u32 s8, s12, s9
	s_xor_b32 s9, s3, s35
	s_mul_i32 s10, s8, s7
	s_ashr_i32 s9, s9, 31
	s_sub_i32 s10, s12, s10
	s_add_i32 s11, s8, 1
	s_sub_i32 s12, s10, s7
	s_cmp_ge_u32 s10, s7
	s_cselect_b32 s8, s11, s8
	s_cselect_b32 s10, s12, s10
	s_add_i32 s11, s8, 1
	s_cmp_ge_u32 s10, s7
	s_cselect_b32 s7, s11, s8
	s_xor_b32 s7, s7, s9
	s_sub_i32 s31, s7, s9
	s_clause 0x1
	s_load_dwordx16 s[8:23], s[4:5], 0x0
	s_load_dwordx2 s[38:39], s[4:5], 0xb8
	s_abs_i32 s7, s31
	v_cvt_f32_u32_e32 v2, s7
	v_rcp_iflag_f32_e32 v2, v2
	v_mul_f32_e32 v2, 0x4f7ffffe, v2
	s_waitcnt lgkmcnt(0)
	s_cmp_eq_u64 s[14:15], 0
	v_cvt_u32_f32_e32 v2, v2
	v_readfirstlane_b32 s33, v2
	s_cbranch_scc1 .LBB37_2
; %bb.1:
	s_abs_i32 s26, s38
	s_abs_i32 s27, s29
	v_cvt_f32_u32_e32 v2, s26
	s_sub_i32 s25, 0, s26
	v_rcp_iflag_f32_e32 v2, v2
	v_mul_f32_e32 v2, 0x4f7ffffe, v2
	v_cvt_u32_f32_e32 v2, v2
	v_readfirstlane_b32 s24, v2
	s_mul_i32 s25, s25, s24
	s_mul_hi_u32 s25, s24, s25
	s_add_i32 s24, s24, s25
	s_mul_hi_u32 s35, s27, s24
	s_load_dwordx2 s[24:25], s[4:5], 0xc8
	s_mul_i32 s35, s35, s26
	s_sub_i32 s27, s27, s35
	s_ashr_i32 s35, s29, 31
	s_sub_i32 s36, s27, s26
	s_cmp_ge_u32 s27, s26
	s_cselect_b32 s27, s36, s27
	s_sub_i32 s36, s27, s26
	s_cmp_ge_u32 s27, s26
	s_cselect_b32 s26, s36, s27
	s_xor_b32 s26, s26, s35
	s_sub_i32 s26, s26, s35
	s_ashr_i32 s27, s26, 31
	s_waitcnt lgkmcnt(0)
	s_mul_hi_u32 s35, s24, s26
	s_mul_i32 s27, s24, s27
	s_mul_i32 s25, s25, s26
	s_add_i32 s27, s35, s27
	s_mul_i32 s24, s24, s26
	s_add_i32 s27, s27, s25
	s_add_u32 s36, s14, s24
	s_addc_u32 s37, s15, s27
.LBB37_2:
	v_lshlrev_b32_e32 v13, 3, v1
	v_lshlrev_b32_e32 v39, 2, v1
	s_lshl_b32 s14, s6, 4
	s_load_dwordx4 s[24:27], s[4:5], 0x70
	v_lshlrev_b32_e32 v41, 3, v0
	v_or_b32_e32 v23, 2, v13
	v_add_nc_u32_e32 v40, s14, v39
	v_or_b32_e32 v24, 3, v13
	v_or_b32_e32 v25, 4, v13
	;; [unrolled: 1-line block ×3, first 2 shown]
	v_lshrrev_b32_e32 v36, 1, v23
	v_mul_hi_u32 v2, v40, s0
	v_lshrrev_b32_e32 v34, 1, v24
	v_lshrrev_b32_e32 v32, 1, v25
	;; [unrolled: 1-line block ×3, first 2 shown]
	v_add_nc_u32_e32 v38, s14, v36
	v_or_b32_e32 v42, 6, v13
	v_add_nc_u32_e32 v37, s14, v34
	v_add_nc_u32_e32 v35, s14, v32
	;; [unrolled: 1-line block ×3, first 2 shown]
	v_mul_hi_u32 v3, v38, s0
	v_add_nc_u32_e32 v33, s14, v30
	v_mul_hi_u32 v5, v37, s0
	s_waitcnt lgkmcnt(0)
	s_mul_i32 s15, s29, s26
	v_lshrrev_b32_e32 v2, s1, v2
	s_mul_i32 s27, s30, s25
	s_ashr_i32 s35, s15, 31
	s_add_u32 s8, s8, s15
	v_add_nc_u32_e32 v3, v38, v3
	v_mul_lo_u32 v2, v2, s2
	s_addc_u32 s9, s9, s35
	s_ashr_i32 s15, s27, 31
	s_add_u32 s35, s8, s27
	v_lshrrev_b32_e32 v3, s1, v3
	s_mov_b32 s26, s24
	s_addc_u32 s15, s9, s15
	s_ashr_i32 s27, s24, 31
	v_sub_nc_u32_e32 v2, v40, v2
	v_mul_lo_u32 v6, v3, s2
	s_lshr_b64 s[8:9], s[26:27], 2
	v_add_nc_u32_e32 v7, v37, v5
	s_lshr_b32 s9, s27, 2
	v_mad_u64_u32 v[3:4], null, s8, v2, 0
	s_ashr_i32 s24, s25, 31
	v_lshrrev_b32_e32 v10, s1, v7
	v_sub_nc_u32_e32 v9, v38, v6
	s_and_b32 s25, s25, -4
	v_lshrrev_b32_e32 v29, 1, v42
	s_add_u32 s25, s35, s25
	v_mul_lo_u32 v10, v10, s2
	v_mad_u64_u32 v[5:6], null, s8, v9, 0
	s_addc_u32 s24, s15, s24
	v_or_b32_e32 v43, 7, v13
	v_add_nc_u32_e32 v31, s14, v29
	v_lshlrev_b32_e32 v1, 10, v1
	s_cmp_eq_u64 s[18:19], 0
	v_sub_nc_u32_e32 v12, v37, v10
	v_mad_u64_u32 v[7:8], null, s9, v2, v[4:5]
	v_mul_hi_u32 v8, v35, s0
	v_lshrrev_b32_e32 v27, 1, v43
	v_mul_hi_u32 v17, v31, s0
	v_add_nc_u32_e32 v28, s14, v27
	v_mov_b32_e32 v4, v7
	v_mad_u64_u32 v[6:7], null, s9, v9, v[6:7]
	v_add_nc_u32_e32 v11, v35, v8
	v_mad_u64_u32 v[7:8], null, s8, v12, 0
	v_lshlrev_b64 v[3:4], 2, v[3:4]
	v_lshrrev_b32_e32 v11, s1, v11
	v_lshlrev_b64 v[5:6], 2, v[5:6]
	v_add_co_u32 v9, vcc_lo, s35, v3
	v_add_co_ci_u32_e64 v10, null, s15, v4, vcc_lo
	v_add_co_u32 v14, vcc_lo, s25, v3
	v_add_co_ci_u32_e64 v15, null, s24, v4, vcc_lo
	;; [unrolled: 2-line block ×3, first 2 shown]
	v_add_co_u32 v9, vcc_lo, v14, v41
	v_mul_lo_u32 v14, v11, s2
	v_add_co_ci_u32_e64 v10, null, 0, v15, vcc_lo
	v_mad_u64_u32 v[11:12], null, s9, v12, v[8:9]
	v_mul_hi_u32 v12, v33, s0
	v_add_co_u32 v15, vcc_lo, s35, v5
	v_sub_nc_u32_e32 v14, v35, v14
	v_add_co_ci_u32_e64 v16, null, s15, v6, vcc_lo
	v_mov_b32_e32 v8, v11
	v_add_co_u32 v11, vcc_lo, v15, v41
	v_add_nc_u32_e32 v13, v33, v12
	v_mad_u64_u32 v[5:6], null, s8, v14, 0
	v_lshlrev_b64 v[7:8], 2, v[7:8]
	v_add_co_ci_u32_e64 v12, null, 0, v16, vcc_lo
	v_lshrrev_b32_e32 v13, s1, v13
	v_add_nc_u32_e32 v15, v31, v17
	v_mul_hi_u32 v17, v28, s0
	v_mul_lo_u32 v16, v13, s2
	v_mad_u64_u32 v[13:14], null, s9, v14, v[6:7]
	v_lshrrev_b32_e32 v14, s1, v15
	v_add_co_u32 v15, vcc_lo, s25, v7
	v_add_co_ci_u32_e64 v18, null, s24, v8, vcc_lo
	v_sub_nc_u32_e32 v19, v33, v16
	v_add_nc_u32_e32 v16, v28, v17
	v_mul_lo_u32 v17, v14, s2
	v_mov_b32_e32 v6, v13
	v_add_co_u32 v13, vcc_lo, v15, v41
	v_lshrrev_b32_e32 v16, s1, v16
	v_mad_u64_u32 v[7:8], null, s8, v19, 0
	v_lshlrev_b64 v[5:6], 2, v[5:6]
	v_sub_nc_u32_e32 v21, v31, v17
	v_mul_lo_u32 v17, v16, s2
	v_add_co_ci_u32_e64 v14, null, 0, v18, vcc_lo
	v_add_co_u32 v20, vcc_lo, s35, v5
	v_mad_u64_u32 v[15:16], null, s8, v21, 0
	v_add_co_ci_u32_e64 v22, null, s15, v6, vcc_lo
	v_mad_u64_u32 v[5:6], null, s9, v19, v[8:9]
	v_sub_nc_u32_e32 v44, v28, v17
	v_add_co_u32 v19, vcc_lo, v20, v41
	v_mov_b32_e32 v6, v16
	v_add_co_ci_u32_e64 v20, null, 0, v22, vcc_lo
	v_mad_u64_u32 v[17:18], null, s8, v44, 0
	v_mov_b32_e32 v8, v5
	v_mad_u64_u32 v[5:6], null, s9, v21, v[6:7]
	s_clause 0x4
	global_load_dwordx2 v[3:4], v[3:4], off
	global_load_dwordx2 v[9:10], v[9:10], off
	;; [unrolled: 1-line block ×5, first 2 shown]
	v_lshlrev_b64 v[7:8], 2, v[7:8]
	v_mov_b32_e32 v6, v18
	s_load_dword s8, s[4:5], 0x40
	v_mov_b32_e32 v16, v5
	v_mad_u64_u32 v[21:22], null, s9, v44, v[6:7]
	v_add_co_u32 v7, vcc_lo, s25, v7
	v_lshlrev_b64 v[5:6], 2, v[15:16]
	v_add_co_ci_u32_e64 v8, null, s24, v8, vcc_lo
	v_add_co_u32 v7, vcc_lo, v7, v41
	v_mov_b32_e32 v18, v21
	v_add_co_ci_u32_e64 v8, null, 0, v8, vcc_lo
	v_add_co_u32 v5, vcc_lo, s35, v5
	v_lshlrev_b64 v[15:16], 2, v[17:18]
	v_add_co_ci_u32_e64 v6, null, s15, v6, vcc_lo
	v_lshl_or_b32 v17, v0, 2, 0x3400
	v_add_co_u32 v15, vcc_lo, s25, v15
	v_add_co_ci_u32_e64 v16, null, s24, v16, vcc_lo
	v_add_co_u32 v5, vcc_lo, v5, v41
	v_add_co_ci_u32_e64 v6, null, 0, v6, vcc_lo
	;; [unrolled: 2-line block ×3, first 2 shown]
	s_clause 0x2
	global_load_dwordx2 v[7:8], v[7:8], off
	global_load_dwordx2 v[5:6], v[5:6], off
	global_load_dwordx2 v[15:16], v[15:16], off
	v_add_nc_u32_e32 v18, v17, v1
	v_lshl_add_u32 v21, v23, 7, v17
	v_lshl_add_u32 v22, v24, 7, v17
	;; [unrolled: 1-line block ×6, first 2 shown]
	s_waitcnt vmcnt(7) lgkmcnt(0)
	v_fma_mixlo_f16 v4, s8, v4, 0
	s_waitcnt vmcnt(6)
	v_fma_mixlo_f16 v10, s8, v10, 0
	v_fma_mixlo_f16 v3, s8, v3, 0
	;; [unrolled: 1-line block ×3, first 2 shown]
	v_lshlrev_b32_e32 v4, 16, v4
	v_lshlrev_b32_e32 v10, 16, v10
	v_or_b32_sdwa v3, v4, v3 dst_sel:DWORD dst_unused:UNUSED_PAD src0_sel:DWORD src1_sel:WORD_0
	v_or_b32_sdwa v4, v10, v9 dst_sel:DWORD dst_unused:UNUSED_PAD src0_sel:DWORD src1_sel:WORD_0
	s_waitcnt vmcnt(5)
	v_fma_mixlo_f16 v10, s8, v12, 0
	s_waitcnt vmcnt(4)
	v_fma_mixlo_f16 v12, s8, v14, 0
	;; [unrolled: 2-line block ×3, first 2 shown]
	v_fma_mixlo_f16 v9, s8, v11, 0
	ds_write2_b32 v18, v3, v4 offset1:32
	v_lshlrev_b32_e32 v3, 16, v10
	v_fma_mixlo_f16 v11, s8, v13, 0
	v_lshlrev_b32_e32 v4, 16, v12
	v_fma_mixlo_f16 v13, s8, v19, 0
	v_lshlrev_b32_e32 v10, 16, v14
	v_or_b32_sdwa v3, v3, v9 dst_sel:DWORD dst_unused:UNUSED_PAD src0_sel:DWORD src1_sel:WORD_0
	v_or_b32_sdwa v4, v4, v11 dst_sel:DWORD dst_unused:UNUSED_PAD src0_sel:DWORD src1_sel:WORD_0
	;; [unrolled: 1-line block ×3, first 2 shown]
	s_waitcnt vmcnt(2)
	v_fma_mixlo_f16 v8, s8, v8, 0
	s_waitcnt vmcnt(1)
	v_fma_mixlo_f16 v6, s8, v6, 0
	;; [unrolled: 2-line block ×3, first 2 shown]
	v_fma_mixlo_f16 v7, s8, v7, 0
	v_fma_mixlo_f16 v5, s8, v5, 0
	v_lshlrev_b32_e32 v8, 16, v8
	v_lshlrev_b32_e32 v6, 16, v6
	v_fma_mixlo_f16 v15, s8, v15, 0
	v_lshlrev_b32_e32 v12, 16, v16
	v_or_b32_sdwa v7, v8, v7 dst_sel:DWORD dst_unused:UNUSED_PAD src0_sel:DWORD src1_sel:WORD_0
	v_or_b32_sdwa v5, v6, v5 dst_sel:DWORD dst_unused:UNUSED_PAD src0_sel:DWORD src1_sel:WORD_0
	;; [unrolled: 1-line block ×3, first 2 shown]
	ds_write_b32 v21, v3
	ds_write_b32 v22, v4
	;; [unrolled: 1-line block ×6, first 2 shown]
	s_waitcnt lgkmcnt(0)
	s_barrier
	buffer_gl0_inv
	s_cbranch_scc1 .LBB37_4
; %bb.3:
	s_load_dword s8, s[4:5], 0xd0
	s_mov_b32 s9, 0
	s_waitcnt lgkmcnt(0)
	s_mul_i32 s8, s8, s29
	s_add_i32 s8, s8, s6
	s_lshl_b64 s[8:9], s[8:9], 2
	s_add_u32 s8, s18, s8
	s_addc_u32 s9, s19, s9
	s_load_dword s34, s[8:9], 0x0
.LBB37_4:
	v_mbcnt_lo_u32_b32 v41, -1, 0
	s_lshl_b32 s8, s28, 6
	s_waitcnt lgkmcnt(0)
	s_cmp_lt_i32 s8, s34
	s_cbranch_scc1 .LBB37_7
; %bb.5:
	v_mbcnt_lo_u32_b32 v9, -1, 0
	v_mov_b32_e32 v42, 32
	v_xor_b32_e32 v49, 16, v9
	v_xor_b32_e32 v46, 8, v9
	;; [unrolled: 1-line block ×5, first 2 shown]
	s_cbranch_execz .LBB37_8
; %bb.6:
	v_mov_b32_e32 v89, 0
	v_mov_b32_e32 v47, 0
	;; [unrolled: 1-line block ×24, first 2 shown]
	s_branch .LBB37_11
.LBB37_7:
                                        ; implicit-def: $vgpr9
                                        ; implicit-def: $vgpr42
                                        ; implicit-def: $vgpr49
                                        ; implicit-def: $vgpr46
                                        ; implicit-def: $vgpr45
                                        ; implicit-def: $vgpr44
                                        ; implicit-def: $vgpr43
.LBB37_8:
	s_clause 0x1
	s_load_dwordx4 s[24:27], s[4:5], 0x98
	s_load_dwordx2 s[18:19], s[4:5], 0x8c
	s_sub_i32 s6, 0, s7
	s_abs_i32 s35, s30
	s_mul_i32 s6, s6, s33
	v_add_nc_u32_e32 v12, 1, v40
	s_mul_hi_u32 s6, s33, s6
	v_add_nc_u32_e32 v13, 2, v40
	s_add_i32 s33, s33, s6
	s_ashr_i32 s6, s39, 1
	s_ashr_i32 s39, s29, 31
	s_mul_hi_u32 s33, s35, s33
	s_ashr_i32 s38, s30, 31
	s_ashr_i32 s31, s31, 31
	s_load_dwordx2 s[40:41], s[4:5], 0xa8
	s_mul_i32 s42, s33, s7
	v_mul_hi_u32 v7, s0, v12
	v_mul_hi_u32 v8, s0, v13
	v_lshrrev_b32_e32 v3, 3, v0
	v_add_nc_u32_e32 v14, 3, v40
	s_waitcnt lgkmcnt(0)
	s_ashr_i32 s9, s26, 2
	s_ashr_i32 s15, s18, 2
	s_mul_hi_u32 s18, s24, s29
	s_mul_i32 s26, s24, s39
	s_mul_i32 s25, s25, s29
	s_add_i32 s18, s18, s26
	s_mul_i32 s24, s24, s29
	s_add_i32 s18, s18, s25
	s_add_u32 s10, s10, s24
	s_addc_u32 s11, s11, s18
	s_sub_i32 s24, s35, s42
	s_xor_b32 s18, s38, s31
	s_add_i32 s25, s33, 1
	s_sub_i32 s26, s24, s7
	s_cmp_ge_u32 s24, s7
	v_add_nc_u32_e32 v16, v12, v7
	s_cselect_b32 s25, s25, s33
	s_cselect_b32 s24, s26, s24
	s_add_i32 s26, s25, 1
	s_cmp_ge_u32 s24, s7
	v_add_nc_u32_e32 v8, v13, v8
	s_cselect_b32 s7, s26, s25
	v_add_nc_u32_e32 v9, v3, v39
	s_xor_b32 s7, s7, s18
	v_mul_hi_u32 v15, s0, v14
	s_sub_i32 s7, s7, s18
	v_lshrrev_b32_e32 v16, s1, v16
	v_lshrrev_b32_e32 v17, s1, v8
	s_mul_i32 s19, s7, s19
	s_mul_hi_u32 s24, s40, s29
	s_mul_i32 s18, s40, s39
	s_ashr_i32 s26, s19, 31
	s_add_u32 s10, s10, s19
	s_mul_i32 s25, s41, s29
	s_addc_u32 s11, s11, s26
	s_add_i32 s18, s24, s18
	v_mul_lo_u32 v3, s15, v9
	v_mul_lo_u32 v19, v16, s2
	;; [unrolled: 1-line block ×4, first 2 shown]
	s_mul_i32 s19, s40, s29
	s_add_i32 s18, s18, s25
	s_mul_i32 s7, s7, s27
	s_add_u32 s12, s12, s19
	v_add_nc_u32_e32 v15, v14, v15
	s_addc_u32 s13, s13, s18
	s_ashr_i32 s18, s7, 31
	s_add_u32 s12, s12, s7
	s_addc_u32 s13, s13, s18
	s_lshl_b32 s7, s15, 4
	s_lshl_b32 s0, s9, 4
	v_add_nc_u32_e32 v5, s7, v3
	v_lshrrev_b32_e32 v18, s1, v15
	v_sub_nc_u32_e32 v12, v12, v19
	v_add_nc_u32_e32 v19, s0, v17
	v_lshlrev_b32_e32 v48, 2, v0
	v_add_nc_u32_e32 v7, s7, v5
	v_mul_lo_u32 v18, v18, s2
	v_sub_nc_u32_e32 v13, v13, v20
	v_add_nc_u32_e32 v21, s0, v19
	v_and_b32_e32 v11, 28, v48
	v_add_nc_u32_e32 v15, s7, v7
	v_ashrrev_i32_e32 v4, 31, v3
	v_ashrrev_i32_e32 v6, 31, v5
	v_add_nc_u32_e32 v23, s0, v21
	v_lshlrev_b32_e32 v10, 2, v11
	v_sub_nc_u32_e32 v14, v14, v18
	v_ashrrev_i32_e32 v8, 31, v7
	v_ashrrev_i32_e32 v16, 31, v15
	;; [unrolled: 1-line block ×6, first 2 shown]
	v_mad_u32_u24 v50, 0x90, v9, v10
	v_mul_lo_u32 v56, v2, s6
	v_lshl_or_b32 v60, v9, 7, v10
	v_add_nc_u32_e32 v61, 0x2400, v1
	v_lshlrev_b32_e32 v2, 4, v0
	v_mul_lo_u32 v57, v12, s6
	v_mul_lo_u32 v58, v13, s6
	;; [unrolled: 1-line block ×3, first 2 shown]
	v_lshlrev_b64 v[9:10], 2, v[3:4]
	v_lshlrev_b32_e32 v65, 2, v11
	v_lshlrev_b64 v[11:12], 2, v[5:6]
	v_lshlrev_b64 v[13:14], 2, v[7:8]
	v_lshlrev_b64 v[15:16], 2, v[15:16]
	v_lshlrev_b64 v[17:18], 2, v[17:18]
	v_lshlrev_b64 v[19:20], 2, v[19:20]
	v_lshlrev_b64 v[21:22], 2, v[21:22]
	v_lshlrev_b64 v[23:24], 2, v[23:24]
	v_mov_b32_e32 v82, 0
	v_add_nc_u32_e32 v51, 0x900, v50
	v_add_nc_u32_e32 v52, 0x1200, v50
	;; [unrolled: 1-line block ×4, first 2 shown]
	v_mul_u32_u24_e32 v55, 0x90, v0
	v_add_nc_u32_e32 v62, 0x800, v60
	v_add_nc_u32_e32 v63, 0x1000, v60
	;; [unrolled: 1-line block ×3, first 2 shown]
	v_mov_b32_e32 v1, 0xfeffffff
	v_mov_b32_e32 v42, 32
	v_xor_b32_e32 v49, 16, v41
	v_xor_b32_e32 v46, 8, v41
	;; [unrolled: 1-line block ×5, first 2 shown]
	v_add_nc_u32_e32 v66, v61, v2
	v_mov_b32_e32 v67, 0x10001
	v_add_nc_u32_e32 v68, 0x400, v48
	v_add_nc_u32_e32 v69, 0x800, v48
	;; [unrolled: 1-line block ×7, first 2 shown]
	v_mov_b32_e32 v83, 0
	v_mov_b32_e32 v84, 0
	;; [unrolled: 1-line block ×22, first 2 shown]
	s_add_u32 s0, s4, 0xd0
	s_addc_u32 s1, s5, 0
.LBB37_9:                               ; =>This Inner Loop Header: Depth=1
	s_mul_hi_i32 s7, s8, s15
	s_mul_i32 s6, s8, s15
	v_mov_b32_e32 v25, v81
	s_lshl_b64 s[6:7], s[6:7], 2
	v_mov_b32_e32 v81, v80
	s_add_u32 s6, s10, s6
	v_mov_b32_e32 v80, v79
	v_mov_b32_e32 v79, v78
	;; [unrolled: 1-line block ×6, first 2 shown]
	s_addc_u32 s7, s11, s7
	v_add_co_u32 v1, vcc_lo, s6, v9
	v_mov_b32_e32 v95, v2
	v_add_co_ci_u32_e64 v2, null, s7, v10, vcc_lo
	v_add_co_u32 v1, vcc_lo, v1, v65
	v_mov_b32_e32 v93, v4
	v_add_co_ci_u32_e64 v2, null, 0, v2, vcc_lo
	v_mov_b32_e32 v94, v3
	v_mov_b32_e32 v92, v5
	;; [unrolled: 1-line block ×3, first 2 shown]
	global_load_dwordx4 v[1:4], v[1:2], off
	v_mov_b32_e32 v91, v6
	v_mov_b32_e32 v6, 0
	;; [unrolled: 1-line block ×10, first 2 shown]
	s_waitcnt vmcnt(0)
	ds_write_b128 v50, v[1:4]
	v_add_co_u32 v1, vcc_lo, s6, v11
	v_add_co_ci_u32_e64 v2, null, s7, v12, vcc_lo
	v_add_co_u32 v1, vcc_lo, v1, v65
	v_add_co_ci_u32_e64 v2, null, 0, v2, vcc_lo
	global_load_dwordx4 v[1:4], v[1:2], off
	s_waitcnt vmcnt(0)
	ds_write_b128 v51, v[1:4]
	v_add_co_u32 v1, vcc_lo, s6, v13
	v_add_co_ci_u32_e64 v2, null, s7, v14, vcc_lo
	v_add_co_u32 v1, vcc_lo, v1, v65
	v_add_co_ci_u32_e64 v2, null, 0, v2, vcc_lo
	global_load_dwordx4 v[1:4], v[1:2], off
	s_waitcnt vmcnt(0)
	ds_write_b128 v52, v[1:4]
	v_add_co_u32 v1, vcc_lo, s6, v15
	v_add_co_ci_u32_e64 v2, null, s7, v16, vcc_lo
	s_mul_hi_i32 s7, s8, s9
	v_add_co_u32 v1, vcc_lo, v1, v65
	v_add_co_ci_u32_e64 v2, null, 0, v2, vcc_lo
	v_cmp_gt_i32_e32 vcc_lo, 32, v49
	s_mul_i32 s6, s8, s9
	global_load_dwordx4 v[1:4], v[1:2], off
	s_lshl_b64 s[6:7], s[6:7], 2
	s_add_u32 s6, s12, s6
	s_addc_u32 s7, s13, s7
	s_waitcnt vmcnt(0)
	ds_write_b128 v53, v[1:4]
	s_waitcnt lgkmcnt(0)
	s_barrier
	buffer_gl0_inv
	ds_read_b128 v[96:99], v55
	ds_read_b128 v[104:107], v55 offset:4608
	ds_read_b128 v[108:111], v54
	ds_read_b128 v[112:115], v54 offset:128
	ds_read_b128 v[116:119], v54 offset:256
	ds_read_b128 v[120:123], v54 offset:384
	ds_read_b128 v[124:127], v54 offset:512
	ds_read_b128 v[128:131], v54 offset:640
	ds_read_b128 v[132:135], v54 offset:768
	ds_read_b128 v[136:139], v54 offset:896
	v_mov_b32_e32 v1, 0
	s_waitcnt lgkmcnt(7)
	;;#ASMSTART
	v_dot2_f32_f16 v1, v96, v108, v1
	;;#ASMEND
	;;#ASMSTART
	v_dot2_f32_f16 v1, v97, v109, v1
	;;#ASMEND
	;;#ASMSTART
	v_dot2_f32_f16 v1, v98, v110, v1
	;;#ASMEND
	v_mov_b32_e32 v2, 0
	;;#ASMSTART
	v_dot2_f32_f16 v1, v99, v111, v1
	;;#ASMEND
	s_waitcnt lgkmcnt(6)
	;;#ASMSTART
	v_dot2_f32_f16 v2, v96, v112, v2
	;;#ASMEND
	;;#ASMSTART
	v_dot2_f32_f16 v2, v97, v113, v2
	;;#ASMEND
	;;#ASMSTART
	v_dot2_f32_f16 v2, v98, v114, v2
	;;#ASMEND
	v_mov_b32_e32 v3, 0
	;;#ASMSTART
	v_dot2_f32_f16 v2, v99, v115, v2
	;;#ASMEND
	;; [unrolled: 14-line block ×3, first 2 shown]
	s_waitcnt lgkmcnt(4)
	;;#ASMSTART
	v_dot2_f32_f16 v4, v96, v120, v4
	;;#ASMEND
	;;#ASMSTART
	v_dot2_f32_f16 v4, v97, v121, v4
	;;#ASMEND
	;;#ASMSTART
	v_dot2_f32_f16 v4, v98, v122, v4
	;;#ASMEND
	;;#ASMSTART
	v_dot2_f32_f16 v4, v99, v123, v4
	;;#ASMEND
	s_waitcnt lgkmcnt(3)
	;;#ASMSTART
	v_dot2_f32_f16 v5, v96, v124, v5
	;;#ASMEND
	;;#ASMSTART
	v_dot2_f32_f16 v5, v97, v125, v5
	;;#ASMEND
	;;#ASMSTART
	v_dot2_f32_f16 v5, v98, v126, v5
	;;#ASMEND
	;;#ASMSTART
	v_dot2_f32_f16 v5, v99, v127, v5
	;;#ASMEND
	;; [unrolled: 13-line block ×5, first 2 shown]
	;;#ASMSTART
	v_dot2_f32_f16 v103, v104, v108, v103
	;;#ASMEND
	;;#ASMSTART
	v_dot2_f32_f16 v103, v105, v109, v103
	;;#ASMEND
	;; [unrolled: 3-line block ×15, first 2 shown]
	v_mov_b32_e32 v99, 0
	;;#ASMSTART
	v_dot2_f32_f16 v100, v107, v123, v100
	;;#ASMEND
	;;#ASMSTART
	v_dot2_f32_f16 v99, v104, v124, v99
	;;#ASMEND
	;;#ASMSTART
	v_dot2_f32_f16 v99, v105, v125, v99
	;;#ASMEND
	;;#ASMSTART
	v_dot2_f32_f16 v99, v106, v126, v99
	;;#ASMEND
	v_mov_b32_e32 v98, 0
	;;#ASMSTART
	v_dot2_f32_f16 v99, v107, v127, v99
	;;#ASMEND
	;;#ASMSTART
	v_dot2_f32_f16 v98, v104, v128, v98
	;;#ASMEND
	;;#ASMSTART
	v_dot2_f32_f16 v98, v105, v129, v98
	;;#ASMEND
	;;#ASMSTART
	v_dot2_f32_f16 v98, v106, v130, v98
	;;#ASMEND
	;; [unrolled: 13-line block ×4, first 2 shown]
	;;#ASMSTART
	v_dot2_f32_f16 v96, v107, v139, v96
	;;#ASMEND
	ds_read_b128 v[104:107], v55 offset:16
	ds_read_b128 v[108:111], v55 offset:4624
	ds_read_b128 v[112:115], v54 offset:16
	ds_read_b128 v[116:119], v54 offset:144
	ds_read_b128 v[120:123], v54 offset:272
	ds_read_b128 v[124:127], v54 offset:400
	ds_read_b128 v[128:131], v54 offset:528
	ds_read_b128 v[132:135], v54 offset:656
	ds_read_b128 v[136:139], v54 offset:784
	ds_read_b128 v[140:143], v54 offset:912
	s_waitcnt lgkmcnt(7)
	;;#ASMSTART
	v_dot2_f32_f16 v1, v104, v112, v1
	;;#ASMEND
	;;#ASMSTART
	v_dot2_f32_f16 v1, v105, v113, v1
	;;#ASMEND
	;;#ASMSTART
	v_dot2_f32_f16 v1, v106, v114, v1
	;;#ASMEND
	;;#ASMSTART
	v_dot2_f32_f16 v1, v107, v115, v1
	;;#ASMEND
	s_waitcnt lgkmcnt(6)
	;;#ASMSTART
	v_dot2_f32_f16 v2, v104, v116, v2
	;;#ASMEND
	;;#ASMSTART
	v_dot2_f32_f16 v2, v105, v117, v2
	;;#ASMEND
	;;#ASMSTART
	v_dot2_f32_f16 v2, v106, v118, v2
	;;#ASMEND
	;;#ASMSTART
	v_dot2_f32_f16 v2, v107, v119, v2
	;;#ASMEND
	;; [unrolled: 13-line block ×8, first 2 shown]
	;;#ASMSTART
	v_dot2_f32_f16 v103, v108, v112, v103
	;;#ASMEND
	;;#ASMSTART
	v_dot2_f32_f16 v103, v109, v113, v103
	;;#ASMEND
	;;#ASMSTART
	v_dot2_f32_f16 v103, v110, v114, v103
	;;#ASMEND
	;;#ASMSTART
	v_dot2_f32_f16 v103, v111, v115, v103
	;;#ASMEND
	;;#ASMSTART
	v_dot2_f32_f16 v102, v108, v116, v102
	;;#ASMEND
	;;#ASMSTART
	v_dot2_f32_f16 v102, v109, v117, v102
	;;#ASMEND
	;;#ASMSTART
	v_dot2_f32_f16 v102, v110, v118, v102
	;;#ASMEND
	;;#ASMSTART
	v_dot2_f32_f16 v102, v111, v119, v102
	;;#ASMEND
	;;#ASMSTART
	v_dot2_f32_f16 v101, v108, v120, v101
	;;#ASMEND
	;;#ASMSTART
	v_dot2_f32_f16 v101, v109, v121, v101
	;;#ASMEND
	;;#ASMSTART
	v_dot2_f32_f16 v101, v110, v122, v101
	;;#ASMEND
	;;#ASMSTART
	v_dot2_f32_f16 v101, v111, v123, v101
	;;#ASMEND
	;;#ASMSTART
	v_dot2_f32_f16 v100, v108, v124, v100
	;;#ASMEND
	;;#ASMSTART
	v_dot2_f32_f16 v100, v109, v125, v100
	;;#ASMEND
	;;#ASMSTART
	v_dot2_f32_f16 v100, v110, v126, v100
	;;#ASMEND
	;;#ASMSTART
	v_dot2_f32_f16 v100, v111, v127, v100
	;;#ASMEND
	;;#ASMSTART
	v_dot2_f32_f16 v99, v108, v128, v99
	;;#ASMEND
	;;#ASMSTART
	v_dot2_f32_f16 v99, v109, v129, v99
	;;#ASMEND
	;;#ASMSTART
	v_dot2_f32_f16 v99, v110, v130, v99
	;;#ASMEND
	;;#ASMSTART
	v_dot2_f32_f16 v99, v111, v131, v99
	;;#ASMEND
	;;#ASMSTART
	v_dot2_f32_f16 v98, v108, v132, v98
	;;#ASMEND
	;;#ASMSTART
	v_dot2_f32_f16 v98, v109, v133, v98
	;;#ASMEND
	;;#ASMSTART
	v_dot2_f32_f16 v98, v110, v134, v98
	;;#ASMEND
	;;#ASMSTART
	v_dot2_f32_f16 v98, v111, v135, v98
	;;#ASMEND
	;;#ASMSTART
	v_dot2_f32_f16 v97, v108, v136, v97
	;;#ASMEND
	;;#ASMSTART
	v_dot2_f32_f16 v97, v109, v137, v97
	;;#ASMEND
	;;#ASMSTART
	v_dot2_f32_f16 v97, v110, v138, v97
	;;#ASMEND
	;;#ASMSTART
	v_dot2_f32_f16 v97, v111, v139, v97
	;;#ASMEND
	;;#ASMSTART
	v_dot2_f32_f16 v96, v108, v140, v96
	;;#ASMEND
	;;#ASMSTART
	v_dot2_f32_f16 v96, v109, v141, v96
	;;#ASMEND
	;;#ASMSTART
	v_dot2_f32_f16 v96, v110, v142, v96
	;;#ASMEND
	;;#ASMSTART
	v_dot2_f32_f16 v96, v111, v143, v96
	;;#ASMEND
	ds_read_b128 v[104:107], v55 offset:32
	ds_read_b128 v[108:111], v55 offset:4640
	ds_read_b128 v[112:115], v54 offset:32
	ds_read_b128 v[116:119], v54 offset:160
	ds_read_b128 v[120:123], v54 offset:288
	ds_read_b128 v[124:127], v54 offset:416
	ds_read_b128 v[128:131], v54 offset:544
	ds_read_b128 v[132:135], v54 offset:672
	ds_read_b128 v[136:139], v54 offset:800
	ds_read_b128 v[140:143], v54 offset:928
	s_waitcnt lgkmcnt(7)
	;;#ASMSTART
	v_dot2_f32_f16 v1, v104, v112, v1
	;;#ASMEND
	;;#ASMSTART
	v_dot2_f32_f16 v1, v105, v113, v1
	;;#ASMEND
	;;#ASMSTART
	v_dot2_f32_f16 v1, v106, v114, v1
	;;#ASMEND
	;;#ASMSTART
	v_dot2_f32_f16 v1, v107, v115, v1
	;;#ASMEND
	s_waitcnt lgkmcnt(6)
	;;#ASMSTART
	v_dot2_f32_f16 v2, v104, v116, v2
	;;#ASMEND
	;;#ASMSTART
	v_dot2_f32_f16 v2, v105, v117, v2
	;;#ASMEND
	;;#ASMSTART
	v_dot2_f32_f16 v2, v106, v118, v2
	;;#ASMEND
	;;#ASMSTART
	v_dot2_f32_f16 v2, v107, v119, v2
	;;#ASMEND
	;; [unrolled: 13-line block ×8, first 2 shown]
	;;#ASMSTART
	v_dot2_f32_f16 v103, v108, v112, v103
	;;#ASMEND
	;;#ASMSTART
	v_dot2_f32_f16 v103, v109, v113, v103
	;;#ASMEND
	;; [unrolled: 3-line block ×32, first 2 shown]
	ds_read_b128 v[104:107], v55 offset:48
	ds_read_b128 v[108:111], v55 offset:4656
	;; [unrolled: 1-line block ×10, first 2 shown]
	s_waitcnt lgkmcnt(7)
	;;#ASMSTART
	v_dot2_f32_f16 v1, v104, v112, v1
	;;#ASMEND
	;;#ASMSTART
	v_dot2_f32_f16 v1, v105, v113, v1
	;;#ASMEND
	;;#ASMSTART
	v_dot2_f32_f16 v1, v106, v114, v1
	;;#ASMEND
	;;#ASMSTART
	v_dot2_f32_f16 v1, v107, v115, v1
	;;#ASMEND
	s_waitcnt lgkmcnt(6)
	;;#ASMSTART
	v_dot2_f32_f16 v2, v104, v116, v2
	;;#ASMEND
	;;#ASMSTART
	v_dot2_f32_f16 v2, v105, v117, v2
	;;#ASMEND
	;;#ASMSTART
	v_dot2_f32_f16 v2, v106, v118, v2
	;;#ASMEND
	;;#ASMSTART
	v_dot2_f32_f16 v2, v107, v119, v2
	;;#ASMEND
	;; [unrolled: 13-line block ×8, first 2 shown]
	;;#ASMSTART
	v_dot2_f32_f16 v103, v108, v112, v103
	;;#ASMEND
	;;#ASMSTART
	v_dot2_f32_f16 v103, v109, v113, v103
	;;#ASMEND
	;; [unrolled: 3-line block ×32, first 2 shown]
	ds_read_b128 v[104:107], v55 offset:64
	ds_read_b128 v[108:111], v55 offset:4672
	;; [unrolled: 1-line block ×10, first 2 shown]
	s_waitcnt lgkmcnt(7)
	;;#ASMSTART
	v_dot2_f32_f16 v1, v104, v112, v1
	;;#ASMEND
	;;#ASMSTART
	v_dot2_f32_f16 v1, v105, v113, v1
	;;#ASMEND
	;;#ASMSTART
	v_dot2_f32_f16 v1, v106, v114, v1
	;;#ASMEND
	;;#ASMSTART
	v_dot2_f32_f16 v1, v107, v115, v1
	;;#ASMEND
	s_waitcnt lgkmcnt(6)
	;;#ASMSTART
	v_dot2_f32_f16 v2, v104, v116, v2
	;;#ASMEND
	;;#ASMSTART
	v_dot2_f32_f16 v2, v105, v117, v2
	;;#ASMEND
	;;#ASMSTART
	v_dot2_f32_f16 v2, v106, v118, v2
	;;#ASMEND
	;;#ASMSTART
	v_dot2_f32_f16 v2, v107, v119, v2
	;;#ASMEND
	;; [unrolled: 13-line block ×8, first 2 shown]
	;;#ASMSTART
	v_dot2_f32_f16 v103, v108, v112, v103
	;;#ASMEND
	;;#ASMSTART
	v_dot2_f32_f16 v103, v109, v113, v103
	;;#ASMEND
	;; [unrolled: 3-line block ×32, first 2 shown]
	ds_read_b128 v[104:107], v55 offset:80
	ds_read_b128 v[108:111], v55 offset:4688
	ds_read_b128 v[112:115], v54 offset:80
	ds_read_b128 v[116:119], v54 offset:208
	ds_read_b128 v[120:123], v54 offset:336
	ds_read_b128 v[124:127], v54 offset:464
	ds_read_b128 v[128:131], v54 offset:592
	ds_read_b128 v[132:135], v54 offset:720
	ds_read_b128 v[136:139], v54 offset:848
	ds_read_b128 v[140:143], v54 offset:976
	s_waitcnt lgkmcnt(7)
	;;#ASMSTART
	v_dot2_f32_f16 v1, v104, v112, v1
	;;#ASMEND
	;;#ASMSTART
	v_dot2_f32_f16 v1, v105, v113, v1
	;;#ASMEND
	;;#ASMSTART
	v_dot2_f32_f16 v1, v106, v114, v1
	;;#ASMEND
	;;#ASMSTART
	v_dot2_f32_f16 v1, v107, v115, v1
	;;#ASMEND
	s_waitcnt lgkmcnt(6)
	;;#ASMSTART
	v_dot2_f32_f16 v2, v104, v116, v2
	;;#ASMEND
	;;#ASMSTART
	v_dot2_f32_f16 v2, v105, v117, v2
	;;#ASMEND
	;;#ASMSTART
	v_dot2_f32_f16 v2, v106, v118, v2
	;;#ASMEND
	;;#ASMSTART
	v_dot2_f32_f16 v2, v107, v119, v2
	;;#ASMEND
	;; [unrolled: 13-line block ×8, first 2 shown]
	;;#ASMSTART
	v_dot2_f32_f16 v103, v108, v112, v103
	;;#ASMEND
	;;#ASMSTART
	v_dot2_f32_f16 v103, v109, v113, v103
	;;#ASMEND
	;; [unrolled: 3-line block ×32, first 2 shown]
	ds_read_b128 v[104:107], v55 offset:96
	ds_read_b128 v[108:111], v55 offset:4704
	;; [unrolled: 1-line block ×10, first 2 shown]
	s_waitcnt lgkmcnt(7)
	;;#ASMSTART
	v_dot2_f32_f16 v1, v104, v112, v1
	;;#ASMEND
	;;#ASMSTART
	v_dot2_f32_f16 v1, v105, v113, v1
	;;#ASMEND
	;;#ASMSTART
	v_dot2_f32_f16 v1, v106, v114, v1
	;;#ASMEND
	;;#ASMSTART
	v_dot2_f32_f16 v1, v107, v115, v1
	;;#ASMEND
	s_waitcnt lgkmcnt(6)
	;;#ASMSTART
	v_dot2_f32_f16 v2, v104, v116, v2
	;;#ASMEND
	;;#ASMSTART
	v_dot2_f32_f16 v2, v105, v117, v2
	;;#ASMEND
	;;#ASMSTART
	v_dot2_f32_f16 v2, v106, v118, v2
	;;#ASMEND
	;;#ASMSTART
	v_dot2_f32_f16 v2, v107, v119, v2
	;;#ASMEND
	;; [unrolled: 13-line block ×8, first 2 shown]
	;;#ASMSTART
	v_dot2_f32_f16 v103, v108, v112, v103
	;;#ASMEND
	;;#ASMSTART
	v_dot2_f32_f16 v103, v109, v113, v103
	;;#ASMEND
	;; [unrolled: 3-line block ×32, first 2 shown]
	ds_read_b128 v[104:107], v55 offset:112
	ds_read_b128 v[108:111], v55 offset:4720
	;; [unrolled: 1-line block ×10, first 2 shown]
	s_waitcnt lgkmcnt(7)
	;;#ASMSTART
	v_dot2_f32_f16 v1, v104, v112, v1
	;;#ASMEND
	;;#ASMSTART
	v_dot2_f32_f16 v1, v105, v113, v1
	;;#ASMEND
	;;#ASMSTART
	v_dot2_f32_f16 v1, v106, v114, v1
	;;#ASMEND
	;;#ASMSTART
	v_dot2_f32_f16 v1, v107, v115, v1
	;;#ASMEND
	s_waitcnt lgkmcnt(6)
	;;#ASMSTART
	v_dot2_f32_f16 v2, v104, v116, v2
	;;#ASMEND
	;;#ASMSTART
	v_dot2_f32_f16 v2, v105, v117, v2
	;;#ASMEND
	;;#ASMSTART
	v_dot2_f32_f16 v2, v106, v118, v2
	;;#ASMEND
	;;#ASMSTART
	v_dot2_f32_f16 v2, v107, v119, v2
	;;#ASMEND
	;; [unrolled: 13-line block ×7, first 2 shown]
	s_waitcnt lgkmcnt(0)
	;;#ASMSTART
	v_dot2_f32_f16 v8, v104, v140, v8
	;;#ASMEND
	v_cndmask_b32_e32 v104, v41, v49, vcc_lo
	v_cmp_gt_i32_e32 vcc_lo, 32, v46
	;;#ASMSTART
	v_dot2_f32_f16 v8, v105, v141, v8
	;;#ASMEND
	;;#ASMSTART
	v_dot2_f32_f16 v8, v106, v142, v8
	;;#ASMEND
	;; [unrolled: 3-line block ×5, first 2 shown]
	v_lshlrev_b32_e32 v113, 2, v104
	v_cndmask_b32_e32 v104, v41, v46, vcc_lo
	v_cmp_gt_i32_e32 vcc_lo, 32, v45
	;;#ASMSTART
	v_dot2_f32_f16 v103, v110, v114, v103
	;;#ASMEND
	;;#ASMSTART
	v_dot2_f32_f16 v103, v111, v115, v103
	;;#ASMEND
	;; [unrolled: 3-line block ×3, first 2 shown]
	v_lshlrev_b32_e32 v114, 2, v104
	v_cndmask_b32_e32 v104, v41, v45, vcc_lo
	v_cmp_gt_i32_e32 vcc_lo, 32, v44
	v_add_nc_u32_e32 v107, s8, v0
	;;#ASMSTART
	v_dot2_f32_f16 v102, v109, v117, v102
	;;#ASMEND
	;;#ASMSTART
	v_dot2_f32_f16 v102, v110, v118, v102
	;;#ASMEND
	v_lshlrev_b32_e32 v115, 2, v104
	v_cndmask_b32_e32 v104, v41, v44, vcc_lo
	v_cmp_gt_i32_e32 vcc_lo, 32, v43
	;;#ASMSTART
	v_dot2_f32_f16 v102, v111, v119, v102
	;;#ASMEND
	;;#ASMSTART
	v_dot2_f32_f16 v101, v108, v120, v101
	;;#ASMEND
	;; [unrolled: 3-line block ×3, first 2 shown]
	v_lshlrev_b32_e32 v116, 2, v104
	v_cndmask_b32_e32 v104, v41, v43, vcc_lo
	;;#ASMSTART
	v_dot2_f32_f16 v101, v110, v122, v101
	;;#ASMEND
	;;#ASMSTART
	v_dot2_f32_f16 v101, v111, v123, v101
	;;#ASMEND
	;; [unrolled: 3-line block ×4, first 2 shown]
	v_lshlrev_b32_e32 v117, 2, v104
	v_add_nc_u32_e32 v104, v107, v56
	;;#ASMSTART
	v_dot2_f32_f16 v100, v110, v126, v100
	;;#ASMEND
	;;#ASMSTART
	v_dot2_f32_f16 v100, v111, v127, v100
	;;#ASMEND
	;; [unrolled: 3-line block ×4, first 2 shown]
	v_ashrrev_i32_e32 v105, 31, v104
	;;#ASMSTART
	v_dot2_f32_f16 v99, v110, v130, v99
	;;#ASMEND
	;;#ASMSTART
	v_dot2_f32_f16 v99, v111, v131, v99
	;;#ASMEND
	;; [unrolled: 3-line block ×4, first 2 shown]
	v_lshlrev_b64 v[104:105], 1, v[104:105]
	;;#ASMSTART
	v_dot2_f32_f16 v98, v110, v134, v98
	;;#ASMEND
	;;#ASMSTART
	v_dot2_f32_f16 v98, v111, v135, v98
	;;#ASMEND
	;; [unrolled: 3-line block ×5, first 2 shown]
	v_add_co_u32 v104, vcc_lo, s36, v104
	v_add_co_ci_u32_e64 v105, null, s37, v105, vcc_lo
	;;#ASMSTART
	v_dot2_f32_f16 v97, v111, v139, v97
	;;#ASMEND
	;;#ASMSTART
	v_dot2_f32_f16 v96, v108, v140, v96
	;;#ASMEND
	;; [unrolled: 3-line block ×5, first 2 shown]
	s_clause 0x1
	global_load_ushort v106, v[104:105], off
	global_load_ushort v104, v[104:105], off offset:64
	s_waitcnt vmcnt(1)
	v_cvt_f32_f16_e32 v106, v106
	s_waitcnt vmcnt(0)
	v_cvt_f32_f16_e32 v104, v104
	v_add_f32_e32 v118, v1, v106
	v_add_f32_e32 v119, v103, v104
	;; [unrolled: 1-line block ×7, first 2 shown]
	v_max3_f32 v1, v75, v1, v103
	ds_bpermute_b32 v103, v113, v1
	s_waitcnt lgkmcnt(0)
	v_max_f32_e32 v103, v103, v103
	v_max_f32_e32 v1, v1, v103
	ds_bpermute_b32 v103, v114, v1
	s_waitcnt lgkmcnt(0)
	v_max_f32_e32 v103, v103, v103
	v_max_f32_e32 v1, v1, v103
	;; [unrolled: 4-line block ×5, first 2 shown]
	v_add_f32_e32 v103, 0x40051340, v102
	v_max3_f32 v2, v95, v2, v103
	ds_bpermute_b32 v103, v113, v2
	s_waitcnt lgkmcnt(0)
	v_max_f32_e32 v103, v103, v103
	v_max_f32_e32 v2, v2, v103
	ds_bpermute_b32 v103, v114, v2
	s_waitcnt lgkmcnt(0)
	v_max_f32_e32 v103, v103, v103
	v_max_f32_e32 v2, v2, v103
	;; [unrolled: 4-line block ×5, first 2 shown]
	v_add_nc_u32_e32 v103, v107, v57
	v_ashrrev_i32_e32 v104, 31, v103
	v_lshlrev_b64 v[103:104], 1, v[103:104]
	v_add_co_u32 v103, vcc_lo, s36, v103
	v_add_co_ci_u32_e64 v104, null, s37, v104, vcc_lo
	s_clause 0x1
	global_load_ushort v105, v[103:104], off
	global_load_ushort v103, v[103:104], off offset:64
	s_waitcnt vmcnt(1)
	v_cvt_f32_f16_e32 v105, v105
	s_waitcnt vmcnt(0)
	v_cvt_f32_f16_e32 v103, v103
	v_add_f32_e32 v106, v4, v105
	v_add_f32_e32 v109, v100, v103
	;; [unrolled: 1-line block ×8, first 2 shown]
	v_max3_f32 v4, v93, v4, v100
	v_max3_f32 v3, v94, v3, v101
	ds_bpermute_b32 v100, v113, v4
	ds_bpermute_b32 v101, v113, v3
	s_waitcnt lgkmcnt(1)
	v_max_f32_e32 v100, v100, v100
	s_waitcnt lgkmcnt(0)
	v_max_f32_e32 v101, v101, v101
	v_max_f32_e32 v4, v4, v100
	v_max_f32_e32 v3, v3, v101
	ds_bpermute_b32 v100, v114, v4
	ds_bpermute_b32 v101, v114, v3
	s_waitcnt lgkmcnt(1)
	v_max_f32_e32 v100, v100, v100
	s_waitcnt lgkmcnt(0)
	v_max_f32_e32 v101, v101, v101
	v_max_f32_e32 v4, v4, v100
	v_max_f32_e32 v3, v3, v101
	;; [unrolled: 8-line block ×4, first 2 shown]
	ds_bpermute_b32 v100, v117, v4
	ds_bpermute_b32 v101, v117, v3
	s_waitcnt lgkmcnt(1)
	v_max_f32_e32 v100, v100, v100
	s_waitcnt lgkmcnt(0)
	v_max_f32_e32 v101, v101, v101
	v_max_f32_e32 v4, v4, v100
	v_add_nc_u32_e32 v100, v107, v58
	v_max_f32_e32 v3, v3, v101
	v_add_nc_u32_e32 v107, v107, v59
	v_ashrrev_i32_e32 v101, 31, v100
	v_ashrrev_i32_e32 v108, 31, v107
	v_lshlrev_b64 v[100:101], 1, v[100:101]
	v_lshlrev_b64 v[107:108], 1, v[107:108]
	v_add_co_u32 v100, vcc_lo, s36, v100
	v_add_co_ci_u32_e64 v101, null, s37, v101, vcc_lo
	v_add_co_u32 v111, vcc_lo, s36, v107
	v_add_co_ci_u32_e64 v112, null, s37, v108, vcc_lo
	s_clause 0x1
	global_load_ushort v103, v[100:101], off
	global_load_ushort v100, v[100:101], off offset:64
	s_waitcnt vmcnt(1)
	v_cvt_f32_f16_e32 v104, v103
	s_waitcnt vmcnt(0)
	v_cvt_f32_f16_e32 v100, v100
	v_add_f32_e32 v105, v5, v104
	v_add_f32_e32 v103, v99, v100
	;; [unrolled: 1-line block ×6, first 2 shown]
	v_max3_f32 v5, v92, v5, v99
	ds_bpermute_b32 v99, v113, v5
	s_waitcnt lgkmcnt(0)
	v_max_f32_e32 v99, v99, v99
	v_max_f32_e32 v5, v5, v99
	ds_bpermute_b32 v99, v114, v5
	s_waitcnt lgkmcnt(0)
	v_max_f32_e32 v99, v99, v99
	v_max_f32_e32 v5, v5, v99
	;; [unrolled: 4-line block ×5, first 2 shown]
	v_add_f32_e32 v99, v98, v100
	global_load_ushort v100, v[111:112], off offset:64
	v_add_f32_e32 v98, 0x40051340, v99
	v_max3_f32 v6, v91, v6, v98
	ds_bpermute_b32 v98, v113, v6
	s_waitcnt lgkmcnt(0)
	v_max_f32_e32 v98, v98, v98
	v_max_f32_e32 v6, v6, v98
	ds_bpermute_b32 v98, v114, v6
	s_waitcnt lgkmcnt(0)
	v_max_f32_e32 v98, v98, v98
	v_max_f32_e32 v6, v6, v98
	;; [unrolled: 4-line block ×5, first 2 shown]
	global_load_ushort v98, v[111:112], off
	s_waitcnt vmcnt(0)
	s_barrier
	buffer_gl0_inv
	v_sub_f32_e32 v99, v99, v6
	v_sub_f32_e32 v91, v91, v6
	v_cvt_f32_f16_e32 v100, v100
	v_add_f32_e32 v107, v97, v100
	v_add_f32_e32 v100, v96, v100
	;; [unrolled: 1-line block ×4, first 2 shown]
	v_cvt_f32_f16_e32 v98, v98
	v_add_f32_e32 v104, v8, v98
	v_add_f32_e32 v108, v7, v98
	v_sub_f32_e32 v98, v75, v1
	v_sub_f32_e32 v75, v118, v1
	v_add_f32_e32 v8, 0x40051340, v104
	v_add_f32_e32 v7, 0x40051340, v108
	v_cmp_ngt_f32_e32 vcc_lo, 0xc2ce8ed0, v75
	v_max3_f32 v8, v26, v8, v96
	v_max3_f32 v7, v90, v7, v97
	ds_bpermute_b32 v96, v113, v8
	ds_bpermute_b32 v97, v113, v7
	s_waitcnt lgkmcnt(1)
	v_max_f32_e32 v96, v96, v96
	s_waitcnt lgkmcnt(0)
	v_max_f32_e32 v97, v97, v97
	v_max_f32_e32 v8, v8, v96
	v_max_f32_e32 v7, v7, v97
	ds_bpermute_b32 v96, v114, v8
	ds_bpermute_b32 v97, v114, v7
	s_waitcnt lgkmcnt(1)
	v_max_f32_e32 v96, v96, v96
	s_waitcnt lgkmcnt(0)
	v_max_f32_e32 v97, v97, v97
	v_max_f32_e32 v8, v8, v96
	v_max_f32_e32 v7, v7, v97
	;; [unrolled: 8-line block ×4, first 2 shown]
	ds_bpermute_b32 v96, v117, v8
	ds_bpermute_b32 v97, v117, v7
	s_waitcnt lgkmcnt(1)
	v_max_f32_e32 v96, v96, v96
	s_waitcnt lgkmcnt(0)
	v_max_f32_e32 v97, v97, v97
	v_max_f32_e32 v8, v8, v96
	v_mul_f32_e32 v96, 0x3fb8aa3b, v75
	v_max_f32_e32 v7, v7, v97
	v_sub_f32_e32 v26, v26, v8
	v_fma_f32 v97, 0x3fb8aa3b, v75, -v96
	v_rndne_f32_e32 v111, v96
	v_sub_f32_e32 v90, v90, v7
	v_fmac_f32_e32 v97, 0x32a5705f, v75
	v_sub_f32_e32 v96, v96, v111
	v_add_f32_e32 v96, v96, v97
	v_cvt_i32_f32_e32 v97, v111
	v_exp_f32_e32 v96, v96
	v_ldexp_f32 v96, v96, v97
	v_cndmask_b32_e32 v96, 0, v96, vcc_lo
	v_cmp_nlt_f32_e32 vcc_lo, 0x42b17218, v75
	v_cndmask_b32_e32 v75, 0x7f800000, v96, vcc_lo
	v_sub_f32_e32 v96, v119, v1
	v_cvt_f16_f32_e32 v97, v75
	v_mul_f32_e32 v111, 0x3fb8aa3b, v96
	v_cmp_ngt_f32_e32 vcc_lo, 0xc2ce8ed0, v96
	v_fma_f32 v112, 0x3fb8aa3b, v96, -v111
	v_rndne_f32_e32 v113, v111
	v_fmac_f32_e32 v112, 0x32a5705f, v96
	v_sub_f32_e32 v111, v111, v113
	v_add_f32_e32 v111, v111, v112
	v_cvt_i32_f32_e32 v112, v113
	v_exp_f32_e32 v111, v111
	v_ldexp_f32 v111, v111, v112
	v_cndmask_b32_e32 v111, 0, v111, vcc_lo
	v_cmp_nlt_f32_e32 vcc_lo, 0x42b17218, v96
	v_cndmask_b32_e32 v96, 0x7f800000, v111, vcc_lo
	v_mul_f32_e32 v111, 0x3fb8aa3b, v98
	v_cmp_ngt_f32_e32 vcc_lo, 0xc2ce8ed0, v98
	v_add_f32_e32 v75, v75, v96
	v_fma_f32 v112, 0x3fb8aa3b, v98, -v111
	v_rndne_f32_e32 v113, v111
	v_cvt_f16_f32_e32 v96, v96
	v_fmac_f32_e32 v112, 0x32a5705f, v98
	v_sub_f32_e32 v111, v111, v113
	v_add_f32_e32 v111, v111, v112
	v_cvt_i32_f32_e32 v112, v113
	v_exp_f32_e32 v111, v111
	v_ldexp_f32 v111, v111, v112
	v_cndmask_b32_e32 v111, 0, v111, vcc_lo
	v_cmp_nlt_f32_e32 vcc_lo, 0x42b17218, v98
	v_cndmask_b32_e32 v98, 0x7f800000, v111, vcc_lo
	v_sub_f32_e32 v111, v95, v2
	v_fmac_f32_e32 v75, v76, v98
	v_cvt_f16_f32_e32 v76, v98
	v_mul_u32_u24_sdwa v76, v76, v67 dst_sel:DWORD dst_unused:UNUSED_PAD src0_sel:WORD_0 src1_sel:DWORD
	v_pk_mul_f16 v89, v89, v76
	v_sub_f32_e32 v76, v110, v2
	v_mul_f32_e32 v95, 0x3fb8aa3b, v76
	v_cmp_ngt_f32_e32 vcc_lo, 0xc2ce8ed0, v76
	v_fma_f32 v98, 0x3fb8aa3b, v76, -v95
	v_rndne_f32_e32 v110, v95
	v_fmac_f32_e32 v98, 0x32a5705f, v76
	v_sub_f32_e32 v95, v95, v110
	v_add_f32_e32 v95, v95, v98
	v_cvt_i32_f32_e32 v98, v110
	v_exp_f32_e32 v95, v95
	v_ldexp_f32 v95, v95, v98
	v_cndmask_b32_e32 v95, 0, v95, vcc_lo
	v_cmp_nlt_f32_e32 vcc_lo, 0x42b17218, v76
	v_cndmask_b32_e32 v76, 0x7f800000, v95, vcc_lo
	v_sub_f32_e32 v95, v102, v2
	v_cvt_f16_f32_e32 v98, v76
	v_mul_f32_e32 v102, 0x3fb8aa3b, v95
	v_cmp_ngt_f32_e32 vcc_lo, 0xc2ce8ed0, v95
	v_pack_b32_f16 v98, v97, v98
	v_fma_f32 v110, 0x3fb8aa3b, v95, -v102
	v_rndne_f32_e32 v112, v102
	v_fmac_f32_e32 v110, 0x32a5705f, v95
	v_sub_f32_e32 v102, v102, v112
	v_add_f32_e32 v102, v102, v110
	v_cvt_i32_f32_e32 v110, v112
	v_exp_f32_e32 v102, v102
	v_ldexp_f32 v102, v102, v110
	v_cndmask_b32_e32 v102, 0, v102, vcc_lo
	v_cmp_nlt_f32_e32 vcc_lo, 0x42b17218, v95
	v_cndmask_b32_e32 v95, 0x7f800000, v102, vcc_lo
	v_mul_f32_e32 v102, 0x3fb8aa3b, v111
	v_cmp_ngt_f32_e32 vcc_lo, 0xc2ce8ed0, v111
	v_add_f32_e32 v76, v76, v95
	v_fma_f32 v110, 0x3fb8aa3b, v111, -v102
	v_rndne_f32_e32 v112, v102
	v_cvt_f16_f32_e32 v95, v95
	v_fmac_f32_e32 v110, 0x32a5705f, v111
	v_sub_f32_e32 v102, v102, v112
	v_pack_b32_f16 v96, v96, v95
	v_add_f32_e32 v102, v102, v110
	v_cvt_i32_f32_e32 v110, v112
	v_exp_f32_e32 v102, v102
	v_ldexp_f32 v102, v102, v110
	v_sub_f32_e32 v110, v94, v3
	v_cndmask_b32_e32 v102, 0, v102, vcc_lo
	v_cmp_nlt_f32_e32 vcc_lo, 0x42b17218, v111
	v_cndmask_b32_e32 v102, 0x7f800000, v102, vcc_lo
	v_fmac_f32_e32 v76, v77, v102
	v_cvt_f16_f32_e32 v77, v102
	v_mul_u32_u24_sdwa v77, v77, v67 dst_sel:DWORD dst_unused:UNUSED_PAD src0_sel:WORD_0 src1_sel:DWORD
	v_pk_mul_f16 v88, v88, v77
	v_sub_f32_e32 v77, v120, v3
	v_mul_f32_e32 v94, 0x3fb8aa3b, v77
	v_cmp_ngt_f32_e32 vcc_lo, 0xc2ce8ed0, v77
	v_fma_f32 v102, 0x3fb8aa3b, v77, -v94
	v_rndne_f32_e32 v111, v94
	v_fmac_f32_e32 v102, 0x32a5705f, v77
	v_sub_f32_e32 v94, v94, v111
	v_add_f32_e32 v94, v94, v102
	v_cvt_i32_f32_e32 v102, v111
	v_exp_f32_e32 v94, v94
	v_ldexp_f32 v94, v94, v102
	v_cndmask_b32_e32 v94, 0, v94, vcc_lo
	v_cmp_nlt_f32_e32 vcc_lo, 0x42b17218, v77
	v_cndmask_b32_e32 v77, 0x7f800000, v94, vcc_lo
	v_sub_f32_e32 v94, v121, v3
	v_cvt_f16_f32_e32 v102, v77
	v_mul_f32_e32 v111, 0x3fb8aa3b, v94
	v_cmp_ngt_f32_e32 vcc_lo, 0xc2ce8ed0, v94
	v_fma_f32 v112, 0x3fb8aa3b, v94, -v111
	v_rndne_f32_e32 v113, v111
	v_fmac_f32_e32 v112, 0x32a5705f, v94
	v_sub_f32_e32 v111, v111, v113
	v_add_f32_e32 v111, v111, v112
	v_cvt_i32_f32_e32 v112, v113
	v_exp_f32_e32 v111, v111
	v_ldexp_f32 v111, v111, v112
	v_cndmask_b32_e32 v111, 0, v111, vcc_lo
	v_cmp_nlt_f32_e32 vcc_lo, 0x42b17218, v94
	v_cndmask_b32_e32 v94, 0x7f800000, v111, vcc_lo
	v_mul_f32_e32 v111, 0x3fb8aa3b, v110
	v_cmp_ngt_f32_e32 vcc_lo, 0xc2ce8ed0, v110
	v_add_f32_e32 v77, v77, v94
	v_fma_f32 v112, 0x3fb8aa3b, v110, -v111
	v_rndne_f32_e32 v113, v111
	v_cvt_f16_f32_e32 v94, v94
	v_fmac_f32_e32 v112, 0x32a5705f, v110
	v_sub_f32_e32 v111, v111, v113
	v_add_f32_e32 v111, v111, v112
	v_cvt_i32_f32_e32 v112, v113
	v_exp_f32_e32 v111, v111
	v_ldexp_f32 v111, v111, v112
	v_cndmask_b32_e32 v111, 0, v111, vcc_lo
	v_cmp_nlt_f32_e32 vcc_lo, 0x42b17218, v110
	v_cndmask_b32_e32 v110, 0x7f800000, v111, vcc_lo
	v_fmac_f32_e32 v77, v78, v110
	v_cvt_f16_f32_e32 v78, v110
	v_sub_f32_e32 v110, v93, v4
	v_mul_u32_u24_sdwa v78, v78, v67 dst_sel:DWORD dst_unused:UNUSED_PAD src0_sel:WORD_0 src1_sel:DWORD
	v_pk_mul_f16 v87, v87, v78
	v_sub_f32_e32 v78, v106, v4
	v_mul_f32_e32 v93, 0x3fb8aa3b, v78
	v_cmp_ngt_f32_e32 vcc_lo, 0xc2ce8ed0, v78
	v_fma_f32 v106, 0x3fb8aa3b, v78, -v93
	v_rndne_f32_e32 v111, v93
	v_fmac_f32_e32 v106, 0x32a5705f, v78
	v_sub_f32_e32 v93, v93, v111
	v_add_f32_e32 v93, v93, v106
	v_cvt_i32_f32_e32 v106, v111
	v_exp_f32_e32 v93, v93
	v_ldexp_f32 v93, v93, v106
	v_cndmask_b32_e32 v93, 0, v93, vcc_lo
	v_cmp_nlt_f32_e32 vcc_lo, 0x42b17218, v78
	v_cndmask_b32_e32 v78, 0x7f800000, v93, vcc_lo
	v_sub_f32_e32 v93, v109, v4
	v_cvt_f16_f32_e32 v106, v78
	v_mul_f32_e32 v109, 0x3fb8aa3b, v93
	v_cmp_ngt_f32_e32 vcc_lo, 0xc2ce8ed0, v93
	v_fma_f32 v111, 0x3fb8aa3b, v93, -v109
	v_rndne_f32_e32 v112, v109
	v_fmac_f32_e32 v111, 0x32a5705f, v93
	v_sub_f32_e32 v109, v109, v112
	v_add_f32_e32 v109, v109, v111
	v_cvt_i32_f32_e32 v111, v112
	v_exp_f32_e32 v109, v109
	v_ldexp_f32 v109, v109, v111
	v_cndmask_b32_e32 v109, 0, v109, vcc_lo
	v_cmp_nlt_f32_e32 vcc_lo, 0x42b17218, v93
	v_cndmask_b32_e32 v93, 0x7f800000, v109, vcc_lo
	v_mul_f32_e32 v109, 0x3fb8aa3b, v110
	v_cmp_ngt_f32_e32 vcc_lo, 0xc2ce8ed0, v110
	v_add_f32_e32 v78, v78, v93
	v_fma_f32 v111, 0x3fb8aa3b, v110, -v109
	v_rndne_f32_e32 v112, v109
	v_cvt_f16_f32_e32 v93, v93
	v_fmac_f32_e32 v111, 0x32a5705f, v110
	v_sub_f32_e32 v109, v109, v112
	v_pack_b32_f16 v97, v94, v93
	v_add_f32_e32 v109, v109, v111
	v_cvt_i32_f32_e32 v111, v112
	v_exp_f32_e32 v109, v109
	v_ldexp_f32 v109, v109, v111
	v_cndmask_b32_e32 v109, 0, v109, vcc_lo
	v_cmp_nlt_f32_e32 vcc_lo, 0x42b17218, v110
	v_cndmask_b32_e32 v109, 0x7f800000, v109, vcc_lo
	v_fmac_f32_e32 v78, v79, v109
	v_cvt_f16_f32_e32 v79, v109
	v_sub_f32_e32 v109, v92, v5
	v_mul_u32_u24_sdwa v79, v79, v67 dst_sel:DWORD dst_unused:UNUSED_PAD src0_sel:WORD_0 src1_sel:DWORD
	v_pk_mul_f16 v86, v86, v79
	v_sub_f32_e32 v79, v105, v5
	v_mul_f32_e32 v92, 0x3fb8aa3b, v79
	v_cmp_ngt_f32_e32 vcc_lo, 0xc2ce8ed0, v79
	v_fma_f32 v105, 0x3fb8aa3b, v79, -v92
	v_rndne_f32_e32 v110, v92
	v_fmac_f32_e32 v105, 0x32a5705f, v79
	v_sub_f32_e32 v92, v92, v110
	v_add_f32_e32 v92, v92, v105
	v_cvt_i32_f32_e32 v105, v110
	v_exp_f32_e32 v92, v92
	v_ldexp_f32 v92, v92, v105
	v_cndmask_b32_e32 v92, 0, v92, vcc_lo
	v_cmp_nlt_f32_e32 vcc_lo, 0x42b17218, v79
	v_cndmask_b32_e32 v79, 0x7f800000, v92, vcc_lo
	v_sub_f32_e32 v92, v103, v5
	v_cvt_f16_f32_e32 v105, v79
	v_mul_f32_e32 v103, 0x3fb8aa3b, v92
	v_cmp_ngt_f32_e32 vcc_lo, 0xc2ce8ed0, v92
	v_fma_f32 v110, 0x3fb8aa3b, v92, -v103
	v_rndne_f32_e32 v111, v103
	v_fmac_f32_e32 v110, 0x32a5705f, v92
	v_sub_f32_e32 v103, v103, v111
	v_add_f32_e32 v103, v103, v110
	v_cvt_i32_f32_e32 v110, v111
	v_exp_f32_e32 v103, v103
	v_ldexp_f32 v103, v103, v110
	v_cndmask_b32_e32 v103, 0, v103, vcc_lo
	v_cmp_nlt_f32_e32 vcc_lo, 0x42b17218, v92
	v_cndmask_b32_e32 v92, 0x7f800000, v103, vcc_lo
	v_mul_f32_e32 v103, 0x3fb8aa3b, v109
	v_cmp_ngt_f32_e32 vcc_lo, 0xc2ce8ed0, v109
	v_add_f32_e32 v79, v79, v92
	v_fma_f32 v110, 0x3fb8aa3b, v109, -v103
	v_rndne_f32_e32 v111, v103
	v_cvt_f16_f32_e32 v92, v92
	v_fmac_f32_e32 v110, 0x32a5705f, v109
	v_sub_f32_e32 v103, v103, v111
	v_add_f32_e32 v103, v103, v110
	v_cvt_i32_f32_e32 v110, v111
	v_exp_f32_e32 v103, v103
	v_ldexp_f32 v103, v103, v110
	v_cndmask_b32_e32 v103, 0, v103, vcc_lo
	v_cmp_nlt_f32_e32 vcc_lo, 0x42b17218, v109
	v_cndmask_b32_e32 v103, 0x7f800000, v103, vcc_lo
	v_fmac_f32_e32 v79, v80, v103
	v_cvt_f16_f32_e32 v80, v103
	v_mul_u32_u24_sdwa v80, v80, v67 dst_sel:DWORD dst_unused:UNUSED_PAD src0_sel:WORD_0 src1_sel:DWORD
	v_pk_mul_f16 v85, v85, v80
	v_sub_f32_e32 v80, v101, v6
	v_mul_f32_e32 v101, 0x3fb8aa3b, v80
	v_cmp_ngt_f32_e32 vcc_lo, 0xc2ce8ed0, v80
	v_fma_f32 v103, 0x3fb8aa3b, v80, -v101
	v_rndne_f32_e32 v109, v101
	v_fmac_f32_e32 v103, 0x32a5705f, v80
	v_sub_f32_e32 v101, v101, v109
	v_add_f32_e32 v101, v101, v103
	v_cvt_i32_f32_e32 v103, v109
	v_exp_f32_e32 v101, v101
	v_ldexp_f32 v101, v101, v103
	v_cndmask_b32_e32 v101, 0, v101, vcc_lo
	v_cmp_nlt_f32_e32 vcc_lo, 0x42b17218, v80
	v_cndmask_b32_e32 v80, 0x7f800000, v101, vcc_lo
	v_mul_f32_e32 v101, 0x3fb8aa3b, v99
	v_cmp_ngt_f32_e32 vcc_lo, 0xc2ce8ed0, v99
	v_cvt_f16_f32_e32 v103, v80
	v_fma_f32 v109, 0x3fb8aa3b, v99, -v101
	v_rndne_f32_e32 v110, v101
	v_fmac_f32_e32 v109, 0x32a5705f, v99
	v_sub_f32_e32 v101, v101, v110
	v_add_f32_e32 v101, v101, v109
	v_cvt_i32_f32_e32 v109, v110
	v_exp_f32_e32 v101, v101
	v_ldexp_f32 v101, v101, v109
	v_cndmask_b32_e32 v101, 0, v101, vcc_lo
	v_cmp_nlt_f32_e32 vcc_lo, 0x42b17218, v99
	v_cndmask_b32_e32 v99, 0x7f800000, v101, vcc_lo
	v_cmp_ngt_f32_e32 vcc_lo, 0xc2ce8ed0, v91
	v_add_f32_e32 v80, v80, v99
	v_cvt_f16_f32_e32 v109, v99
	v_mul_f32_e32 v99, 0x3fb8aa3b, v91
	v_fma_f32 v101, 0x3fb8aa3b, v91, -v99
	v_rndne_f32_e32 v110, v99
	v_fmac_f32_e32 v101, 0x32a5705f, v91
	v_sub_f32_e32 v99, v99, v110
	v_add_f32_e32 v99, v99, v101
	v_cvt_i32_f32_e32 v101, v110
	v_exp_f32_e32 v99, v99
	v_ldexp_f32 v99, v99, v101
	v_cndmask_b32_e32 v99, 0, v99, vcc_lo
	v_cmp_nlt_f32_e32 vcc_lo, 0x42b17218, v91
	v_cndmask_b32_e32 v91, 0x7f800000, v99, vcc_lo
	v_fmac_f32_e32 v80, v81, v91
	v_cvt_f16_f32_e32 v81, v91
	v_mul_u32_u24_sdwa v81, v81, v67 dst_sel:DWORD dst_unused:UNUSED_PAD src0_sel:WORD_0 src1_sel:DWORD
	v_pk_mul_f16 v84, v84, v81
	v_sub_f32_e32 v81, v108, v7
	v_mul_f32_e32 v91, 0x3fb8aa3b, v81
	v_cmp_ngt_f32_e32 vcc_lo, 0xc2ce8ed0, v81
	v_fma_f32 v99, 0x3fb8aa3b, v81, -v91
	v_rndne_f32_e32 v101, v91
	v_fmac_f32_e32 v99, 0x32a5705f, v81
	v_sub_f32_e32 v91, v91, v101
	v_add_f32_e32 v91, v91, v99
	v_cvt_i32_f32_e32 v99, v101
	v_exp_f32_e32 v91, v91
	v_ldexp_f32 v91, v91, v99
	v_sub_f32_e32 v99, v107, v7
	v_cndmask_b32_e32 v91, 0, v91, vcc_lo
	v_mul_f32_e32 v101, 0x3fb8aa3b, v99
	v_cmp_nlt_f32_e32 vcc_lo, 0x42b17218, v81
	v_fma_f32 v107, 0x3fb8aa3b, v99, -v101
	v_rndne_f32_e32 v108, v101
	v_cndmask_b32_e32 v81, 0x7f800000, v91, vcc_lo
	v_cmp_ngt_f32_e32 vcc_lo, 0xc2ce8ed0, v99
	v_fmac_f32_e32 v107, 0x32a5705f, v99
	v_sub_f32_e32 v101, v101, v108
	v_cvt_f16_f32_e32 v91, v81
	v_add_f32_e32 v101, v101, v107
	v_cvt_i32_f32_e32 v107, v108
	v_exp_f32_e32 v101, v101
	v_ldexp_f32 v101, v101, v107
	v_cndmask_b32_e32 v101, 0, v101, vcc_lo
	v_cmp_nlt_f32_e32 vcc_lo, 0x42b17218, v99
	v_cndmask_b32_e32 v99, 0x7f800000, v101, vcc_lo
	v_cmp_ngt_f32_e32 vcc_lo, 0xc2ce8ed0, v90
	v_add_f32_e32 v81, v81, v99
	v_cvt_f16_f32_e32 v107, v99
	v_mul_f32_e32 v99, 0x3fb8aa3b, v90
	v_fma_f32 v101, 0x3fb8aa3b, v90, -v99
	v_rndne_f32_e32 v108, v99
	v_fmac_f32_e32 v101, 0x32a5705f, v90
	v_sub_f32_e32 v99, v99, v108
	v_add_f32_e32 v99, v99, v101
	v_cvt_i32_f32_e32 v101, v108
	v_exp_f32_e32 v99, v99
	v_ldexp_f32 v99, v99, v101
	v_cndmask_b32_e32 v99, 0, v99, vcc_lo
	v_cmp_nlt_f32_e32 vcc_lo, 0x42b17218, v90
	v_cndmask_b32_e32 v90, 0x7f800000, v99, vcc_lo
	v_fmac_f32_e32 v81, v25, v90
	v_cvt_f16_f32_e32 v25, v90
	v_mul_u32_u24_sdwa v25, v25, v67 dst_sel:DWORD dst_unused:UNUSED_PAD src0_sel:WORD_0 src1_sel:DWORD
	v_pk_mul_f16 v25, v83, v25
	v_sub_f32_e32 v83, v104, v8
	v_mul_f32_e32 v90, 0x3fb8aa3b, v83
	v_cmp_ngt_f32_e32 vcc_lo, 0xc2ce8ed0, v83
	v_fma_f32 v99, 0x3fb8aa3b, v83, -v90
	v_rndne_f32_e32 v101, v90
	v_fmac_f32_e32 v99, 0x32a5705f, v83
	v_sub_f32_e32 v90, v90, v101
	v_add_f32_e32 v90, v90, v99
	v_cvt_i32_f32_e32 v99, v101
	v_exp_f32_e32 v90, v90
	v_ldexp_f32 v90, v90, v99
	v_sub_f32_e32 v99, v100, v8
	v_cndmask_b32_e32 v90, 0, v90, vcc_lo
	v_mul_f32_e32 v100, 0x3fb8aa3b, v99
	v_cmp_nlt_f32_e32 vcc_lo, 0x42b17218, v83
	v_fma_f32 v101, 0x3fb8aa3b, v99, -v100
	v_rndne_f32_e32 v104, v100
	v_cndmask_b32_e32 v83, 0x7f800000, v90, vcc_lo
	v_cmp_ngt_f32_e32 vcc_lo, 0xc2ce8ed0, v99
	v_fmac_f32_e32 v101, 0x32a5705f, v99
	v_sub_f32_e32 v100, v100, v104
	v_cvt_f16_f32_e32 v90, v83
	v_add_f32_e32 v100, v100, v101
	v_cvt_i32_f32_e32 v101, v104
	v_exp_f32_e32 v100, v100
	v_ldexp_f32 v100, v100, v101
	v_cndmask_b32_e32 v100, 0, v100, vcc_lo
	v_cmp_nlt_f32_e32 vcc_lo, 0x42b17218, v99
	v_cndmask_b32_e32 v99, 0x7f800000, v100, vcc_lo
	v_cmp_ngt_f32_e32 vcc_lo, 0xc2ce8ed0, v26
	v_add_f32_e32 v83, v83, v99
	v_cvt_f16_f32_e32 v104, v99
	v_mul_f32_e32 v99, 0x3fb8aa3b, v26
	v_fma_f32 v100, 0x3fb8aa3b, v26, -v99
	v_rndne_f32_e32 v101, v99
	v_fmac_f32_e32 v100, 0x32a5705f, v26
	v_sub_f32_e32 v99, v99, v101
	v_add_f32_e32 v99, v99, v100
	v_cvt_i32_f32_e32 v100, v101
	v_pack_b32_f16 v101, v91, v90
	v_exp_f32_e32 v99, v99
	v_ldexp_f32 v99, v99, v100
	v_pack_b32_f16 v100, v105, v103
	v_cndmask_b32_e32 v99, 0, v99, vcc_lo
	v_cmp_nlt_f32_e32 vcc_lo, 0x42b17218, v26
	v_cndmask_b32_e32 v26, 0x7f800000, v99, vcc_lo
	v_mov_b32_e32 v99, v47
	v_mov_b32_e32 v47, v83
	v_fmac_f32_e32 v47, v99, v26
	v_cvt_f16_f32_e32 v26, v26
	v_pack_b32_f16 v99, v102, v106
	v_mul_u32_u24_sdwa v26, v26, v67 dst_sel:DWORD dst_unused:UNUSED_PAD src0_sel:WORD_0 src1_sel:DWORD
	ds_write_b128 v66, v[98:101]
	v_pack_b32_f16 v99, v107, v104
	v_pack_b32_f16 v98, v92, v109
	v_pk_mul_f16 v26, v82, v26
	v_add_co_u32 v82, vcc_lo, s6, v17
	v_add_co_ci_u32_e64 v83, null, s7, v18, vcc_lo
	ds_write_b128 v66, v[96:99] offset:512
	v_add_co_u32 v82, vcc_lo, v82, v65
	v_add_co_ci_u32_e64 v83, null, 0, v83, vcc_lo
	v_add_co_u32 v90, vcc_lo, s6, v19
	v_add_co_ci_u32_e64 v91, null, s7, v20, vcc_lo
	;; [unrolled: 2-line block ×7, first 2 shown]
	global_load_dwordx4 v[90:93], v[82:83], off
	s_waitcnt vmcnt(0)
	ds_write_b128 v60, v[90:93]
	global_load_dwordx4 v[90:93], v[94:95], off
	s_waitcnt vmcnt(0)
	ds_write_b128 v62, v[90:93]
	global_load_dwordx4 v[90:93], v[96:97], off
	s_waitcnt vmcnt(0)
	ds_write_b128 v63, v[90:93]
	global_load_dwordx4 v[90:93], v[98:99], off
	s_waitcnt vmcnt(0)
	ds_write_b128 v64, v[90:93]
	s_waitcnt lgkmcnt(0)
	s_barrier
	buffer_gl0_inv
	ds_read2_b32 v[82:83], v48 offset1:32
	ds_read_b128 v[90:93], v61
	ds_read_b128 v[94:97], v61 offset:16
	ds_read_b128 v[98:101], v61 offset:32
	;; [unrolled: 1-line block ×3, first 2 shown]
	s_waitcnt lgkmcnt(3)
	v_mul_u32_u24_sdwa v106, v90, v67 dst_sel:DWORD dst_unused:UNUSED_PAD src0_sel:WORD_0 src1_sel:DWORD
	v_mul_u32_u24_sdwa v90, v90, v67 dst_sel:DWORD dst_unused:UNUSED_PAD src0_sel:WORD_1 src1_sel:DWORD
	v_mul_u32_u24_sdwa v107, v91, v67 dst_sel:DWORD dst_unused:UNUSED_PAD src0_sel:WORD_0 src1_sel:DWORD
	v_mul_u32_u24_sdwa v91, v91, v67 dst_sel:DWORD dst_unused:UNUSED_PAD src0_sel:WORD_1 src1_sel:DWORD
	;; [unrolled: 2-line block ×4, first 2 shown]
	v_pk_fma_f16 v89, v82, v106, v89
	v_pk_fma_f16 v88, v82, v90, v88
	;; [unrolled: 1-line block ×8, first 2 shown]
	s_waitcnt lgkmcnt(2)
	v_mul_u32_u24_sdwa v82, v94, v67 dst_sel:DWORD dst_unused:UNUSED_PAD src0_sel:WORD_0 src1_sel:DWORD
	v_mul_u32_u24_sdwa v90, v94, v67 dst_sel:DWORD dst_unused:UNUSED_PAD src0_sel:WORD_1 src1_sel:DWORD
	v_mul_u32_u24_sdwa v91, v95, v67 dst_sel:DWORD dst_unused:UNUSED_PAD src0_sel:WORD_0 src1_sel:DWORD
	v_mul_u32_u24_sdwa v92, v95, v67 dst_sel:DWORD dst_unused:UNUSED_PAD src0_sel:WORD_1 src1_sel:DWORD
	;; [unrolled: 2-line block ×4, first 2 shown]
	v_pk_fma_f16 v82, v83, v82, v89
	v_pk_fma_f16 v88, v83, v90, v88
	;; [unrolled: 1-line block ×8, first 2 shown]
	ds_read2_b32 v[25:26], v48 offset0:64 offset1:96
	s_waitcnt lgkmcnt(2)
	v_mul_u32_u24_sdwa v90, v98, v67 dst_sel:DWORD dst_unused:UNUSED_PAD src0_sel:WORD_0 src1_sel:DWORD
	v_mul_u32_u24_sdwa v91, v98, v67 dst_sel:DWORD dst_unused:UNUSED_PAD src0_sel:WORD_1 src1_sel:DWORD
	v_mul_u32_u24_sdwa v92, v99, v67 dst_sel:DWORD dst_unused:UNUSED_PAD src0_sel:WORD_0 src1_sel:DWORD
	v_mul_u32_u24_sdwa v93, v99, v67 dst_sel:DWORD dst_unused:UNUSED_PAD src0_sel:WORD_1 src1_sel:DWORD
	;; [unrolled: 2-line block ×4, first 2 shown]
	s_waitcnt lgkmcnt(0)
	v_pk_fma_f16 v82, v25, v90, v82
	v_pk_fma_f16 v88, v25, v91, v88
	;; [unrolled: 1-line block ×8, first 2 shown]
	v_mul_u32_u24_sdwa v83, v102, v67 dst_sel:DWORD dst_unused:UNUSED_PAD src0_sel:WORD_0 src1_sel:DWORD
	v_mul_u32_u24_sdwa v90, v102, v67 dst_sel:DWORD dst_unused:UNUSED_PAD src0_sel:WORD_1 src1_sel:DWORD
	v_mul_u32_u24_sdwa v91, v103, v67 dst_sel:DWORD dst_unused:UNUSED_PAD src0_sel:WORD_0 src1_sel:DWORD
	v_mul_u32_u24_sdwa v92, v103, v67 dst_sel:DWORD dst_unused:UNUSED_PAD src0_sel:WORD_1 src1_sel:DWORD
	;; [unrolled: 2-line block ×4, first 2 shown]
	v_pk_fma_f16 v97, v26, v83, v82
	v_pk_fma_f16 v88, v26, v90, v88
	;; [unrolled: 1-line block ×8, first 2 shown]
	ds_read2_b32 v[25:26], v48 offset0:128 offset1:160
	ds_read_b128 v[82:85], v61 offset:64
	s_waitcnt lgkmcnt(0)
	v_mul_u32_u24_sdwa v93, v82, v67 dst_sel:DWORD dst_unused:UNUSED_PAD src0_sel:WORD_0 src1_sel:DWORD
	v_mul_u32_u24_sdwa v82, v82, v67 dst_sel:DWORD dst_unused:UNUSED_PAD src0_sel:WORD_1 src1_sel:DWORD
	v_mul_u32_u24_sdwa v94, v83, v67 dst_sel:DWORD dst_unused:UNUSED_PAD src0_sel:WORD_0 src1_sel:DWORD
	v_mul_u32_u24_sdwa v83, v83, v67 dst_sel:DWORD dst_unused:UNUSED_PAD src0_sel:WORD_1 src1_sel:DWORD
	;; [unrolled: 2-line block ×4, first 2 shown]
	v_pk_fma_f16 v93, v25, v93, v97
	v_pk_fma_f16 v88, v25, v82, v88
	;; [unrolled: 1-line block ×8, first 2 shown]
	ds_read_b128 v[82:85], v61 offset:80
	s_waitcnt lgkmcnt(0)
	v_mul_u32_u24_sdwa v92, v82, v67 dst_sel:DWORD dst_unused:UNUSED_PAD src0_sel:WORD_0 src1_sel:DWORD
	v_mul_u32_u24_sdwa v82, v82, v67 dst_sel:DWORD dst_unused:UNUSED_PAD src0_sel:WORD_1 src1_sel:DWORD
	v_mul_u32_u24_sdwa v94, v83, v67 dst_sel:DWORD dst_unused:UNUSED_PAD src0_sel:WORD_0 src1_sel:DWORD
	v_mul_u32_u24_sdwa v83, v83, v67 dst_sel:DWORD dst_unused:UNUSED_PAD src0_sel:WORD_1 src1_sel:DWORD
	;; [unrolled: 2-line block ×4, first 2 shown]
	v_pk_fma_f16 v92, v26, v92, v93
	v_pk_fma_f16 v88, v26, v82, v88
	;; [unrolled: 1-line block ×8, first 2 shown]
	ds_read2_b32 v[25:26], v48 offset0:192 offset1:224
	ds_read_b128 v[82:85], v61 offset:96
	s_waitcnt lgkmcnt(0)
	v_mul_u32_u24_sdwa v94, v82, v67 dst_sel:DWORD dst_unused:UNUSED_PAD src0_sel:WORD_0 src1_sel:DWORD
	v_mul_u32_u24_sdwa v82, v82, v67 dst_sel:DWORD dst_unused:UNUSED_PAD src0_sel:WORD_1 src1_sel:DWORD
	v_mul_u32_u24_sdwa v95, v83, v67 dst_sel:DWORD dst_unused:UNUSED_PAD src0_sel:WORD_0 src1_sel:DWORD
	v_mul_u32_u24_sdwa v83, v83, v67 dst_sel:DWORD dst_unused:UNUSED_PAD src0_sel:WORD_1 src1_sel:DWORD
	v_mul_u32_u24_sdwa v96, v84, v67 dst_sel:DWORD dst_unused:UNUSED_PAD src0_sel:WORD_0 src1_sel:DWORD
	v_mul_u32_u24_sdwa v84, v84, v67 dst_sel:DWORD dst_unused:UNUSED_PAD src0_sel:WORD_1 src1_sel:DWORD
	v_mul_u32_u24_sdwa v97, v85, v67 dst_sel:DWORD dst_unused:UNUSED_PAD src0_sel:WORD_0 src1_sel:DWORD
	v_mul_u32_u24_sdwa v85, v85, v67 dst_sel:DWORD dst_unused:UNUSED_PAD src0_sel:WORD_1 src1_sel:DWORD
	v_pk_fma_f16 v92, v25, v94, v92
	v_pk_fma_f16 v88, v25, v82, v88
	;; [unrolled: 1-line block ×8, first 2 shown]
	ds_read_b128 v[82:85], v61 offset:112
	s_waitcnt lgkmcnt(0)
	v_mul_u32_u24_sdwa v93, v82, v67 dst_sel:DWORD dst_unused:UNUSED_PAD src0_sel:WORD_0 src1_sel:DWORD
	v_mul_u32_u24_sdwa v82, v82, v67 dst_sel:DWORD dst_unused:UNUSED_PAD src0_sel:WORD_1 src1_sel:DWORD
	v_mul_u32_u24_sdwa v94, v83, v67 dst_sel:DWORD dst_unused:UNUSED_PAD src0_sel:WORD_0 src1_sel:DWORD
	v_mul_u32_u24_sdwa v83, v83, v67 dst_sel:DWORD dst_unused:UNUSED_PAD src0_sel:WORD_1 src1_sel:DWORD
	;; [unrolled: 2-line block ×4, first 2 shown]
	v_pk_fma_f16 v92, v26, v93, v92
	v_pk_fma_f16 v88, v26, v82, v88
	v_pk_fma_f16 v87, v26, v94, v87
	v_pk_fma_f16 v86, v26, v83, v86
	v_pk_fma_f16 v90, v26, v95, v90
	v_pk_fma_f16 v91, v26, v84, v91
	v_pk_fma_f16 v89, v26, v96, v89
	v_pk_fma_f16 v93, v26, v85, v25
	ds_read2_b32 v[25:26], v68 offset1:32
	ds_read_b128 v[82:85], v61 offset:128
	s_waitcnt lgkmcnt(0)
	v_mul_u32_u24_sdwa v94, v82, v67 dst_sel:DWORD dst_unused:UNUSED_PAD src0_sel:WORD_0 src1_sel:DWORD
	v_mul_u32_u24_sdwa v82, v82, v67 dst_sel:DWORD dst_unused:UNUSED_PAD src0_sel:WORD_1 src1_sel:DWORD
	v_mul_u32_u24_sdwa v95, v83, v67 dst_sel:DWORD dst_unused:UNUSED_PAD src0_sel:WORD_0 src1_sel:DWORD
	v_mul_u32_u24_sdwa v83, v83, v67 dst_sel:DWORD dst_unused:UNUSED_PAD src0_sel:WORD_1 src1_sel:DWORD
	v_mul_u32_u24_sdwa v96, v84, v67 dst_sel:DWORD dst_unused:UNUSED_PAD src0_sel:WORD_0 src1_sel:DWORD
	v_mul_u32_u24_sdwa v84, v84, v67 dst_sel:DWORD dst_unused:UNUSED_PAD src0_sel:WORD_1 src1_sel:DWORD
	v_mul_u32_u24_sdwa v97, v85, v67 dst_sel:DWORD dst_unused:UNUSED_PAD src0_sel:WORD_0 src1_sel:DWORD
	v_mul_u32_u24_sdwa v85, v85, v67 dst_sel:DWORD dst_unused:UNUSED_PAD src0_sel:WORD_1 src1_sel:DWORD
	v_pk_fma_f16 v92, v25, v94, v92
	v_pk_fma_f16 v88, v25, v82, v88
	v_pk_fma_f16 v87, v25, v95, v87
	v_pk_fma_f16 v86, v25, v83, v86
	v_pk_fma_f16 v90, v25, v96, v90
	v_pk_fma_f16 v91, v25, v84, v91
	v_pk_fma_f16 v89, v25, v97, v89
	v_pk_fma_f16 v25, v25, v85, v93
	ds_read_b128 v[82:85], v61 offset:144
	s_waitcnt lgkmcnt(0)
	v_mul_u32_u24_sdwa v93, v82, v67 dst_sel:DWORD dst_unused:UNUSED_PAD src0_sel:WORD_0 src1_sel:DWORD
	v_mul_u32_u24_sdwa v82, v82, v67 dst_sel:DWORD dst_unused:UNUSED_PAD src0_sel:WORD_1 src1_sel:DWORD
	v_mul_u32_u24_sdwa v94, v83, v67 dst_sel:DWORD dst_unused:UNUSED_PAD src0_sel:WORD_0 src1_sel:DWORD
	v_mul_u32_u24_sdwa v83, v83, v67 dst_sel:DWORD dst_unused:UNUSED_PAD src0_sel:WORD_1 src1_sel:DWORD
	v_mul_u32_u24_sdwa v95, v84, v67 dst_sel:DWORD dst_unused:UNUSED_PAD src0_sel:WORD_0 src1_sel:DWORD
	v_mul_u32_u24_sdwa v84, v84, v67 dst_sel:DWORD dst_unused:UNUSED_PAD src0_sel:WORD_1 src1_sel:DWORD
	v_mul_u32_u24_sdwa v96, v85, v67 dst_sel:DWORD dst_unused:UNUSED_PAD src0_sel:WORD_0 src1_sel:DWORD
	v_mul_u32_u24_sdwa v85, v85, v67 dst_sel:DWORD dst_unused:UNUSED_PAD src0_sel:WORD_1 src1_sel:DWORD
	v_pk_fma_f16 v92, v26, v93, v92
	v_pk_fma_f16 v88, v26, v82, v88
	v_pk_fma_f16 v87, v26, v94, v87
	v_pk_fma_f16 v86, v26, v83, v86
	v_pk_fma_f16 v90, v26, v95, v90
	v_pk_fma_f16 v91, v26, v84, v91
	v_pk_fma_f16 v89, v26, v96, v89
	v_pk_fma_f16 v93, v26, v85, v25
	ds_read2_b32 v[25:26], v68 offset0:64 offset1:96
	ds_read_b128 v[82:85], v61 offset:160
	s_waitcnt lgkmcnt(0)
	v_mul_u32_u24_sdwa v94, v82, v67 dst_sel:DWORD dst_unused:UNUSED_PAD src0_sel:WORD_0 src1_sel:DWORD
	v_mul_u32_u24_sdwa v82, v82, v67 dst_sel:DWORD dst_unused:UNUSED_PAD src0_sel:WORD_1 src1_sel:DWORD
	v_mul_u32_u24_sdwa v95, v83, v67 dst_sel:DWORD dst_unused:UNUSED_PAD src0_sel:WORD_0 src1_sel:DWORD
	v_mul_u32_u24_sdwa v83, v83, v67 dst_sel:DWORD dst_unused:UNUSED_PAD src0_sel:WORD_1 src1_sel:DWORD
	v_mul_u32_u24_sdwa v96, v84, v67 dst_sel:DWORD dst_unused:UNUSED_PAD src0_sel:WORD_0 src1_sel:DWORD
	v_mul_u32_u24_sdwa v84, v84, v67 dst_sel:DWORD dst_unused:UNUSED_PAD src0_sel:WORD_1 src1_sel:DWORD
	v_mul_u32_u24_sdwa v97, v85, v67 dst_sel:DWORD dst_unused:UNUSED_PAD src0_sel:WORD_0 src1_sel:DWORD
	v_mul_u32_u24_sdwa v85, v85, v67 dst_sel:DWORD dst_unused:UNUSED_PAD src0_sel:WORD_1 src1_sel:DWORD
	v_pk_fma_f16 v92, v25, v94, v92
	v_pk_fma_f16 v88, v25, v82, v88
	v_pk_fma_f16 v87, v25, v95, v87
	v_pk_fma_f16 v86, v25, v83, v86
	v_pk_fma_f16 v90, v25, v96, v90
	v_pk_fma_f16 v91, v25, v84, v91
	v_pk_fma_f16 v89, v25, v97, v89
	v_pk_fma_f16 v25, v25, v85, v93
	ds_read_b128 v[82:85], v61 offset:176
	s_waitcnt lgkmcnt(0)
	v_mul_u32_u24_sdwa v93, v82, v67 dst_sel:DWORD dst_unused:UNUSED_PAD src0_sel:WORD_0 src1_sel:DWORD
	v_mul_u32_u24_sdwa v82, v82, v67 dst_sel:DWORD dst_unused:UNUSED_PAD src0_sel:WORD_1 src1_sel:DWORD
	v_mul_u32_u24_sdwa v94, v83, v67 dst_sel:DWORD dst_unused:UNUSED_PAD src0_sel:WORD_0 src1_sel:DWORD
	v_mul_u32_u24_sdwa v83, v83, v67 dst_sel:DWORD dst_unused:UNUSED_PAD src0_sel:WORD_1 src1_sel:DWORD
	v_mul_u32_u24_sdwa v95, v84, v67 dst_sel:DWORD dst_unused:UNUSED_PAD src0_sel:WORD_0 src1_sel:DWORD
	v_mul_u32_u24_sdwa v84, v84, v67 dst_sel:DWORD dst_unused:UNUSED_PAD src0_sel:WORD_1 src1_sel:DWORD
	v_mul_u32_u24_sdwa v96, v85, v67 dst_sel:DWORD dst_unused:UNUSED_PAD src0_sel:WORD_0 src1_sel:DWORD
	v_mul_u32_u24_sdwa v85, v85, v67 dst_sel:DWORD dst_unused:UNUSED_PAD src0_sel:WORD_1 src1_sel:DWORD
	v_pk_fma_f16 v92, v26, v93, v92
	v_pk_fma_f16 v88, v26, v82, v88
	v_pk_fma_f16 v87, v26, v94, v87
	v_pk_fma_f16 v86, v26, v83, v86
	v_pk_fma_f16 v90, v26, v95, v90
	v_pk_fma_f16 v91, v26, v84, v91
	v_pk_fma_f16 v89, v26, v96, v89
	v_pk_fma_f16 v93, v26, v85, v25
	ds_read2_b32 v[25:26], v68 offset0:128 offset1:160
	;; [unrolled: 37-line block ×3, first 2 shown]
	ds_read_b128 v[82:85], v61 offset:224
	s_waitcnt lgkmcnt(0)
	v_mul_u32_u24_sdwa v94, v82, v67 dst_sel:DWORD dst_unused:UNUSED_PAD src0_sel:WORD_0 src1_sel:DWORD
	v_mul_u32_u24_sdwa v82, v82, v67 dst_sel:DWORD dst_unused:UNUSED_PAD src0_sel:WORD_1 src1_sel:DWORD
	v_mul_u32_u24_sdwa v95, v83, v67 dst_sel:DWORD dst_unused:UNUSED_PAD src0_sel:WORD_0 src1_sel:DWORD
	v_mul_u32_u24_sdwa v83, v83, v67 dst_sel:DWORD dst_unused:UNUSED_PAD src0_sel:WORD_1 src1_sel:DWORD
	v_mul_u32_u24_sdwa v96, v84, v67 dst_sel:DWORD dst_unused:UNUSED_PAD src0_sel:WORD_0 src1_sel:DWORD
	v_mul_u32_u24_sdwa v84, v84, v67 dst_sel:DWORD dst_unused:UNUSED_PAD src0_sel:WORD_1 src1_sel:DWORD
	v_mul_u32_u24_sdwa v97, v85, v67 dst_sel:DWORD dst_unused:UNUSED_PAD src0_sel:WORD_0 src1_sel:DWORD
	v_mul_u32_u24_sdwa v85, v85, v67 dst_sel:DWORD dst_unused:UNUSED_PAD src0_sel:WORD_1 src1_sel:DWORD
	v_pk_fma_f16 v92, v25, v94, v92
	v_pk_fma_f16 v88, v25, v82, v88
	;; [unrolled: 1-line block ×8, first 2 shown]
	ds_read_b128 v[82:85], v61 offset:240
	s_waitcnt lgkmcnt(0)
	v_mul_u32_u24_sdwa v93, v82, v67 dst_sel:DWORD dst_unused:UNUSED_PAD src0_sel:WORD_0 src1_sel:DWORD
	v_mul_u32_u24_sdwa v82, v82, v67 dst_sel:DWORD dst_unused:UNUSED_PAD src0_sel:WORD_1 src1_sel:DWORD
	v_mul_u32_u24_sdwa v94, v83, v67 dst_sel:DWORD dst_unused:UNUSED_PAD src0_sel:WORD_0 src1_sel:DWORD
	v_mul_u32_u24_sdwa v83, v83, v67 dst_sel:DWORD dst_unused:UNUSED_PAD src0_sel:WORD_1 src1_sel:DWORD
	;; [unrolled: 2-line block ×4, first 2 shown]
	v_pk_fma_f16 v92, v26, v93, v92
	v_pk_fma_f16 v88, v26, v82, v88
	;; [unrolled: 1-line block ×8, first 2 shown]
	ds_read2_b32 v[25:26], v69 offset1:32
	ds_read_b128 v[82:85], v61 offset:256
	s_waitcnt lgkmcnt(0)
	v_mul_u32_u24_sdwa v94, v82, v67 dst_sel:DWORD dst_unused:UNUSED_PAD src0_sel:WORD_0 src1_sel:DWORD
	v_mul_u32_u24_sdwa v82, v82, v67 dst_sel:DWORD dst_unused:UNUSED_PAD src0_sel:WORD_1 src1_sel:DWORD
	v_mul_u32_u24_sdwa v95, v83, v67 dst_sel:DWORD dst_unused:UNUSED_PAD src0_sel:WORD_0 src1_sel:DWORD
	v_mul_u32_u24_sdwa v83, v83, v67 dst_sel:DWORD dst_unused:UNUSED_PAD src0_sel:WORD_1 src1_sel:DWORD
	v_mul_u32_u24_sdwa v96, v84, v67 dst_sel:DWORD dst_unused:UNUSED_PAD src0_sel:WORD_0 src1_sel:DWORD
	v_mul_u32_u24_sdwa v84, v84, v67 dst_sel:DWORD dst_unused:UNUSED_PAD src0_sel:WORD_1 src1_sel:DWORD
	v_mul_u32_u24_sdwa v97, v85, v67 dst_sel:DWORD dst_unused:UNUSED_PAD src0_sel:WORD_0 src1_sel:DWORD
	v_mul_u32_u24_sdwa v85, v85, v67 dst_sel:DWORD dst_unused:UNUSED_PAD src0_sel:WORD_1 src1_sel:DWORD
	v_pk_fma_f16 v92, v25, v94, v92
	v_pk_fma_f16 v88, v25, v82, v88
	v_pk_fma_f16 v87, v25, v95, v87
	v_pk_fma_f16 v86, v25, v83, v86
	v_pk_fma_f16 v90, v25, v96, v90
	v_pk_fma_f16 v91, v25, v84, v91
	v_pk_fma_f16 v89, v25, v97, v89
	v_pk_fma_f16 v25, v25, v85, v93
	ds_read_b128 v[82:85], v61 offset:272
	s_waitcnt lgkmcnt(0)
	v_mul_u32_u24_sdwa v93, v82, v67 dst_sel:DWORD dst_unused:UNUSED_PAD src0_sel:WORD_0 src1_sel:DWORD
	v_mul_u32_u24_sdwa v82, v82, v67 dst_sel:DWORD dst_unused:UNUSED_PAD src0_sel:WORD_1 src1_sel:DWORD
	v_mul_u32_u24_sdwa v94, v83, v67 dst_sel:DWORD dst_unused:UNUSED_PAD src0_sel:WORD_0 src1_sel:DWORD
	v_mul_u32_u24_sdwa v83, v83, v67 dst_sel:DWORD dst_unused:UNUSED_PAD src0_sel:WORD_1 src1_sel:DWORD
	v_mul_u32_u24_sdwa v95, v84, v67 dst_sel:DWORD dst_unused:UNUSED_PAD src0_sel:WORD_0 src1_sel:DWORD
	v_mul_u32_u24_sdwa v84, v84, v67 dst_sel:DWORD dst_unused:UNUSED_PAD src0_sel:WORD_1 src1_sel:DWORD
	v_mul_u32_u24_sdwa v96, v85, v67 dst_sel:DWORD dst_unused:UNUSED_PAD src0_sel:WORD_0 src1_sel:DWORD
	v_mul_u32_u24_sdwa v85, v85, v67 dst_sel:DWORD dst_unused:UNUSED_PAD src0_sel:WORD_1 src1_sel:DWORD
	v_pk_fma_f16 v92, v26, v93, v92
	v_pk_fma_f16 v88, v26, v82, v88
	v_pk_fma_f16 v87, v26, v94, v87
	v_pk_fma_f16 v86, v26, v83, v86
	v_pk_fma_f16 v90, v26, v95, v90
	v_pk_fma_f16 v91, v26, v84, v91
	v_pk_fma_f16 v89, v26, v96, v89
	v_pk_fma_f16 v93, v26, v85, v25
	ds_read2_b32 v[25:26], v69 offset0:64 offset1:96
	ds_read_b128 v[82:85], v61 offset:288
	s_waitcnt lgkmcnt(0)
	v_mul_u32_u24_sdwa v94, v82, v67 dst_sel:DWORD dst_unused:UNUSED_PAD src0_sel:WORD_0 src1_sel:DWORD
	v_mul_u32_u24_sdwa v82, v82, v67 dst_sel:DWORD dst_unused:UNUSED_PAD src0_sel:WORD_1 src1_sel:DWORD
	v_mul_u32_u24_sdwa v95, v83, v67 dst_sel:DWORD dst_unused:UNUSED_PAD src0_sel:WORD_0 src1_sel:DWORD
	v_mul_u32_u24_sdwa v83, v83, v67 dst_sel:DWORD dst_unused:UNUSED_PAD src0_sel:WORD_1 src1_sel:DWORD
	v_mul_u32_u24_sdwa v96, v84, v67 dst_sel:DWORD dst_unused:UNUSED_PAD src0_sel:WORD_0 src1_sel:DWORD
	v_mul_u32_u24_sdwa v84, v84, v67 dst_sel:DWORD dst_unused:UNUSED_PAD src0_sel:WORD_1 src1_sel:DWORD
	v_mul_u32_u24_sdwa v97, v85, v67 dst_sel:DWORD dst_unused:UNUSED_PAD src0_sel:WORD_0 src1_sel:DWORD
	v_mul_u32_u24_sdwa v85, v85, v67 dst_sel:DWORD dst_unused:UNUSED_PAD src0_sel:WORD_1 src1_sel:DWORD
	v_pk_fma_f16 v92, v25, v94, v92
	v_pk_fma_f16 v88, v25, v82, v88
	v_pk_fma_f16 v87, v25, v95, v87
	v_pk_fma_f16 v86, v25, v83, v86
	v_pk_fma_f16 v90, v25, v96, v90
	v_pk_fma_f16 v91, v25, v84, v91
	v_pk_fma_f16 v89, v25, v97, v89
	v_pk_fma_f16 v25, v25, v85, v93
	ds_read_b128 v[82:85], v61 offset:304
	s_waitcnt lgkmcnt(0)
	v_mul_u32_u24_sdwa v93, v82, v67 dst_sel:DWORD dst_unused:UNUSED_PAD src0_sel:WORD_0 src1_sel:DWORD
	v_mul_u32_u24_sdwa v82, v82, v67 dst_sel:DWORD dst_unused:UNUSED_PAD src0_sel:WORD_1 src1_sel:DWORD
	v_mul_u32_u24_sdwa v94, v83, v67 dst_sel:DWORD dst_unused:UNUSED_PAD src0_sel:WORD_0 src1_sel:DWORD
	v_mul_u32_u24_sdwa v83, v83, v67 dst_sel:DWORD dst_unused:UNUSED_PAD src0_sel:WORD_1 src1_sel:DWORD
	v_mul_u32_u24_sdwa v95, v84, v67 dst_sel:DWORD dst_unused:UNUSED_PAD src0_sel:WORD_0 src1_sel:DWORD
	v_mul_u32_u24_sdwa v84, v84, v67 dst_sel:DWORD dst_unused:UNUSED_PAD src0_sel:WORD_1 src1_sel:DWORD
	v_mul_u32_u24_sdwa v96, v85, v67 dst_sel:DWORD dst_unused:UNUSED_PAD src0_sel:WORD_0 src1_sel:DWORD
	v_mul_u32_u24_sdwa v85, v85, v67 dst_sel:DWORD dst_unused:UNUSED_PAD src0_sel:WORD_1 src1_sel:DWORD
	v_pk_fma_f16 v92, v26, v93, v92
	v_pk_fma_f16 v88, v26, v82, v88
	v_pk_fma_f16 v87, v26, v94, v87
	v_pk_fma_f16 v86, v26, v83, v86
	v_pk_fma_f16 v90, v26, v95, v90
	v_pk_fma_f16 v91, v26, v84, v91
	v_pk_fma_f16 v89, v26, v96, v89
	v_pk_fma_f16 v93, v26, v85, v25
	ds_read2_b32 v[25:26], v69 offset0:128 offset1:160
	;; [unrolled: 37-line block ×3, first 2 shown]
	ds_read_b128 v[82:85], v61 offset:352
	s_waitcnt lgkmcnt(0)
	v_mul_u32_u24_sdwa v94, v82, v67 dst_sel:DWORD dst_unused:UNUSED_PAD src0_sel:WORD_0 src1_sel:DWORD
	v_mul_u32_u24_sdwa v82, v82, v67 dst_sel:DWORD dst_unused:UNUSED_PAD src0_sel:WORD_1 src1_sel:DWORD
	v_mul_u32_u24_sdwa v95, v83, v67 dst_sel:DWORD dst_unused:UNUSED_PAD src0_sel:WORD_0 src1_sel:DWORD
	v_mul_u32_u24_sdwa v83, v83, v67 dst_sel:DWORD dst_unused:UNUSED_PAD src0_sel:WORD_1 src1_sel:DWORD
	;; [unrolled: 2-line block ×4, first 2 shown]
	v_pk_fma_f16 v92, v25, v94, v92
	v_pk_fma_f16 v88, v25, v82, v88
	;; [unrolled: 1-line block ×8, first 2 shown]
	ds_read_b128 v[82:85], v61 offset:368
	s_waitcnt lgkmcnt(0)
	v_mul_u32_u24_sdwa v93, v82, v67 dst_sel:DWORD dst_unused:UNUSED_PAD src0_sel:WORD_0 src1_sel:DWORD
	v_mul_u32_u24_sdwa v82, v82, v67 dst_sel:DWORD dst_unused:UNUSED_PAD src0_sel:WORD_1 src1_sel:DWORD
	v_mul_u32_u24_sdwa v94, v83, v67 dst_sel:DWORD dst_unused:UNUSED_PAD src0_sel:WORD_0 src1_sel:DWORD
	v_mul_u32_u24_sdwa v83, v83, v67 dst_sel:DWORD dst_unused:UNUSED_PAD src0_sel:WORD_1 src1_sel:DWORD
	;; [unrolled: 2-line block ×4, first 2 shown]
	v_pk_fma_f16 v92, v26, v93, v92
	v_pk_fma_f16 v88, v26, v82, v88
	;; [unrolled: 1-line block ×8, first 2 shown]
	ds_read2_b32 v[25:26], v70 offset1:32
	ds_read_b128 v[82:85], v61 offset:384
	s_waitcnt lgkmcnt(0)
	v_mul_u32_u24_sdwa v94, v82, v67 dst_sel:DWORD dst_unused:UNUSED_PAD src0_sel:WORD_0 src1_sel:DWORD
	v_mul_u32_u24_sdwa v82, v82, v67 dst_sel:DWORD dst_unused:UNUSED_PAD src0_sel:WORD_1 src1_sel:DWORD
	v_mul_u32_u24_sdwa v95, v83, v67 dst_sel:DWORD dst_unused:UNUSED_PAD src0_sel:WORD_0 src1_sel:DWORD
	v_mul_u32_u24_sdwa v83, v83, v67 dst_sel:DWORD dst_unused:UNUSED_PAD src0_sel:WORD_1 src1_sel:DWORD
	v_mul_u32_u24_sdwa v96, v84, v67 dst_sel:DWORD dst_unused:UNUSED_PAD src0_sel:WORD_0 src1_sel:DWORD
	v_mul_u32_u24_sdwa v84, v84, v67 dst_sel:DWORD dst_unused:UNUSED_PAD src0_sel:WORD_1 src1_sel:DWORD
	v_mul_u32_u24_sdwa v97, v85, v67 dst_sel:DWORD dst_unused:UNUSED_PAD src0_sel:WORD_0 src1_sel:DWORD
	v_mul_u32_u24_sdwa v85, v85, v67 dst_sel:DWORD dst_unused:UNUSED_PAD src0_sel:WORD_1 src1_sel:DWORD
	v_pk_fma_f16 v92, v25, v94, v92
	v_pk_fma_f16 v88, v25, v82, v88
	v_pk_fma_f16 v87, v25, v95, v87
	v_pk_fma_f16 v86, v25, v83, v86
	v_pk_fma_f16 v90, v25, v96, v90
	v_pk_fma_f16 v91, v25, v84, v91
	v_pk_fma_f16 v89, v25, v97, v89
	v_pk_fma_f16 v25, v25, v85, v93
	ds_read_b128 v[82:85], v61 offset:400
	s_waitcnt lgkmcnt(0)
	v_mul_u32_u24_sdwa v93, v82, v67 dst_sel:DWORD dst_unused:UNUSED_PAD src0_sel:WORD_0 src1_sel:DWORD
	v_mul_u32_u24_sdwa v82, v82, v67 dst_sel:DWORD dst_unused:UNUSED_PAD src0_sel:WORD_1 src1_sel:DWORD
	v_mul_u32_u24_sdwa v94, v83, v67 dst_sel:DWORD dst_unused:UNUSED_PAD src0_sel:WORD_0 src1_sel:DWORD
	v_mul_u32_u24_sdwa v83, v83, v67 dst_sel:DWORD dst_unused:UNUSED_PAD src0_sel:WORD_1 src1_sel:DWORD
	v_mul_u32_u24_sdwa v95, v84, v67 dst_sel:DWORD dst_unused:UNUSED_PAD src0_sel:WORD_0 src1_sel:DWORD
	v_mul_u32_u24_sdwa v84, v84, v67 dst_sel:DWORD dst_unused:UNUSED_PAD src0_sel:WORD_1 src1_sel:DWORD
	v_mul_u32_u24_sdwa v96, v85, v67 dst_sel:DWORD dst_unused:UNUSED_PAD src0_sel:WORD_0 src1_sel:DWORD
	v_mul_u32_u24_sdwa v85, v85, v67 dst_sel:DWORD dst_unused:UNUSED_PAD src0_sel:WORD_1 src1_sel:DWORD
	v_pk_fma_f16 v92, v26, v93, v92
	v_pk_fma_f16 v88, v26, v82, v88
	v_pk_fma_f16 v87, v26, v94, v87
	v_pk_fma_f16 v86, v26, v83, v86
	v_pk_fma_f16 v90, v26, v95, v90
	v_pk_fma_f16 v91, v26, v84, v91
	v_pk_fma_f16 v89, v26, v96, v89
	v_pk_fma_f16 v93, v26, v85, v25
	ds_read2_b32 v[25:26], v70 offset0:64 offset1:96
	ds_read_b128 v[82:85], v61 offset:416
	s_waitcnt lgkmcnt(0)
	v_mul_u32_u24_sdwa v94, v82, v67 dst_sel:DWORD dst_unused:UNUSED_PAD src0_sel:WORD_0 src1_sel:DWORD
	v_mul_u32_u24_sdwa v82, v82, v67 dst_sel:DWORD dst_unused:UNUSED_PAD src0_sel:WORD_1 src1_sel:DWORD
	v_mul_u32_u24_sdwa v95, v83, v67 dst_sel:DWORD dst_unused:UNUSED_PAD src0_sel:WORD_0 src1_sel:DWORD
	v_mul_u32_u24_sdwa v83, v83, v67 dst_sel:DWORD dst_unused:UNUSED_PAD src0_sel:WORD_1 src1_sel:DWORD
	v_mul_u32_u24_sdwa v96, v84, v67 dst_sel:DWORD dst_unused:UNUSED_PAD src0_sel:WORD_0 src1_sel:DWORD
	v_mul_u32_u24_sdwa v84, v84, v67 dst_sel:DWORD dst_unused:UNUSED_PAD src0_sel:WORD_1 src1_sel:DWORD
	v_mul_u32_u24_sdwa v97, v85, v67 dst_sel:DWORD dst_unused:UNUSED_PAD src0_sel:WORD_0 src1_sel:DWORD
	v_mul_u32_u24_sdwa v85, v85, v67 dst_sel:DWORD dst_unused:UNUSED_PAD src0_sel:WORD_1 src1_sel:DWORD
	v_pk_fma_f16 v92, v25, v94, v92
	v_pk_fma_f16 v88, v25, v82, v88
	v_pk_fma_f16 v87, v25, v95, v87
	v_pk_fma_f16 v86, v25, v83, v86
	v_pk_fma_f16 v90, v25, v96, v90
	v_pk_fma_f16 v91, v25, v84, v91
	v_pk_fma_f16 v89, v25, v97, v89
	v_pk_fma_f16 v25, v25, v85, v93
	ds_read_b128 v[82:85], v61 offset:432
	s_waitcnt lgkmcnt(0)
	v_mul_u32_u24_sdwa v93, v82, v67 dst_sel:DWORD dst_unused:UNUSED_PAD src0_sel:WORD_0 src1_sel:DWORD
	v_mul_u32_u24_sdwa v82, v82, v67 dst_sel:DWORD dst_unused:UNUSED_PAD src0_sel:WORD_1 src1_sel:DWORD
	v_mul_u32_u24_sdwa v94, v83, v67 dst_sel:DWORD dst_unused:UNUSED_PAD src0_sel:WORD_0 src1_sel:DWORD
	v_mul_u32_u24_sdwa v83, v83, v67 dst_sel:DWORD dst_unused:UNUSED_PAD src0_sel:WORD_1 src1_sel:DWORD
	v_mul_u32_u24_sdwa v95, v84, v67 dst_sel:DWORD dst_unused:UNUSED_PAD src0_sel:WORD_0 src1_sel:DWORD
	v_mul_u32_u24_sdwa v84, v84, v67 dst_sel:DWORD dst_unused:UNUSED_PAD src0_sel:WORD_1 src1_sel:DWORD
	v_mul_u32_u24_sdwa v96, v85, v67 dst_sel:DWORD dst_unused:UNUSED_PAD src0_sel:WORD_0 src1_sel:DWORD
	v_mul_u32_u24_sdwa v85, v85, v67 dst_sel:DWORD dst_unused:UNUSED_PAD src0_sel:WORD_1 src1_sel:DWORD
	v_pk_fma_f16 v92, v26, v93, v92
	v_pk_fma_f16 v88, v26, v82, v88
	v_pk_fma_f16 v87, v26, v94, v87
	v_pk_fma_f16 v86, v26, v83, v86
	v_pk_fma_f16 v90, v26, v95, v90
	v_pk_fma_f16 v91, v26, v84, v91
	v_pk_fma_f16 v89, v26, v96, v89
	v_pk_fma_f16 v93, v26, v85, v25
	ds_read2_b32 v[25:26], v70 offset0:128 offset1:160
	;; [unrolled: 37-line block ×3, first 2 shown]
	ds_read_b128 v[82:85], v61 offset:480
	s_waitcnt lgkmcnt(0)
	v_mul_u32_u24_sdwa v94, v82, v67 dst_sel:DWORD dst_unused:UNUSED_PAD src0_sel:WORD_0 src1_sel:DWORD
	v_mul_u32_u24_sdwa v82, v82, v67 dst_sel:DWORD dst_unused:UNUSED_PAD src0_sel:WORD_1 src1_sel:DWORD
	v_mul_u32_u24_sdwa v95, v83, v67 dst_sel:DWORD dst_unused:UNUSED_PAD src0_sel:WORD_0 src1_sel:DWORD
	v_mul_u32_u24_sdwa v83, v83, v67 dst_sel:DWORD dst_unused:UNUSED_PAD src0_sel:WORD_1 src1_sel:DWORD
	;; [unrolled: 2-line block ×4, first 2 shown]
	v_pk_fma_f16 v92, v25, v94, v92
	v_pk_fma_f16 v88, v25, v82, v88
	;; [unrolled: 1-line block ×8, first 2 shown]
	ds_read_b128 v[82:85], v61 offset:496
	s_waitcnt lgkmcnt(0)
	v_mul_u32_u24_sdwa v93, v82, v67 dst_sel:DWORD dst_unused:UNUSED_PAD src0_sel:WORD_0 src1_sel:DWORD
	v_mul_u32_u24_sdwa v82, v82, v67 dst_sel:DWORD dst_unused:UNUSED_PAD src0_sel:WORD_1 src1_sel:DWORD
	v_mul_u32_u24_sdwa v94, v83, v67 dst_sel:DWORD dst_unused:UNUSED_PAD src0_sel:WORD_0 src1_sel:DWORD
	v_mul_u32_u24_sdwa v83, v83, v67 dst_sel:DWORD dst_unused:UNUSED_PAD src0_sel:WORD_1 src1_sel:DWORD
	;; [unrolled: 2-line block ×4, first 2 shown]
	v_pk_fma_f16 v92, v26, v93, v92
	v_pk_fma_f16 v88, v26, v82, v88
	v_pk_fma_f16 v87, v26, v94, v87
	v_pk_fma_f16 v86, v26, v83, v86
	v_pk_fma_f16 v90, v26, v95, v90
	v_pk_fma_f16 v91, v26, v84, v91
	v_pk_fma_f16 v89, v26, v96, v89
	v_pk_fma_f16 v93, v26, v85, v25
	ds_read2_b32 v[25:26], v71 offset1:32
	ds_read_b128 v[82:85], v61 offset:512
	s_waitcnt lgkmcnt(0)
	v_mul_u32_u24_sdwa v94, v82, v67 dst_sel:DWORD dst_unused:UNUSED_PAD src0_sel:WORD_0 src1_sel:DWORD
	v_mul_u32_u24_sdwa v82, v82, v67 dst_sel:DWORD dst_unused:UNUSED_PAD src0_sel:WORD_1 src1_sel:DWORD
	v_mul_u32_u24_sdwa v95, v83, v67 dst_sel:DWORD dst_unused:UNUSED_PAD src0_sel:WORD_0 src1_sel:DWORD
	v_mul_u32_u24_sdwa v83, v83, v67 dst_sel:DWORD dst_unused:UNUSED_PAD src0_sel:WORD_1 src1_sel:DWORD
	v_mul_u32_u24_sdwa v96, v84, v67 dst_sel:DWORD dst_unused:UNUSED_PAD src0_sel:WORD_0 src1_sel:DWORD
	v_mul_u32_u24_sdwa v84, v84, v67 dst_sel:DWORD dst_unused:UNUSED_PAD src0_sel:WORD_1 src1_sel:DWORD
	v_mul_u32_u24_sdwa v97, v85, v67 dst_sel:DWORD dst_unused:UNUSED_PAD src0_sel:WORD_0 src1_sel:DWORD
	v_mul_u32_u24_sdwa v85, v85, v67 dst_sel:DWORD dst_unused:UNUSED_PAD src0_sel:WORD_1 src1_sel:DWORD
	v_pk_fma_f16 v92, v25, v94, v92
	v_pk_fma_f16 v88, v25, v82, v88
	v_pk_fma_f16 v87, v25, v95, v87
	v_pk_fma_f16 v86, v25, v83, v86
	v_pk_fma_f16 v90, v25, v96, v90
	v_pk_fma_f16 v91, v25, v84, v91
	v_pk_fma_f16 v89, v25, v97, v89
	v_pk_fma_f16 v25, v25, v85, v93
	ds_read_b128 v[82:85], v61 offset:528
	s_waitcnt lgkmcnt(0)
	v_mul_u32_u24_sdwa v93, v82, v67 dst_sel:DWORD dst_unused:UNUSED_PAD src0_sel:WORD_0 src1_sel:DWORD
	v_mul_u32_u24_sdwa v82, v82, v67 dst_sel:DWORD dst_unused:UNUSED_PAD src0_sel:WORD_1 src1_sel:DWORD
	v_mul_u32_u24_sdwa v94, v83, v67 dst_sel:DWORD dst_unused:UNUSED_PAD src0_sel:WORD_0 src1_sel:DWORD
	v_mul_u32_u24_sdwa v83, v83, v67 dst_sel:DWORD dst_unused:UNUSED_PAD src0_sel:WORD_1 src1_sel:DWORD
	v_mul_u32_u24_sdwa v95, v84, v67 dst_sel:DWORD dst_unused:UNUSED_PAD src0_sel:WORD_0 src1_sel:DWORD
	v_mul_u32_u24_sdwa v84, v84, v67 dst_sel:DWORD dst_unused:UNUSED_PAD src0_sel:WORD_1 src1_sel:DWORD
	v_mul_u32_u24_sdwa v96, v85, v67 dst_sel:DWORD dst_unused:UNUSED_PAD src0_sel:WORD_0 src1_sel:DWORD
	v_mul_u32_u24_sdwa v85, v85, v67 dst_sel:DWORD dst_unused:UNUSED_PAD src0_sel:WORD_1 src1_sel:DWORD
	v_pk_fma_f16 v92, v26, v93, v92
	v_pk_fma_f16 v88, v26, v82, v88
	v_pk_fma_f16 v87, v26, v94, v87
	v_pk_fma_f16 v86, v26, v83, v86
	v_pk_fma_f16 v90, v26, v95, v90
	v_pk_fma_f16 v91, v26, v84, v91
	v_pk_fma_f16 v89, v26, v96, v89
	v_pk_fma_f16 v93, v26, v85, v25
	ds_read2_b32 v[25:26], v71 offset0:64 offset1:96
	ds_read_b128 v[82:85], v61 offset:544
	s_waitcnt lgkmcnt(0)
	v_mul_u32_u24_sdwa v94, v82, v67 dst_sel:DWORD dst_unused:UNUSED_PAD src0_sel:WORD_0 src1_sel:DWORD
	v_mul_u32_u24_sdwa v82, v82, v67 dst_sel:DWORD dst_unused:UNUSED_PAD src0_sel:WORD_1 src1_sel:DWORD
	v_mul_u32_u24_sdwa v95, v83, v67 dst_sel:DWORD dst_unused:UNUSED_PAD src0_sel:WORD_0 src1_sel:DWORD
	v_mul_u32_u24_sdwa v83, v83, v67 dst_sel:DWORD dst_unused:UNUSED_PAD src0_sel:WORD_1 src1_sel:DWORD
	v_mul_u32_u24_sdwa v96, v84, v67 dst_sel:DWORD dst_unused:UNUSED_PAD src0_sel:WORD_0 src1_sel:DWORD
	v_mul_u32_u24_sdwa v84, v84, v67 dst_sel:DWORD dst_unused:UNUSED_PAD src0_sel:WORD_1 src1_sel:DWORD
	v_mul_u32_u24_sdwa v97, v85, v67 dst_sel:DWORD dst_unused:UNUSED_PAD src0_sel:WORD_0 src1_sel:DWORD
	v_mul_u32_u24_sdwa v85, v85, v67 dst_sel:DWORD dst_unused:UNUSED_PAD src0_sel:WORD_1 src1_sel:DWORD
	v_pk_fma_f16 v92, v25, v94, v92
	v_pk_fma_f16 v88, v25, v82, v88
	v_pk_fma_f16 v87, v25, v95, v87
	v_pk_fma_f16 v86, v25, v83, v86
	v_pk_fma_f16 v90, v25, v96, v90
	v_pk_fma_f16 v91, v25, v84, v91
	v_pk_fma_f16 v89, v25, v97, v89
	v_pk_fma_f16 v25, v25, v85, v93
	ds_read_b128 v[82:85], v61 offset:560
	s_waitcnt lgkmcnt(0)
	v_mul_u32_u24_sdwa v93, v82, v67 dst_sel:DWORD dst_unused:UNUSED_PAD src0_sel:WORD_0 src1_sel:DWORD
	v_mul_u32_u24_sdwa v82, v82, v67 dst_sel:DWORD dst_unused:UNUSED_PAD src0_sel:WORD_1 src1_sel:DWORD
	v_mul_u32_u24_sdwa v94, v83, v67 dst_sel:DWORD dst_unused:UNUSED_PAD src0_sel:WORD_0 src1_sel:DWORD
	v_mul_u32_u24_sdwa v83, v83, v67 dst_sel:DWORD dst_unused:UNUSED_PAD src0_sel:WORD_1 src1_sel:DWORD
	v_mul_u32_u24_sdwa v95, v84, v67 dst_sel:DWORD dst_unused:UNUSED_PAD src0_sel:WORD_0 src1_sel:DWORD
	v_mul_u32_u24_sdwa v84, v84, v67 dst_sel:DWORD dst_unused:UNUSED_PAD src0_sel:WORD_1 src1_sel:DWORD
	v_mul_u32_u24_sdwa v96, v85, v67 dst_sel:DWORD dst_unused:UNUSED_PAD src0_sel:WORD_0 src1_sel:DWORD
	v_mul_u32_u24_sdwa v85, v85, v67 dst_sel:DWORD dst_unused:UNUSED_PAD src0_sel:WORD_1 src1_sel:DWORD
	v_pk_fma_f16 v92, v26, v93, v92
	v_pk_fma_f16 v88, v26, v82, v88
	v_pk_fma_f16 v87, v26, v94, v87
	v_pk_fma_f16 v86, v26, v83, v86
	v_pk_fma_f16 v90, v26, v95, v90
	v_pk_fma_f16 v91, v26, v84, v91
	v_pk_fma_f16 v89, v26, v96, v89
	v_pk_fma_f16 v93, v26, v85, v25
	ds_read2_b32 v[25:26], v71 offset0:128 offset1:160
	ds_read_b128 v[82:85], v61 offset:576
	s_waitcnt lgkmcnt(0)
	v_mul_u32_u24_sdwa v94, v82, v67 dst_sel:DWORD dst_unused:UNUSED_PAD src0_sel:WORD_0 src1_sel:DWORD
	v_mul_u32_u24_sdwa v82, v82, v67 dst_sel:DWORD dst_unused:UNUSED_PAD src0_sel:WORD_1 src1_sel:DWORD
	v_mul_u32_u24_sdwa v95, v83, v67 dst_sel:DWORD dst_unused:UNUSED_PAD src0_sel:WORD_0 src1_sel:DWORD
	v_mul_u32_u24_sdwa v83, v83, v67 dst_sel:DWORD dst_unused:UNUSED_PAD src0_sel:WORD_1 src1_sel:DWORD
	v_mul_u32_u24_sdwa v96, v84, v67 dst_sel:DWORD dst_unused:UNUSED_PAD src0_sel:WORD_0 src1_sel:DWORD
	v_mul_u32_u24_sdwa v84, v84, v67 dst_sel:DWORD dst_unused:UNUSED_PAD src0_sel:WORD_1 src1_sel:DWORD
	v_mul_u32_u24_sdwa v97, v85, v67 dst_sel:DWORD dst_unused:UNUSED_PAD src0_sel:WORD_0 src1_sel:DWORD
	v_mul_u32_u24_sdwa v85, v85, v67 dst_sel:DWORD dst_unused:UNUSED_PAD src0_sel:WORD_1 src1_sel:DWORD
	v_pk_fma_f16 v92, v25, v94, v92
	v_pk_fma_f16 v88, v25, v82, v88
	v_pk_fma_f16 v87, v25, v95, v87
	v_pk_fma_f16 v86, v25, v83, v86
	v_pk_fma_f16 v90, v25, v96, v90
	v_pk_fma_f16 v91, v25, v84, v91
	v_pk_fma_f16 v89, v25, v97, v89
	v_pk_fma_f16 v25, v25, v85, v93
	ds_read_b128 v[82:85], v61 offset:592
	s_waitcnt lgkmcnt(0)
	v_mul_u32_u24_sdwa v93, v82, v67 dst_sel:DWORD dst_unused:UNUSED_PAD src0_sel:WORD_0 src1_sel:DWORD
	v_mul_u32_u24_sdwa v82, v82, v67 dst_sel:DWORD dst_unused:UNUSED_PAD src0_sel:WORD_1 src1_sel:DWORD
	v_mul_u32_u24_sdwa v94, v83, v67 dst_sel:DWORD dst_unused:UNUSED_PAD src0_sel:WORD_0 src1_sel:DWORD
	v_mul_u32_u24_sdwa v83, v83, v67 dst_sel:DWORD dst_unused:UNUSED_PAD src0_sel:WORD_1 src1_sel:DWORD
	v_mul_u32_u24_sdwa v95, v84, v67 dst_sel:DWORD dst_unused:UNUSED_PAD src0_sel:WORD_0 src1_sel:DWORD
	v_mul_u32_u24_sdwa v84, v84, v67 dst_sel:DWORD dst_unused:UNUSED_PAD src0_sel:WORD_1 src1_sel:DWORD
	v_mul_u32_u24_sdwa v96, v85, v67 dst_sel:DWORD dst_unused:UNUSED_PAD src0_sel:WORD_0 src1_sel:DWORD
	v_mul_u32_u24_sdwa v85, v85, v67 dst_sel:DWORD dst_unused:UNUSED_PAD src0_sel:WORD_1 src1_sel:DWORD
	v_pk_fma_f16 v92, v26, v93, v92
	v_pk_fma_f16 v88, v26, v82, v88
	v_pk_fma_f16 v87, v26, v94, v87
	v_pk_fma_f16 v86, v26, v83, v86
	v_pk_fma_f16 v90, v26, v95, v90
	v_pk_fma_f16 v91, v26, v84, v91
	v_pk_fma_f16 v89, v26, v96, v89
	v_pk_fma_f16 v93, v26, v85, v25
	ds_read2_b32 v[25:26], v71 offset0:192 offset1:224
	ds_read_b128 v[82:85], v61 offset:608
	s_waitcnt lgkmcnt(0)
	v_mul_u32_u24_sdwa v94, v82, v67 dst_sel:DWORD dst_unused:UNUSED_PAD src0_sel:WORD_0 src1_sel:DWORD
	v_mul_u32_u24_sdwa v82, v82, v67 dst_sel:DWORD dst_unused:UNUSED_PAD src0_sel:WORD_1 src1_sel:DWORD
	v_mul_u32_u24_sdwa v95, v83, v67 dst_sel:DWORD dst_unused:UNUSED_PAD src0_sel:WORD_0 src1_sel:DWORD
	v_mul_u32_u24_sdwa v83, v83, v67 dst_sel:DWORD dst_unused:UNUSED_PAD src0_sel:WORD_1 src1_sel:DWORD
	;; [unrolled: 2-line block ×4, first 2 shown]
	v_pk_fma_f16 v92, v25, v94, v92
	v_pk_fma_f16 v88, v25, v82, v88
	;; [unrolled: 1-line block ×8, first 2 shown]
	ds_read_b128 v[82:85], v61 offset:624
	s_waitcnt lgkmcnt(0)
	v_mul_u32_u24_sdwa v93, v82, v67 dst_sel:DWORD dst_unused:UNUSED_PAD src0_sel:WORD_0 src1_sel:DWORD
	v_mul_u32_u24_sdwa v82, v82, v67 dst_sel:DWORD dst_unused:UNUSED_PAD src0_sel:WORD_1 src1_sel:DWORD
	v_mul_u32_u24_sdwa v94, v83, v67 dst_sel:DWORD dst_unused:UNUSED_PAD src0_sel:WORD_0 src1_sel:DWORD
	v_mul_u32_u24_sdwa v83, v83, v67 dst_sel:DWORD dst_unused:UNUSED_PAD src0_sel:WORD_1 src1_sel:DWORD
	;; [unrolled: 2-line block ×4, first 2 shown]
	v_pk_fma_f16 v92, v26, v93, v92
	v_pk_fma_f16 v88, v26, v82, v88
	;; [unrolled: 1-line block ×8, first 2 shown]
	ds_read2_b32 v[25:26], v72 offset1:32
	ds_read_b128 v[82:85], v61 offset:640
	s_waitcnt lgkmcnt(0)
	v_mul_u32_u24_sdwa v94, v82, v67 dst_sel:DWORD dst_unused:UNUSED_PAD src0_sel:WORD_0 src1_sel:DWORD
	v_mul_u32_u24_sdwa v82, v82, v67 dst_sel:DWORD dst_unused:UNUSED_PAD src0_sel:WORD_1 src1_sel:DWORD
	v_mul_u32_u24_sdwa v95, v83, v67 dst_sel:DWORD dst_unused:UNUSED_PAD src0_sel:WORD_0 src1_sel:DWORD
	v_mul_u32_u24_sdwa v83, v83, v67 dst_sel:DWORD dst_unused:UNUSED_PAD src0_sel:WORD_1 src1_sel:DWORD
	v_mul_u32_u24_sdwa v96, v84, v67 dst_sel:DWORD dst_unused:UNUSED_PAD src0_sel:WORD_0 src1_sel:DWORD
	v_mul_u32_u24_sdwa v84, v84, v67 dst_sel:DWORD dst_unused:UNUSED_PAD src0_sel:WORD_1 src1_sel:DWORD
	v_mul_u32_u24_sdwa v97, v85, v67 dst_sel:DWORD dst_unused:UNUSED_PAD src0_sel:WORD_0 src1_sel:DWORD
	v_mul_u32_u24_sdwa v85, v85, v67 dst_sel:DWORD dst_unused:UNUSED_PAD src0_sel:WORD_1 src1_sel:DWORD
	v_pk_fma_f16 v92, v25, v94, v92
	v_pk_fma_f16 v88, v25, v82, v88
	v_pk_fma_f16 v87, v25, v95, v87
	v_pk_fma_f16 v86, v25, v83, v86
	v_pk_fma_f16 v90, v25, v96, v90
	v_pk_fma_f16 v91, v25, v84, v91
	v_pk_fma_f16 v89, v25, v97, v89
	v_pk_fma_f16 v25, v25, v85, v93
	ds_read_b128 v[82:85], v61 offset:656
	s_waitcnt lgkmcnt(0)
	v_mul_u32_u24_sdwa v93, v82, v67 dst_sel:DWORD dst_unused:UNUSED_PAD src0_sel:WORD_0 src1_sel:DWORD
	v_mul_u32_u24_sdwa v82, v82, v67 dst_sel:DWORD dst_unused:UNUSED_PAD src0_sel:WORD_1 src1_sel:DWORD
	v_mul_u32_u24_sdwa v94, v83, v67 dst_sel:DWORD dst_unused:UNUSED_PAD src0_sel:WORD_0 src1_sel:DWORD
	v_mul_u32_u24_sdwa v83, v83, v67 dst_sel:DWORD dst_unused:UNUSED_PAD src0_sel:WORD_1 src1_sel:DWORD
	v_mul_u32_u24_sdwa v95, v84, v67 dst_sel:DWORD dst_unused:UNUSED_PAD src0_sel:WORD_0 src1_sel:DWORD
	v_mul_u32_u24_sdwa v84, v84, v67 dst_sel:DWORD dst_unused:UNUSED_PAD src0_sel:WORD_1 src1_sel:DWORD
	v_mul_u32_u24_sdwa v96, v85, v67 dst_sel:DWORD dst_unused:UNUSED_PAD src0_sel:WORD_0 src1_sel:DWORD
	v_mul_u32_u24_sdwa v85, v85, v67 dst_sel:DWORD dst_unused:UNUSED_PAD src0_sel:WORD_1 src1_sel:DWORD
	v_pk_fma_f16 v92, v26, v93, v92
	v_pk_fma_f16 v88, v26, v82, v88
	v_pk_fma_f16 v87, v26, v94, v87
	v_pk_fma_f16 v86, v26, v83, v86
	v_pk_fma_f16 v90, v26, v95, v90
	v_pk_fma_f16 v91, v26, v84, v91
	v_pk_fma_f16 v89, v26, v96, v89
	v_pk_fma_f16 v93, v26, v85, v25
	ds_read2_b32 v[25:26], v72 offset0:64 offset1:96
	ds_read_b128 v[82:85], v61 offset:672
	s_waitcnt lgkmcnt(0)
	v_mul_u32_u24_sdwa v94, v82, v67 dst_sel:DWORD dst_unused:UNUSED_PAD src0_sel:WORD_0 src1_sel:DWORD
	v_mul_u32_u24_sdwa v82, v82, v67 dst_sel:DWORD dst_unused:UNUSED_PAD src0_sel:WORD_1 src1_sel:DWORD
	v_mul_u32_u24_sdwa v95, v83, v67 dst_sel:DWORD dst_unused:UNUSED_PAD src0_sel:WORD_0 src1_sel:DWORD
	v_mul_u32_u24_sdwa v83, v83, v67 dst_sel:DWORD dst_unused:UNUSED_PAD src0_sel:WORD_1 src1_sel:DWORD
	v_mul_u32_u24_sdwa v96, v84, v67 dst_sel:DWORD dst_unused:UNUSED_PAD src0_sel:WORD_0 src1_sel:DWORD
	v_mul_u32_u24_sdwa v84, v84, v67 dst_sel:DWORD dst_unused:UNUSED_PAD src0_sel:WORD_1 src1_sel:DWORD
	v_mul_u32_u24_sdwa v97, v85, v67 dst_sel:DWORD dst_unused:UNUSED_PAD src0_sel:WORD_0 src1_sel:DWORD
	v_mul_u32_u24_sdwa v85, v85, v67 dst_sel:DWORD dst_unused:UNUSED_PAD src0_sel:WORD_1 src1_sel:DWORD
	v_pk_fma_f16 v92, v25, v94, v92
	v_pk_fma_f16 v88, v25, v82, v88
	v_pk_fma_f16 v87, v25, v95, v87
	v_pk_fma_f16 v86, v25, v83, v86
	v_pk_fma_f16 v90, v25, v96, v90
	v_pk_fma_f16 v91, v25, v84, v91
	v_pk_fma_f16 v89, v25, v97, v89
	v_pk_fma_f16 v25, v25, v85, v93
	ds_read_b128 v[82:85], v61 offset:688
	s_waitcnt lgkmcnt(0)
	v_mul_u32_u24_sdwa v93, v82, v67 dst_sel:DWORD dst_unused:UNUSED_PAD src0_sel:WORD_0 src1_sel:DWORD
	v_mul_u32_u24_sdwa v82, v82, v67 dst_sel:DWORD dst_unused:UNUSED_PAD src0_sel:WORD_1 src1_sel:DWORD
	v_mul_u32_u24_sdwa v94, v83, v67 dst_sel:DWORD dst_unused:UNUSED_PAD src0_sel:WORD_0 src1_sel:DWORD
	v_mul_u32_u24_sdwa v83, v83, v67 dst_sel:DWORD dst_unused:UNUSED_PAD src0_sel:WORD_1 src1_sel:DWORD
	v_mul_u32_u24_sdwa v95, v84, v67 dst_sel:DWORD dst_unused:UNUSED_PAD src0_sel:WORD_0 src1_sel:DWORD
	v_mul_u32_u24_sdwa v84, v84, v67 dst_sel:DWORD dst_unused:UNUSED_PAD src0_sel:WORD_1 src1_sel:DWORD
	v_mul_u32_u24_sdwa v96, v85, v67 dst_sel:DWORD dst_unused:UNUSED_PAD src0_sel:WORD_0 src1_sel:DWORD
	v_mul_u32_u24_sdwa v85, v85, v67 dst_sel:DWORD dst_unused:UNUSED_PAD src0_sel:WORD_1 src1_sel:DWORD
	v_pk_fma_f16 v92, v26, v93, v92
	v_pk_fma_f16 v88, v26, v82, v88
	v_pk_fma_f16 v87, v26, v94, v87
	v_pk_fma_f16 v86, v26, v83, v86
	v_pk_fma_f16 v90, v26, v95, v90
	v_pk_fma_f16 v91, v26, v84, v91
	v_pk_fma_f16 v89, v26, v96, v89
	v_pk_fma_f16 v93, v26, v85, v25
	ds_read2_b32 v[25:26], v72 offset0:128 offset1:160
	;; [unrolled: 37-line block ×3, first 2 shown]
	ds_read_b128 v[82:85], v61 offset:736
	s_waitcnt lgkmcnt(0)
	v_mul_u32_u24_sdwa v94, v82, v67 dst_sel:DWORD dst_unused:UNUSED_PAD src0_sel:WORD_0 src1_sel:DWORD
	v_mul_u32_u24_sdwa v82, v82, v67 dst_sel:DWORD dst_unused:UNUSED_PAD src0_sel:WORD_1 src1_sel:DWORD
	v_mul_u32_u24_sdwa v95, v83, v67 dst_sel:DWORD dst_unused:UNUSED_PAD src0_sel:WORD_0 src1_sel:DWORD
	v_mul_u32_u24_sdwa v83, v83, v67 dst_sel:DWORD dst_unused:UNUSED_PAD src0_sel:WORD_1 src1_sel:DWORD
	;; [unrolled: 2-line block ×4, first 2 shown]
	v_pk_fma_f16 v92, v25, v94, v92
	v_pk_fma_f16 v88, v25, v82, v88
	;; [unrolled: 1-line block ×8, first 2 shown]
	ds_read_b128 v[82:85], v61 offset:752
	s_waitcnt lgkmcnt(0)
	v_mul_u32_u24_sdwa v93, v82, v67 dst_sel:DWORD dst_unused:UNUSED_PAD src0_sel:WORD_0 src1_sel:DWORD
	v_mul_u32_u24_sdwa v82, v82, v67 dst_sel:DWORD dst_unused:UNUSED_PAD src0_sel:WORD_1 src1_sel:DWORD
	v_mul_u32_u24_sdwa v94, v83, v67 dst_sel:DWORD dst_unused:UNUSED_PAD src0_sel:WORD_0 src1_sel:DWORD
	v_mul_u32_u24_sdwa v83, v83, v67 dst_sel:DWORD dst_unused:UNUSED_PAD src0_sel:WORD_1 src1_sel:DWORD
	;; [unrolled: 2-line block ×4, first 2 shown]
	v_pk_fma_f16 v92, v26, v93, v92
	v_pk_fma_f16 v88, v26, v82, v88
	v_pk_fma_f16 v87, v26, v94, v87
	v_pk_fma_f16 v86, v26, v83, v86
	v_pk_fma_f16 v90, v26, v95, v90
	v_pk_fma_f16 v91, v26, v84, v91
	v_pk_fma_f16 v89, v26, v96, v89
	v_pk_fma_f16 v93, v26, v85, v25
	ds_read2_b32 v[25:26], v73 offset1:32
	ds_read_b128 v[82:85], v61 offset:768
	s_waitcnt lgkmcnt(0)
	v_mul_u32_u24_sdwa v94, v82, v67 dst_sel:DWORD dst_unused:UNUSED_PAD src0_sel:WORD_0 src1_sel:DWORD
	v_mul_u32_u24_sdwa v82, v82, v67 dst_sel:DWORD dst_unused:UNUSED_PAD src0_sel:WORD_1 src1_sel:DWORD
	v_mul_u32_u24_sdwa v95, v83, v67 dst_sel:DWORD dst_unused:UNUSED_PAD src0_sel:WORD_0 src1_sel:DWORD
	v_mul_u32_u24_sdwa v83, v83, v67 dst_sel:DWORD dst_unused:UNUSED_PAD src0_sel:WORD_1 src1_sel:DWORD
	v_mul_u32_u24_sdwa v96, v84, v67 dst_sel:DWORD dst_unused:UNUSED_PAD src0_sel:WORD_0 src1_sel:DWORD
	v_mul_u32_u24_sdwa v84, v84, v67 dst_sel:DWORD dst_unused:UNUSED_PAD src0_sel:WORD_1 src1_sel:DWORD
	v_mul_u32_u24_sdwa v97, v85, v67 dst_sel:DWORD dst_unused:UNUSED_PAD src0_sel:WORD_0 src1_sel:DWORD
	v_mul_u32_u24_sdwa v85, v85, v67 dst_sel:DWORD dst_unused:UNUSED_PAD src0_sel:WORD_1 src1_sel:DWORD
	v_pk_fma_f16 v92, v25, v94, v92
	v_pk_fma_f16 v88, v25, v82, v88
	v_pk_fma_f16 v87, v25, v95, v87
	v_pk_fma_f16 v86, v25, v83, v86
	v_pk_fma_f16 v90, v25, v96, v90
	v_pk_fma_f16 v91, v25, v84, v91
	v_pk_fma_f16 v89, v25, v97, v89
	v_pk_fma_f16 v25, v25, v85, v93
	ds_read_b128 v[82:85], v61 offset:784
	s_waitcnt lgkmcnt(0)
	v_mul_u32_u24_sdwa v93, v82, v67 dst_sel:DWORD dst_unused:UNUSED_PAD src0_sel:WORD_0 src1_sel:DWORD
	v_mul_u32_u24_sdwa v82, v82, v67 dst_sel:DWORD dst_unused:UNUSED_PAD src0_sel:WORD_1 src1_sel:DWORD
	v_mul_u32_u24_sdwa v94, v83, v67 dst_sel:DWORD dst_unused:UNUSED_PAD src0_sel:WORD_0 src1_sel:DWORD
	v_mul_u32_u24_sdwa v83, v83, v67 dst_sel:DWORD dst_unused:UNUSED_PAD src0_sel:WORD_1 src1_sel:DWORD
	v_mul_u32_u24_sdwa v95, v84, v67 dst_sel:DWORD dst_unused:UNUSED_PAD src0_sel:WORD_0 src1_sel:DWORD
	v_mul_u32_u24_sdwa v84, v84, v67 dst_sel:DWORD dst_unused:UNUSED_PAD src0_sel:WORD_1 src1_sel:DWORD
	v_mul_u32_u24_sdwa v96, v85, v67 dst_sel:DWORD dst_unused:UNUSED_PAD src0_sel:WORD_0 src1_sel:DWORD
	v_mul_u32_u24_sdwa v85, v85, v67 dst_sel:DWORD dst_unused:UNUSED_PAD src0_sel:WORD_1 src1_sel:DWORD
	v_pk_fma_f16 v92, v26, v93, v92
	v_pk_fma_f16 v88, v26, v82, v88
	v_pk_fma_f16 v87, v26, v94, v87
	v_pk_fma_f16 v86, v26, v83, v86
	v_pk_fma_f16 v90, v26, v95, v90
	v_pk_fma_f16 v91, v26, v84, v91
	v_pk_fma_f16 v89, v26, v96, v89
	v_pk_fma_f16 v93, v26, v85, v25
	ds_read2_b32 v[25:26], v73 offset0:64 offset1:96
	ds_read_b128 v[82:85], v61 offset:800
	s_waitcnt lgkmcnt(0)
	v_mul_u32_u24_sdwa v94, v82, v67 dst_sel:DWORD dst_unused:UNUSED_PAD src0_sel:WORD_0 src1_sel:DWORD
	v_mul_u32_u24_sdwa v82, v82, v67 dst_sel:DWORD dst_unused:UNUSED_PAD src0_sel:WORD_1 src1_sel:DWORD
	v_mul_u32_u24_sdwa v95, v83, v67 dst_sel:DWORD dst_unused:UNUSED_PAD src0_sel:WORD_0 src1_sel:DWORD
	v_mul_u32_u24_sdwa v83, v83, v67 dst_sel:DWORD dst_unused:UNUSED_PAD src0_sel:WORD_1 src1_sel:DWORD
	v_mul_u32_u24_sdwa v96, v84, v67 dst_sel:DWORD dst_unused:UNUSED_PAD src0_sel:WORD_0 src1_sel:DWORD
	v_mul_u32_u24_sdwa v84, v84, v67 dst_sel:DWORD dst_unused:UNUSED_PAD src0_sel:WORD_1 src1_sel:DWORD
	v_mul_u32_u24_sdwa v97, v85, v67 dst_sel:DWORD dst_unused:UNUSED_PAD src0_sel:WORD_0 src1_sel:DWORD
	v_mul_u32_u24_sdwa v85, v85, v67 dst_sel:DWORD dst_unused:UNUSED_PAD src0_sel:WORD_1 src1_sel:DWORD
	v_pk_fma_f16 v92, v25, v94, v92
	v_pk_fma_f16 v88, v25, v82, v88
	v_pk_fma_f16 v87, v25, v95, v87
	v_pk_fma_f16 v86, v25, v83, v86
	v_pk_fma_f16 v90, v25, v96, v90
	v_pk_fma_f16 v91, v25, v84, v91
	v_pk_fma_f16 v89, v25, v97, v89
	v_pk_fma_f16 v25, v25, v85, v93
	ds_read_b128 v[82:85], v61 offset:816
	s_waitcnt lgkmcnt(0)
	v_mul_u32_u24_sdwa v93, v82, v67 dst_sel:DWORD dst_unused:UNUSED_PAD src0_sel:WORD_0 src1_sel:DWORD
	v_mul_u32_u24_sdwa v82, v82, v67 dst_sel:DWORD dst_unused:UNUSED_PAD src0_sel:WORD_1 src1_sel:DWORD
	v_mul_u32_u24_sdwa v94, v83, v67 dst_sel:DWORD dst_unused:UNUSED_PAD src0_sel:WORD_0 src1_sel:DWORD
	v_mul_u32_u24_sdwa v83, v83, v67 dst_sel:DWORD dst_unused:UNUSED_PAD src0_sel:WORD_1 src1_sel:DWORD
	v_mul_u32_u24_sdwa v95, v84, v67 dst_sel:DWORD dst_unused:UNUSED_PAD src0_sel:WORD_0 src1_sel:DWORD
	v_mul_u32_u24_sdwa v84, v84, v67 dst_sel:DWORD dst_unused:UNUSED_PAD src0_sel:WORD_1 src1_sel:DWORD
	v_mul_u32_u24_sdwa v96, v85, v67 dst_sel:DWORD dst_unused:UNUSED_PAD src0_sel:WORD_0 src1_sel:DWORD
	v_mul_u32_u24_sdwa v85, v85, v67 dst_sel:DWORD dst_unused:UNUSED_PAD src0_sel:WORD_1 src1_sel:DWORD
	v_pk_fma_f16 v92, v26, v93, v92
	v_pk_fma_f16 v88, v26, v82, v88
	v_pk_fma_f16 v87, v26, v94, v87
	v_pk_fma_f16 v86, v26, v83, v86
	v_pk_fma_f16 v90, v26, v95, v90
	v_pk_fma_f16 v91, v26, v84, v91
	v_pk_fma_f16 v89, v26, v96, v89
	v_pk_fma_f16 v93, v26, v85, v25
	ds_read2_b32 v[25:26], v73 offset0:128 offset1:160
	;; [unrolled: 37-line block ×3, first 2 shown]
	ds_read_b128 v[82:85], v61 offset:864
	s_waitcnt lgkmcnt(0)
	v_mul_u32_u24_sdwa v94, v82, v67 dst_sel:DWORD dst_unused:UNUSED_PAD src0_sel:WORD_0 src1_sel:DWORD
	v_mul_u32_u24_sdwa v82, v82, v67 dst_sel:DWORD dst_unused:UNUSED_PAD src0_sel:WORD_1 src1_sel:DWORD
	v_mul_u32_u24_sdwa v95, v83, v67 dst_sel:DWORD dst_unused:UNUSED_PAD src0_sel:WORD_0 src1_sel:DWORD
	v_mul_u32_u24_sdwa v83, v83, v67 dst_sel:DWORD dst_unused:UNUSED_PAD src0_sel:WORD_1 src1_sel:DWORD
	;; [unrolled: 2-line block ×4, first 2 shown]
	v_pk_fma_f16 v92, v25, v94, v92
	v_pk_fma_f16 v88, v25, v82, v88
	;; [unrolled: 1-line block ×8, first 2 shown]
	ds_read_b128 v[82:85], v61 offset:880
	s_waitcnt lgkmcnt(0)
	v_mul_u32_u24_sdwa v93, v82, v67 dst_sel:DWORD dst_unused:UNUSED_PAD src0_sel:WORD_0 src1_sel:DWORD
	v_mul_u32_u24_sdwa v82, v82, v67 dst_sel:DWORD dst_unused:UNUSED_PAD src0_sel:WORD_1 src1_sel:DWORD
	v_mul_u32_u24_sdwa v94, v83, v67 dst_sel:DWORD dst_unused:UNUSED_PAD src0_sel:WORD_0 src1_sel:DWORD
	v_mul_u32_u24_sdwa v83, v83, v67 dst_sel:DWORD dst_unused:UNUSED_PAD src0_sel:WORD_1 src1_sel:DWORD
	v_mul_u32_u24_sdwa v95, v84, v67 dst_sel:DWORD dst_unused:UNUSED_PAD src0_sel:WORD_0 src1_sel:DWORD
	v_mul_u32_u24_sdwa v84, v84, v67 dst_sel:DWORD dst_unused:UNUSED_PAD src0_sel:WORD_1 src1_sel:DWORD
	v_mul_u32_u24_sdwa v96, v85, v67 dst_sel:DWORD dst_unused:UNUSED_PAD src0_sel:WORD_0 src1_sel:DWORD
	v_mul_u32_u24_sdwa v85, v85, v67 dst_sel:DWORD dst_unused:UNUSED_PAD src0_sel:WORD_1 src1_sel:DWORD
	v_pk_fma_f16 v92, v26, v93, v92
	v_pk_fma_f16 v88, v26, v82, v88
	;; [unrolled: 1-line block ×8, first 2 shown]
	ds_read2_b32 v[25:26], v74 offset1:32
	ds_read_b128 v[82:85], v61 offset:896
	s_waitcnt lgkmcnt(0)
	v_mul_u32_u24_sdwa v94, v82, v67 dst_sel:DWORD dst_unused:UNUSED_PAD src0_sel:WORD_0 src1_sel:DWORD
	v_mul_u32_u24_sdwa v82, v82, v67 dst_sel:DWORD dst_unused:UNUSED_PAD src0_sel:WORD_1 src1_sel:DWORD
	v_mul_u32_u24_sdwa v95, v83, v67 dst_sel:DWORD dst_unused:UNUSED_PAD src0_sel:WORD_0 src1_sel:DWORD
	v_mul_u32_u24_sdwa v83, v83, v67 dst_sel:DWORD dst_unused:UNUSED_PAD src0_sel:WORD_1 src1_sel:DWORD
	v_mul_u32_u24_sdwa v96, v84, v67 dst_sel:DWORD dst_unused:UNUSED_PAD src0_sel:WORD_0 src1_sel:DWORD
	v_mul_u32_u24_sdwa v84, v84, v67 dst_sel:DWORD dst_unused:UNUSED_PAD src0_sel:WORD_1 src1_sel:DWORD
	v_mul_u32_u24_sdwa v97, v85, v67 dst_sel:DWORD dst_unused:UNUSED_PAD src0_sel:WORD_0 src1_sel:DWORD
	v_mul_u32_u24_sdwa v85, v85, v67 dst_sel:DWORD dst_unused:UNUSED_PAD src0_sel:WORD_1 src1_sel:DWORD
	v_pk_fma_f16 v92, v25, v94, v92
	v_pk_fma_f16 v88, v25, v82, v88
	v_pk_fma_f16 v87, v25, v95, v87
	v_pk_fma_f16 v86, v25, v83, v86
	v_pk_fma_f16 v90, v25, v96, v90
	v_pk_fma_f16 v91, v25, v84, v91
	v_pk_fma_f16 v89, v25, v97, v89
	v_pk_fma_f16 v25, v25, v85, v93
	ds_read_b128 v[82:85], v61 offset:912
	s_waitcnt lgkmcnt(0)
	v_mul_u32_u24_sdwa v93, v82, v67 dst_sel:DWORD dst_unused:UNUSED_PAD src0_sel:WORD_0 src1_sel:DWORD
	v_mul_u32_u24_sdwa v82, v82, v67 dst_sel:DWORD dst_unused:UNUSED_PAD src0_sel:WORD_1 src1_sel:DWORD
	v_mul_u32_u24_sdwa v94, v83, v67 dst_sel:DWORD dst_unused:UNUSED_PAD src0_sel:WORD_0 src1_sel:DWORD
	v_mul_u32_u24_sdwa v83, v83, v67 dst_sel:DWORD dst_unused:UNUSED_PAD src0_sel:WORD_1 src1_sel:DWORD
	v_mul_u32_u24_sdwa v95, v84, v67 dst_sel:DWORD dst_unused:UNUSED_PAD src0_sel:WORD_0 src1_sel:DWORD
	v_mul_u32_u24_sdwa v84, v84, v67 dst_sel:DWORD dst_unused:UNUSED_PAD src0_sel:WORD_1 src1_sel:DWORD
	v_mul_u32_u24_sdwa v96, v85, v67 dst_sel:DWORD dst_unused:UNUSED_PAD src0_sel:WORD_0 src1_sel:DWORD
	v_mul_u32_u24_sdwa v85, v85, v67 dst_sel:DWORD dst_unused:UNUSED_PAD src0_sel:WORD_1 src1_sel:DWORD
	v_pk_fma_f16 v92, v26, v93, v92
	v_pk_fma_f16 v88, v26, v82, v88
	v_pk_fma_f16 v87, v26, v94, v87
	v_pk_fma_f16 v86, v26, v83, v86
	v_pk_fma_f16 v90, v26, v95, v90
	v_pk_fma_f16 v91, v26, v84, v91
	v_pk_fma_f16 v89, v26, v96, v89
	v_pk_fma_f16 v93, v26, v85, v25
	ds_read2_b32 v[25:26], v74 offset0:64 offset1:96
	ds_read_b128 v[82:85], v61 offset:928
	s_waitcnt lgkmcnt(0)
	v_mul_u32_u24_sdwa v94, v82, v67 dst_sel:DWORD dst_unused:UNUSED_PAD src0_sel:WORD_0 src1_sel:DWORD
	v_mul_u32_u24_sdwa v82, v82, v67 dst_sel:DWORD dst_unused:UNUSED_PAD src0_sel:WORD_1 src1_sel:DWORD
	v_mul_u32_u24_sdwa v95, v83, v67 dst_sel:DWORD dst_unused:UNUSED_PAD src0_sel:WORD_0 src1_sel:DWORD
	v_mul_u32_u24_sdwa v83, v83, v67 dst_sel:DWORD dst_unused:UNUSED_PAD src0_sel:WORD_1 src1_sel:DWORD
	v_mul_u32_u24_sdwa v96, v84, v67 dst_sel:DWORD dst_unused:UNUSED_PAD src0_sel:WORD_0 src1_sel:DWORD
	v_mul_u32_u24_sdwa v84, v84, v67 dst_sel:DWORD dst_unused:UNUSED_PAD src0_sel:WORD_1 src1_sel:DWORD
	v_mul_u32_u24_sdwa v97, v85, v67 dst_sel:DWORD dst_unused:UNUSED_PAD src0_sel:WORD_0 src1_sel:DWORD
	v_mul_u32_u24_sdwa v85, v85, v67 dst_sel:DWORD dst_unused:UNUSED_PAD src0_sel:WORD_1 src1_sel:DWORD
	v_pk_fma_f16 v92, v25, v94, v92
	v_pk_fma_f16 v88, v25, v82, v88
	v_pk_fma_f16 v87, v25, v95, v87
	v_pk_fma_f16 v86, v25, v83, v86
	v_pk_fma_f16 v90, v25, v96, v90
	v_pk_fma_f16 v91, v25, v84, v91
	v_pk_fma_f16 v89, v25, v97, v89
	v_pk_fma_f16 v25, v25, v85, v93
	ds_read_b128 v[82:85], v61 offset:944
	s_waitcnt lgkmcnt(0)
	v_mul_u32_u24_sdwa v93, v82, v67 dst_sel:DWORD dst_unused:UNUSED_PAD src0_sel:WORD_0 src1_sel:DWORD
	v_mul_u32_u24_sdwa v82, v82, v67 dst_sel:DWORD dst_unused:UNUSED_PAD src0_sel:WORD_1 src1_sel:DWORD
	v_mul_u32_u24_sdwa v94, v83, v67 dst_sel:DWORD dst_unused:UNUSED_PAD src0_sel:WORD_0 src1_sel:DWORD
	v_mul_u32_u24_sdwa v83, v83, v67 dst_sel:DWORD dst_unused:UNUSED_PAD src0_sel:WORD_1 src1_sel:DWORD
	v_mul_u32_u24_sdwa v95, v84, v67 dst_sel:DWORD dst_unused:UNUSED_PAD src0_sel:WORD_0 src1_sel:DWORD
	v_mul_u32_u24_sdwa v84, v84, v67 dst_sel:DWORD dst_unused:UNUSED_PAD src0_sel:WORD_1 src1_sel:DWORD
	v_mul_u32_u24_sdwa v96, v85, v67 dst_sel:DWORD dst_unused:UNUSED_PAD src0_sel:WORD_0 src1_sel:DWORD
	v_mul_u32_u24_sdwa v85, v85, v67 dst_sel:DWORD dst_unused:UNUSED_PAD src0_sel:WORD_1 src1_sel:DWORD
	v_pk_fma_f16 v92, v26, v93, v92
	v_pk_fma_f16 v88, v26, v82, v88
	v_pk_fma_f16 v87, v26, v94, v87
	v_pk_fma_f16 v86, v26, v83, v86
	v_pk_fma_f16 v90, v26, v95, v90
	v_pk_fma_f16 v91, v26, v84, v91
	v_pk_fma_f16 v89, v26, v96, v89
	v_pk_fma_f16 v93, v26, v85, v25
	ds_read2_b32 v[25:26], v74 offset0:128 offset1:160
	;; [unrolled: 37-line block ×3, first 2 shown]
	ds_read_b128 v[82:85], v61 offset:992
	s_waitcnt lgkmcnt(0)
	v_mul_u32_u24_sdwa v95, v82, v67 dst_sel:DWORD dst_unused:UNUSED_PAD src0_sel:WORD_1 src1_sel:DWORD
	v_mul_u32_u24_sdwa v96, v83, v67 dst_sel:DWORD dst_unused:UNUSED_PAD src0_sel:WORD_0 src1_sel:DWORD
	v_mul_u32_u24_sdwa v97, v83, v67 dst_sel:DWORD dst_unused:UNUSED_PAD src0_sel:WORD_1 src1_sel:DWORD
	v_mul_u32_u24_sdwa v98, v84, v67 dst_sel:DWORD dst_unused:UNUSED_PAD src0_sel:WORD_0 src1_sel:DWORD
	;; [unrolled: 2-line block ×3, first 2 shown]
	v_mul_u32_u24_sdwa v101, v85, v67 dst_sel:DWORD dst_unused:UNUSED_PAD src0_sel:WORD_1 src1_sel:DWORD
	v_pk_fma_f16 v83, v25, v95, v88
	v_pk_fma_f16 v84, v25, v96, v87
	;; [unrolled: 1-line block ×4, first 2 shown]
	ds_read_b128 v[95:98], v61 offset:1008
	s_waitcnt lgkmcnt(0)
	s_barrier
	buffer_gl0_inv
	s_load_dword s6, s[0:1], 0x4
	v_mul_u32_u24_sdwa v94, v82, v67 dst_sel:DWORD dst_unused:UNUSED_PAD src0_sel:WORD_0 src1_sel:DWORD
	v_pk_fma_f16 v91, v25, v99, v91
	v_pk_fma_f16 v82, v25, v94, v92
	;; [unrolled: 1-line block ×4, first 2 shown]
	v_mul_u32_u24_sdwa v86, v95, v67 dst_sel:DWORD dst_unused:UNUSED_PAD src0_sel:WORD_0 src1_sel:DWORD
	v_mul_u32_u24_sdwa v87, v95, v67 dst_sel:DWORD dst_unused:UNUSED_PAD src0_sel:WORD_1 src1_sel:DWORD
	v_mul_u32_u24_sdwa v93, v96, v67 dst_sel:DWORD dst_unused:UNUSED_PAD src0_sel:WORD_0 src1_sel:DWORD
	v_mul_u32_u24_sdwa v94, v96, v67 dst_sel:DWORD dst_unused:UNUSED_PAD src0_sel:WORD_1 src1_sel:DWORD
	;; [unrolled: 2-line block ×4, first 2 shown]
	s_waitcnt lgkmcnt(0)
	s_lshl_b32 s6, s6, 6
	v_pk_fma_f16 v89, v26, v86, v82
	v_pk_fma_f16 v88, v26, v87, v83
	;; [unrolled: 1-line block ×8, first 2 shown]
	s_add_i32 s8, s6, s8
	s_cmp_ge_i32 s8, s34
	s_cbranch_scc0 .LBB37_9
; %bb.10:
	v_mov_b32_e32 v9, v41
.LBB37_11:
	v_lshlrev_b32_e32 v41, 1, v0
	v_cmp_lt_i32_e32 vcc_lo, v49, v42
	s_cmp_lg_u64 s[16:17], 0
	s_cselect_b32 s0, -1, 0
	s_cmp_eq_u32 s28, 0
	v_cndmask_b32_e32 v10, v9, v49, vcc_lo
	v_cmp_lt_i32_e32 vcc_lo, v46, v42
	s_cselect_b32 s1, -1, 0
	s_and_b32 s0, s1, s0
	v_lshlrev_b32_e32 v10, 2, v10
	v_cndmask_b32_e32 v18, v9, v46, vcc_lo
	v_cmp_lt_i32_e32 vcc_lo, v45, v42
	ds_bpermute_b32 v11, v10, v75
	ds_bpermute_b32 v12, v10, v76
	;; [unrolled: 1-line block ×8, first 2 shown]
	v_lshlrev_b32_e32 v18, 2, v18
	v_cndmask_b32_e32 v26, v9, v45, vcc_lo
	v_cmp_lt_i32_e32 vcc_lo, v44, v42
	v_lshlrev_b32_e32 v26, 2, v26
	s_waitcnt lgkmcnt(7)
	v_add_f32_e32 v11, v75, v11
	s_waitcnt lgkmcnt(6)
	v_add_f32_e32 v12, v76, v12
	;; [unrolled: 2-line block ×8, first 2 shown]
	ds_bpermute_b32 v19, v18, v11
	ds_bpermute_b32 v20, v18, v12
	;; [unrolled: 1-line block ×8, first 2 shown]
	s_waitcnt lgkmcnt(7)
	v_add_f32_e32 v11, v11, v19
	s_waitcnt lgkmcnt(6)
	v_add_f32_e32 v12, v12, v20
	;; [unrolled: 2-line block ×8, first 2 shown]
	ds_bpermute_b32 v18, v26, v11
	ds_bpermute_b32 v19, v26, v12
	;; [unrolled: 1-line block ×8, first 2 shown]
	v_cndmask_b32_e32 v26, v9, v44, vcc_lo
	v_cmp_lt_i32_e32 vcc_lo, v43, v42
	v_lshlrev_b32_e32 v26, 2, v26
	v_cndmask_b32_e32 v9, v9, v43, vcc_lo
	s_and_b32 vcc_lo, exec_lo, s0
	v_lshlrev_b32_e32 v9, 2, v9
	s_waitcnt lgkmcnt(7)
	v_add_f32_e32 v11, v11, v18
	s_waitcnt lgkmcnt(6)
	v_add_f32_e32 v12, v12, v19
	;; [unrolled: 2-line block ×8, first 2 shown]
	ds_bpermute_b32 v18, v26, v11
	ds_bpermute_b32 v19, v26, v12
	;; [unrolled: 1-line block ×8, first 2 shown]
	s_waitcnt lgkmcnt(7)
	v_add_f32_e32 v11, v11, v18
	s_waitcnt lgkmcnt(6)
	v_add_f32_e32 v12, v12, v19
	;; [unrolled: 2-line block ×8, first 2 shown]
	ds_bpermute_b32 v10, v9, v11
	ds_bpermute_b32 v19, v9, v12
	;; [unrolled: 1-line block ×8, first 2 shown]
	s_waitcnt lgkmcnt(7)
	v_add_f32_e32 v9, v11, v10
	s_waitcnt lgkmcnt(6)
	v_add_f32_e32 v10, v12, v19
	;; [unrolled: 2-line block ×8, first 2 shown]
	s_cbranch_vccz .LBB37_13
; %bb.12:
	s_ashr_i32 s31, s30, 31
	v_mov_b32_e32 v17, 0
	s_lshl_b64 s[0:1], s[30:31], 2
	v_max_f32_e32 v18, v2, v2
	s_add_u32 s0, s16, s0
	s_addc_u32 s1, s17, s1
	v_max_f32_e32 v19, v3, v3
	global_load_dwordx2 v[42:43], v17, s[0:1]
	v_max_f32_e32 v17, v1, v1
	v_max_f32_e32 v20, v4, v4
	;; [unrolled: 1-line block ×6, first 2 shown]
	v_mov_b32_e32 v25, 0x10001
	s_waitcnt vmcnt(0)
	v_max_f32_e32 v23, v42, v42
	v_max_f32_e32 v24, v43, v43
	;; [unrolled: 1-line block ×10, first 2 shown]
	v_sub_f32_e32 v26, v1, v17
	v_sub_f32_e32 v45, v2, v18
	;; [unrolled: 1-line block ×8, first 2 shown]
	v_mov_b32_e32 v1, v17
	v_sub_f32_e32 v44, v42, v17
	v_mov_b32_e32 v2, v18
	v_mov_b32_e32 v3, v19
	;; [unrolled: 1-line block ×7, first 2 shown]
	v_mul_f32_e32 v17, 0x3fb8aa3b, v26
	v_sub_f32_e32 v46, v43, v18
	v_mul_f32_e32 v18, 0x3fb8aa3b, v44
	v_sub_f32_e32 v48, v42, v19
	v_mul_f32_e32 v19, 0x3fb8aa3b, v45
	v_fma_f32 v65, 0x3fb8aa3b, v26, -v17
	v_rndne_f32_e32 v66, v17
	v_fma_f32 v67, 0x3fb8aa3b, v44, -v18
	v_rndne_f32_e32 v68, v18
	v_sub_f32_e32 v50, v43, v20
	v_fmac_f32_e32 v65, 0x32a5705f, v26
	v_sub_f32_e32 v17, v17, v66
	v_mul_f32_e32 v20, 0x3fb8aa3b, v46
	v_fma_f32 v69, 0x3fb8aa3b, v45, -v19
	v_rndne_f32_e32 v70, v19
	v_fmac_f32_e32 v67, 0x32a5705f, v44
	v_sub_f32_e32 v18, v18, v68
	v_add_f32_e32 v17, v17, v65
	v_sub_f32_e32 v52, v42, v21
	v_mul_f32_e32 v21, 0x3fb8aa3b, v47
	v_fma_f32 v71, 0x3fb8aa3b, v46, -v20
	v_rndne_f32_e32 v72, v20
	v_fmac_f32_e32 v69, 0x32a5705f, v45
	v_sub_f32_e32 v19, v19, v70
	v_add_f32_e32 v18, v18, v67
	v_exp_f32_e32 v17, v17
	v_sub_f32_e32 v54, v43, v22
	v_mul_f32_e32 v22, 0x3fb8aa3b, v48
	v_fma_f32 v73, 0x3fb8aa3b, v47, -v21
	v_rndne_f32_e32 v74, v21
	v_cvt_i32_f32_e32 v66, v66
	v_fmac_f32_e32 v71, 0x32a5705f, v46
	v_sub_f32_e32 v20, v20, v72
	v_add_f32_e32 v19, v19, v69
	v_exp_f32_e32 v18, v18
	v_sub_f32_e32 v42, v42, v23
	v_mul_f32_e32 v23, 0x3fb8aa3b, v49
	v_fma_f32 v75, 0x3fb8aa3b, v48, -v22
	v_rndne_f32_e32 v76, v22
	v_cvt_i32_f32_e32 v68, v68
	v_fmac_f32_e32 v73, 0x32a5705f, v47
	v_sub_f32_e32 v21, v21, v74
	v_add_f32_e32 v20, v20, v71
	v_exp_f32_e32 v19, v19
	v_ldexp_f32 v17, v17, v66
	v_cmp_ngt_f32_e32 vcc_lo, 0xc2ce8ed0, v26
	v_sub_f32_e32 v43, v43, v24
	v_mul_f32_e32 v24, 0x3fb8aa3b, v50
	v_fma_f32 v77, 0x3fb8aa3b, v49, -v23
	v_rndne_f32_e32 v78, v23
	v_cvt_i32_f32_e32 v70, v70
	v_fmac_f32_e32 v75, 0x32a5705f, v48
	v_sub_f32_e32 v22, v22, v76
	v_add_f32_e32 v21, v21, v73
	v_exp_f32_e32 v20, v20
	v_ldexp_f32 v18, v18, v68
	v_cndmask_b32_e32 v17, 0, v17, vcc_lo
	v_cmp_ngt_f32_e32 vcc_lo, 0xc2ce8ed0, v44
	v_mul_f32_e32 v57, 0x3fb8aa3b, v51
	v_fma_f32 v79, 0x3fb8aa3b, v50, -v24
	v_rndne_f32_e32 v80, v24
	v_cvt_i32_f32_e32 v72, v72
	v_fmac_f32_e32 v77, 0x32a5705f, v49
	v_sub_f32_e32 v23, v23, v78
	v_add_f32_e32 v22, v22, v75
	v_exp_f32_e32 v21, v21
	v_ldexp_f32 v19, v19, v70
	v_cndmask_b32_e32 v18, 0, v18, vcc_lo
	v_cmp_ngt_f32_e32 vcc_lo, 0xc2ce8ed0, v45
	;; [unrolled: 11-line block ×9, first 2 shown]
	v_fma_f32 v103, 0x3fb8aa3b, v43, -v64
	v_rndne_f32_e32 v104, v64
	v_cvt_i32_f32_e32 v96, v96
	v_fmac_f32_e32 v101, 0x32a5705f, v56
	v_sub_f32_e32 v63, v63, v102
	v_add_f32_e32 v62, v62, v99
	v_exp_f32_e32 v61, v61
	v_ldexp_f32 v59, v59, v94
	v_cndmask_b32_e32 v58, 0, v58, vcc_lo
	v_cmp_ngt_f32_e32 vcc_lo, 0xc2ce8ed0, v53
	v_cvt_i32_f32_e32 v98, v98
	v_fmac_f32_e32 v103, 0x32a5705f, v43
	v_sub_f32_e32 v64, v64, v104
	v_add_f32_e32 v63, v63, v101
	v_exp_f32_e32 v62, v62
	v_ldexp_f32 v60, v60, v96
	v_cndmask_b32_e32 v59, 0, v59, vcc_lo
	v_cmp_ngt_f32_e32 vcc_lo, 0xc2ce8ed0, v54
	v_cvt_i32_f32_e32 v100, v100
	v_add_f32_e32 v64, v64, v103
	v_exp_f32_e32 v63, v63
	v_ldexp_f32 v61, v61, v98
	v_cndmask_b32_e32 v60, 0, v60, vcc_lo
	v_cmp_ngt_f32_e32 vcc_lo, 0xc2ce8ed0, v55
	v_cvt_i32_f32_e32 v102, v102
	v_exp_f32_e32 v64, v64
	v_ldexp_f32 v62, v62, v100
	v_cvt_i32_f32_e32 v104, v104
	v_cndmask_b32_e32 v61, 0, v61, vcc_lo
	v_cmp_ngt_f32_e32 vcc_lo, 0xc2ce8ed0, v42
	v_ldexp_f32 v63, v63, v102
	v_cndmask_b32_e32 v62, 0, v62, vcc_lo
	v_cmp_ngt_f32_e32 vcc_lo, 0xc2ce8ed0, v56
	v_ldexp_f32 v64, v64, v104
	v_cndmask_b32_e32 v63, 0, v63, vcc_lo
	v_cmp_ngt_f32_e32 vcc_lo, 0xc2ce8ed0, v43
	v_cndmask_b32_e32 v64, 0, v64, vcc_lo
	v_cmp_nlt_f32_e32 vcc_lo, 0x42b17218, v26
	v_cndmask_b32_e32 v26, 0x7f800000, v17, vcc_lo
	v_cmp_nlt_f32_e32 vcc_lo, 0x42b17218, v44
	;; [unrolled: 2-line block ×3, first 2 shown]
	v_fmac_f32_e32 v17, v9, v26
	v_cndmask_b32_e32 v44, 0x7f800000, v19, vcc_lo
	v_cmp_nlt_f32_e32 vcc_lo, 0x42b17218, v46
	v_cvt_f16_f32_e32 v9, v26
	v_cndmask_b32_e32 v18, 0x7f800000, v20, vcc_lo
	v_cmp_nlt_f32_e32 vcc_lo, 0x42b17218, v47
	v_mul_u32_u24_sdwa v26, v9, v25 dst_sel:DWORD dst_unused:UNUSED_PAD src0_sel:WORD_0 src1_sel:DWORD
	v_mov_b32_e32 v9, v17
	v_fmac_f32_e32 v18, v10, v44
	v_cndmask_b32_e32 v45, 0x7f800000, v21, vcc_lo
	v_cmp_nlt_f32_e32 vcc_lo, 0x42b17218, v48
	v_cvt_f16_f32_e32 v10, v44
	v_pk_mul_f16 v89, v89, v26
	v_cndmask_b32_e32 v19, 0x7f800000, v22, vcc_lo
	v_cmp_nlt_f32_e32 vcc_lo, 0x42b17218, v49
	v_fmac_f32_e32 v19, v11, v45
	v_cndmask_b32_e32 v46, 0x7f800000, v23, vcc_lo
	v_cmp_nlt_f32_e32 vcc_lo, 0x42b17218, v50
	v_cvt_f16_f32_e32 v11, v45
	v_cndmask_b32_e32 v20, 0x7f800000, v24, vcc_lo
	v_cmp_nlt_f32_e32 vcc_lo, 0x42b17218, v51
	v_fmac_f32_e32 v20, v12, v46
	v_cndmask_b32_e32 v47, 0x7f800000, v57, vcc_lo
	v_cmp_nlt_f32_e32 vcc_lo, 0x42b17218, v52
	v_cvt_f16_f32_e32 v12, v46
	v_cndmask_b32_e32 v21, 0x7f800000, v58, vcc_lo
	v_cmp_nlt_f32_e32 vcc_lo, 0x42b17218, v53
	v_mul_u32_u24_sdwa v44, v12, v25 dst_sel:DWORD dst_unused:UNUSED_PAD src0_sel:WORD_0 src1_sel:DWORD
	v_mov_b32_e32 v12, v20
	v_fmac_f32_e32 v21, v13, v47
	v_cndmask_b32_e32 v48, 0x7f800000, v59, vcc_lo
	v_cmp_nlt_f32_e32 vcc_lo, 0x42b17218, v54
	v_cvt_f16_f32_e32 v13, v47
	v_pk_mul_f16 v86, v86, v44
	v_cndmask_b32_e32 v22, 0x7f800000, v60, vcc_lo
	v_cmp_nlt_f32_e32 vcc_lo, 0x42b17218, v55
	v_mul_u32_u24_sdwa v45, v13, v25 dst_sel:DWORD dst_unused:UNUSED_PAD src0_sel:WORD_0 src1_sel:DWORD
	v_mov_b32_e32 v13, v21
	v_fmac_f32_e32 v22, v14, v48
	v_cndmask_b32_e32 v49, 0x7f800000, v61, vcc_lo
	v_cmp_nlt_f32_e32 vcc_lo, 0x42b17218, v42
	v_cvt_f16_f32_e32 v14, v48
	v_pk_mul_f16 v85, v85, v45
	v_cndmask_b32_e32 v23, 0x7f800000, v62, vcc_lo
	v_cmp_nlt_f32_e32 vcc_lo, 0x42b17218, v56
	v_mul_u32_u24_sdwa v46, v14, v25 dst_sel:DWORD dst_unused:UNUSED_PAD src0_sel:WORD_0 src1_sel:DWORD
	v_mov_b32_e32 v14, v22
	v_fmac_f32_e32 v23, v15, v49
	v_cndmask_b32_e32 v42, 0x7f800000, v63, vcc_lo
	v_cmp_nlt_f32_e32 vcc_lo, 0x42b17218, v43
	v_cvt_f16_f32_e32 v15, v49
	v_mul_u32_u24_sdwa v43, v11, v25 dst_sel:DWORD dst_unused:UNUSED_PAD src0_sel:WORD_0 src1_sel:DWORD
	v_mov_b32_e32 v11, v19
	v_pk_mul_f16 v84, v84, v46
	v_cndmask_b32_e32 v24, 0x7f800000, v64, vcc_lo
	v_mul_u32_u24_sdwa v47, v15, v25 dst_sel:DWORD dst_unused:UNUSED_PAD src0_sel:WORD_0 src1_sel:DWORD
	v_mov_b32_e32 v15, v23
	v_pk_mul_f16 v87, v87, v43
	v_fmac_f32_e32 v24, v16, v42
	v_cvt_f16_f32_e32 v16, v42
	v_mul_u32_u24_sdwa v42, v10, v25 dst_sel:DWORD dst_unused:UNUSED_PAD src0_sel:WORD_0 src1_sel:DWORD
	v_mov_b32_e32 v10, v18
	v_pk_mul_f16 v83, v83, v47
	v_mul_u32_u24_sdwa v16, v16, v25 dst_sel:DWORD dst_unused:UNUSED_PAD src0_sel:WORD_0 src1_sel:DWORD
	v_pk_mul_f16 v88, v88, v42
	v_pk_mul_f16 v82, v82, v16
	v_mov_b32_e32 v16, v24
	s_mov_b32 s0, exec_lo
	v_cmpx_gt_i32_e64 s2, v40
	s_cbranch_execnz .LBB37_14
	s_branch .LBB37_52
.LBB37_13:
	v_mov_b32_e32 v24, v16
	v_mov_b32_e32 v23, v15
	;; [unrolled: 1-line block ×8, first 2 shown]
	s_mov_b32 s0, exec_lo
	v_cmpx_gt_i32_e64 s2, v40
	s_cbranch_execz .LBB37_52
.LBB37_14:
	s_load_dword s1, s[4:5], 0xd4
	v_mov_b32_e32 v40, 1.0
	s_waitcnt lgkmcnt(0)
	s_cmp_lg_u32 s1, 1
	s_cselect_b32 s5, -1, 0
	s_cmp_eq_u32 s1, 1
	s_cselect_b32 s6, -1, 0
	s_and_b32 vcc_lo, exec_lo, s5
	s_cbranch_vccnz .LBB37_16
; %bb.15:
	v_div_scale_f32 v25, null, v9, v9, 1.0
	v_rcp_f32_e32 v26, v25
	v_fma_f32 v40, -v25, v26, 1.0
	v_fmac_f32_e32 v26, v40, v26
	v_div_scale_f32 v40, vcc_lo, 1.0, v9, 1.0
	v_mul_f32_e32 v42, v40, v26
	v_fma_f32 v43, -v25, v42, v40
	v_fmac_f32_e32 v42, v43, v26
	v_fma_f32 v25, -v25, v42, v40
	v_div_fmas_f32 v25, v25, v26, v42
	v_div_fixup_f32 v40, v25, v9, 1.0
.LBB37_16:
	s_mul_i32 s4, s29, s2
	v_mov_b32_e32 v43, 0
	s_add_i32 s4, s4, s14
	v_cmp_eq_u32_e32 vcc_lo, 0, v0
	v_add_nc_u32_e32 v9, s4, v39
	s_and_b32 s5, vcc_lo, s5
	v_mul_lo_u32 v39, v9, s3
	v_add_nc_u32_e32 v9, s30, v39
	v_mad_u64_u32 v[25:26], null, s1, v9, s[28:29]
	v_cvt_f32_f16_e32 v9, v89
	v_cvt_f32_f16_sdwa v26, v89 dst_sel:DWORD dst_unused:UNUSED_PAD src0_sel:WORD_1
	v_mul_f32_e32 v44, v40, v9
	v_lshl_add_u32 v42, v25, 6, v41
	v_mul_f32_e32 v45, v40, v26
	v_lshlrev_b64 v[42:43], 2, v[42:43]
	v_add_co_u32 v42, s0, s20, v42
	v_add_co_ci_u32_e64 v43, null, s21, v43, s0
	global_store_dwordx2 v[42:43], v[44:45], off
	s_and_saveexec_b32 s0, s5
	s_cbranch_execz .LBB37_18
; %bb.17:
	v_ashrrev_i32_e32 v26, 31, v25
	v_mov_b32_e32 v0, v1
	v_mov_b32_e32 v1, v17
	v_lshlrev_b64 v[25:26], 3, v[25:26]
	v_add_co_u32 v25, vcc_lo, s22, v25
	v_add_co_ci_u32_e64 v26, null, s23, v26, vcc_lo
	global_store_dwordx2 v[25:26], v[0:1], off
.LBB37_18:
	s_or_b32 exec_lo, exec_lo, s0
	v_cndmask_b32_e64 v9, 0, 1, s6
	v_mov_b32_e32 v17, 1.0
	s_andn2_b32 vcc_lo, exec_lo, s6
	s_cbranch_vccnz .LBB37_20
; %bb.19:
	v_div_scale_f32 v0, null, v10, v10, 1.0
	v_rcp_f32_e32 v1, v0
	v_fma_f32 v17, -v0, v1, 1.0
	v_fmac_f32_e32 v1, v17, v1
	v_div_scale_f32 v17, vcc_lo, 1.0, v10, 1.0
	v_mul_f32_e32 v25, v17, v1
	v_fma_f32 v26, -v0, v25, v17
	v_fmac_f32_e32 v25, v26, v1
	v_fma_f32 v0, -v0, v25, v17
	v_div_fmas_f32 v0, v0, v1, v25
	v_div_fixup_f32 v17, v0, v10, 1.0
.LBB37_20:
	s_add_i32 s0, s30, 1
	v_mov_b32_e32 v26, 0
	v_add_nc_u32_e32 v0, s0, v39
	v_cvt_f32_f16_sdwa v10, v88 dst_sel:DWORD dst_unused:UNUSED_PAD src0_sel:WORD_1
	v_mad_u64_u32 v[0:1], null, s1, v0, s[28:29]
	v_cvt_f32_f16_e32 v1, v88
	v_mul_f32_e32 v40, v17, v10
	v_mul_f32_e32 v39, v17, v1
	v_lshl_add_u32 v25, v0, 6, v41
	v_lshlrev_b64 v[25:26], 2, v[25:26]
	v_add_co_u32 v25, vcc_lo, s20, v25
	v_add_co_ci_u32_e64 v26, null, s21, v26, vcc_lo
	global_store_dwordx2 v[25:26], v[39:40], off
	s_and_saveexec_b32 s6, s5
	s_cbranch_execz .LBB37_22
; %bb.21:
	v_ashrrev_i32_e32 v1, 31, v0
	v_mov_b32_e32 v17, v2
	v_lshlrev_b64 v[0:1], 3, v[0:1]
	v_add_co_u32 v0, vcc_lo, s22, v0
	v_add_co_ci_u32_e64 v1, null, s23, v1, vcc_lo
	global_store_dwordx2 v[0:1], v[17:18], off
.LBB37_22:
	s_or_b32 exec_lo, exec_lo, s6
	v_cmp_gt_i32_e32 vcc_lo, s2, v38
	s_and_b32 exec_lo, exec_lo, vcc_lo
	s_cbranch_execz .LBB37_52
; %bb.23:
	v_cmp_ne_u32_e32 vcc_lo, 1, v9
	v_mov_b32_e32 v2, 1.0
	s_cbranch_vccnz .LBB37_25
; %bb.24:
	v_div_scale_f32 v0, null, v11, v11, 1.0
	v_rcp_f32_e32 v1, v0
	v_fma_f32 v2, -v0, v1, 1.0
	v_fmac_f32_e32 v1, v2, v1
	v_div_scale_f32 v2, vcc_lo, 1.0, v11, 1.0
	v_mul_f32_e32 v10, v2, v1
	v_fma_f32 v17, -v0, v10, v2
	v_fmac_f32_e32 v10, v17, v1
	v_fma_f32 v0, -v0, v10, v2
	v_div_fmas_f32 v0, v0, v1, v10
	v_div_fixup_f32 v2, v0, v11, 1.0
.LBB37_25:
	v_add_nc_u32_e32 v0, s4, v36
	v_mov_b32_e32 v11, 0
	v_cvt_f32_f16_sdwa v17, v87 dst_sel:DWORD dst_unused:UNUSED_PAD src0_sel:WORD_1
	v_mad_u64_u32 v[0:1], null, v0, s3, s[30:31]
	v_mad_u64_u32 v[0:1], null, s1, v0, s[28:29]
	v_cvt_f32_f16_e32 v1, v87
	v_mul_f32_e32 v1, v2, v1
	v_lshl_add_u32 v10, v0, 6, v41
	v_mul_f32_e32 v2, v2, v17
	v_lshlrev_b64 v[10:11], 2, v[10:11]
	v_add_co_u32 v10, vcc_lo, s20, v10
	v_add_co_ci_u32_e64 v11, null, s21, v11, vcc_lo
	global_store_dwordx2 v[10:11], v[1:2], off
	s_and_saveexec_b32 s6, s5
	s_cbranch_execz .LBB37_27
; %bb.26:
	v_ashrrev_i32_e32 v1, 31, v0
	v_mov_b32_e32 v18, v3
	v_lshlrev_b64 v[0:1], 3, v[0:1]
	v_add_co_u32 v0, vcc_lo, s22, v0
	v_add_co_ci_u32_e64 v1, null, s23, v1, vcc_lo
	global_store_dwordx2 v[0:1], v[18:19], off
.LBB37_27:
	s_or_b32 exec_lo, exec_lo, s6
	v_cmp_gt_i32_e32 vcc_lo, s2, v37
	s_and_b32 exec_lo, exec_lo, vcc_lo
	s_cbranch_execz .LBB37_52
; %bb.28:
	v_cmp_ne_u32_e32 vcc_lo, 1, v9
	v_mov_b32_e32 v2, 1.0
	s_cbranch_vccnz .LBB37_30
; %bb.29:
	v_div_scale_f32 v0, null, v12, v12, 1.0
	v_rcp_f32_e32 v1, v0
	v_fma_f32 v2, -v0, v1, 1.0
	v_fmac_f32_e32 v1, v2, v1
	v_div_scale_f32 v2, vcc_lo, 1.0, v12, 1.0
	v_mul_f32_e32 v3, v2, v1
	v_fma_f32 v10, -v0, v3, v2
	v_fmac_f32_e32 v3, v10, v1
	v_fma_f32 v0, -v0, v3, v2
	v_div_fmas_f32 v0, v0, v1, v3
	v_div_fixup_f32 v2, v0, v12, 1.0
.LBB37_30:
	v_add_nc_u32_e32 v0, s4, v34
	v_mov_b32_e32 v11, 0
	v_cvt_f32_f16_sdwa v3, v86 dst_sel:DWORD dst_unused:UNUSED_PAD src0_sel:WORD_1
	v_mad_u64_u32 v[0:1], null, v0, s3, s[0:1]
	v_mad_u64_u32 v[0:1], null, s1, v0, s[28:29]
	v_cvt_f32_f16_e32 v1, v86
	v_mul_f32_e32 v1, v2, v1
	v_lshl_add_u32 v10, v0, 6, v41
	v_mul_f32_e32 v2, v2, v3
	;; [unrolled: 44-line block ×6, first 2 shown]
	v_lshlrev_b64 v[3:4], 2, v[3:4]
	v_add_co_u32 v3, vcc_lo, s20, v3
	v_add_co_ci_u32_e64 v4, null, s21, v4, vcc_lo
	global_store_dwordx2 v[3:4], v[1:2], off
	s_and_b32 exec_lo, exec_lo, s5
	s_cbranch_execz .LBB37_52
; %bb.51:
	v_ashrrev_i32_e32 v1, 31, v0
	v_mov_b32_e32 v23, v8
	v_lshlrev_b64 v[0:1], 3, v[0:1]
	v_add_co_u32 v0, vcc_lo, s22, v0
	v_add_co_ci_u32_e64 v1, null, s23, v1, vcc_lo
	global_store_dwordx2 v[0:1], v[23:24], off
	s_endpgm
.LBB37_52:
	s_endpgm
	.section	.rodata,"a",@progbits
	.p2align	6, 0x0
	.amdhsa_kernel _ZL15flash_attn_tileILi64ELi64ELi16ELi2ELb0EEvPKcS1_S1_S1_S1_PKiPfP15HIP_vector_typeIfLj2EEffffjfiS5_IjLj3EEiiiiiiiiiiiliiliiiiil
		.amdhsa_group_segment_fixed_size 17408
		.amdhsa_private_segment_fixed_size 0
		.amdhsa_kernarg_size 464
		.amdhsa_user_sgpr_count 6
		.amdhsa_user_sgpr_private_segment_buffer 1
		.amdhsa_user_sgpr_dispatch_ptr 0
		.amdhsa_user_sgpr_queue_ptr 0
		.amdhsa_user_sgpr_kernarg_segment_ptr 1
		.amdhsa_user_sgpr_dispatch_id 0
		.amdhsa_user_sgpr_flat_scratch_init 0
		.amdhsa_user_sgpr_private_segment_size 0
		.amdhsa_wavefront_size32 1
		.amdhsa_uses_dynamic_stack 0
		.amdhsa_system_sgpr_private_segment_wavefront_offset 0
		.amdhsa_system_sgpr_workgroup_id_x 1
		.amdhsa_system_sgpr_workgroup_id_y 1
		.amdhsa_system_sgpr_workgroup_id_z 1
		.amdhsa_system_sgpr_workgroup_info 0
		.amdhsa_system_vgpr_workitem_id 1
		.amdhsa_next_free_vgpr 144
		.amdhsa_next_free_sgpr 43
		.amdhsa_reserve_vcc 1
		.amdhsa_reserve_flat_scratch 0
		.amdhsa_float_round_mode_32 0
		.amdhsa_float_round_mode_16_64 0
		.amdhsa_float_denorm_mode_32 3
		.amdhsa_float_denorm_mode_16_64 3
		.amdhsa_dx10_clamp 1
		.amdhsa_ieee_mode 1
		.amdhsa_fp16_overflow 0
		.amdhsa_workgroup_processor_mode 1
		.amdhsa_memory_ordered 1
		.amdhsa_forward_progress 1
		.amdhsa_shared_vgpr_count 0
		.amdhsa_exception_fp_ieee_invalid_op 0
		.amdhsa_exception_fp_denorm_src 0
		.amdhsa_exception_fp_ieee_div_zero 0
		.amdhsa_exception_fp_ieee_overflow 0
		.amdhsa_exception_fp_ieee_underflow 0
		.amdhsa_exception_fp_ieee_inexact 0
		.amdhsa_exception_int_div_zero 0
	.end_amdhsa_kernel
	.section	.text._ZL15flash_attn_tileILi64ELi64ELi16ELi2ELb0EEvPKcS1_S1_S1_S1_PKiPfP15HIP_vector_typeIfLj2EEffffjfiS5_IjLj3EEiiiiiiiiiiiliiliiiiil,"axG",@progbits,_ZL15flash_attn_tileILi64ELi64ELi16ELi2ELb0EEvPKcS1_S1_S1_S1_PKiPfP15HIP_vector_typeIfLj2EEffffjfiS5_IjLj3EEiiiiiiiiiiiliiliiiiil,comdat
.Lfunc_end37:
	.size	_ZL15flash_attn_tileILi64ELi64ELi16ELi2ELb0EEvPKcS1_S1_S1_S1_PKiPfP15HIP_vector_typeIfLj2EEffffjfiS5_IjLj3EEiiiiiiiiiiiliiliiiiil, .Lfunc_end37-_ZL15flash_attn_tileILi64ELi64ELi16ELi2ELb0EEvPKcS1_S1_S1_S1_PKiPfP15HIP_vector_typeIfLj2EEffffjfiS5_IjLj3EEiiiiiiiiiiiliiliiiiil
                                        ; -- End function
	.set _ZL15flash_attn_tileILi64ELi64ELi16ELi2ELb0EEvPKcS1_S1_S1_S1_PKiPfP15HIP_vector_typeIfLj2EEffffjfiS5_IjLj3EEiiiiiiiiiiiliiliiiiil.num_vgpr, 144
	.set _ZL15flash_attn_tileILi64ELi64ELi16ELi2ELb0EEvPKcS1_S1_S1_S1_PKiPfP15HIP_vector_typeIfLj2EEffffjfiS5_IjLj3EEiiiiiiiiiiiliiliiiiil.num_agpr, 0
	.set _ZL15flash_attn_tileILi64ELi64ELi16ELi2ELb0EEvPKcS1_S1_S1_S1_PKiPfP15HIP_vector_typeIfLj2EEffffjfiS5_IjLj3EEiiiiiiiiiiiliiliiiiil.numbered_sgpr, 43
	.set _ZL15flash_attn_tileILi64ELi64ELi16ELi2ELb0EEvPKcS1_S1_S1_S1_PKiPfP15HIP_vector_typeIfLj2EEffffjfiS5_IjLj3EEiiiiiiiiiiiliiliiiiil.num_named_barrier, 0
	.set _ZL15flash_attn_tileILi64ELi64ELi16ELi2ELb0EEvPKcS1_S1_S1_S1_PKiPfP15HIP_vector_typeIfLj2EEffffjfiS5_IjLj3EEiiiiiiiiiiiliiliiiiil.private_seg_size, 0
	.set _ZL15flash_attn_tileILi64ELi64ELi16ELi2ELb0EEvPKcS1_S1_S1_S1_PKiPfP15HIP_vector_typeIfLj2EEffffjfiS5_IjLj3EEiiiiiiiiiiiliiliiiiil.uses_vcc, 1
	.set _ZL15flash_attn_tileILi64ELi64ELi16ELi2ELb0EEvPKcS1_S1_S1_S1_PKiPfP15HIP_vector_typeIfLj2EEffffjfiS5_IjLj3EEiiiiiiiiiiiliiliiiiil.uses_flat_scratch, 0
	.set _ZL15flash_attn_tileILi64ELi64ELi16ELi2ELb0EEvPKcS1_S1_S1_S1_PKiPfP15HIP_vector_typeIfLj2EEffffjfiS5_IjLj3EEiiiiiiiiiiiliiliiiiil.has_dyn_sized_stack, 0
	.set _ZL15flash_attn_tileILi64ELi64ELi16ELi2ELb0EEvPKcS1_S1_S1_S1_PKiPfP15HIP_vector_typeIfLj2EEffffjfiS5_IjLj3EEiiiiiiiiiiiliiliiiiil.has_recursion, 0
	.set _ZL15flash_attn_tileILi64ELi64ELi16ELi2ELb0EEvPKcS1_S1_S1_S1_PKiPfP15HIP_vector_typeIfLj2EEffffjfiS5_IjLj3EEiiiiiiiiiiiliiliiiiil.has_indirect_call, 0
	.section	.AMDGPU.csdata,"",@progbits
; Kernel info:
; codeLenInByte = 32204
; TotalNumSgprs: 45
; NumVgprs: 144
; ScratchSize: 0
; MemoryBound: 0
; FloatMode: 240
; IeeeMode: 1
; LDSByteSize: 17408 bytes/workgroup (compile time only)
; SGPRBlocks: 0
; VGPRBlocks: 17
; NumSGPRsForWavesPerEU: 45
; NumVGPRsForWavesPerEU: 144
; Occupancy: 7
; WaveLimiterHint : 1
; COMPUTE_PGM_RSRC2:SCRATCH_EN: 0
; COMPUTE_PGM_RSRC2:USER_SGPR: 6
; COMPUTE_PGM_RSRC2:TRAP_HANDLER: 0
; COMPUTE_PGM_RSRC2:TGID_X_EN: 1
; COMPUTE_PGM_RSRC2:TGID_Y_EN: 1
; COMPUTE_PGM_RSRC2:TGID_Z_EN: 1
; COMPUTE_PGM_RSRC2:TIDIG_COMP_CNT: 1
	.section	.text._ZL33flash_attn_stream_k_fixup_uniformILi64ELi16ELi2EEvPfPK15HIP_vector_typeIfLj2EEiiiiiiS1_IjLj3EES5_S5_,"axG",@progbits,_ZL33flash_attn_stream_k_fixup_uniformILi64ELi16ELi2EEvPfPK15HIP_vector_typeIfLj2EEiiiiiiS1_IjLj3EES5_S5_,comdat
	.globl	_ZL33flash_attn_stream_k_fixup_uniformILi64ELi16ELi2EEvPfPK15HIP_vector_typeIfLj2EEiiiiiiS1_IjLj3EES5_S5_ ; -- Begin function _ZL33flash_attn_stream_k_fixup_uniformILi64ELi16ELi2EEvPfPK15HIP_vector_typeIfLj2EEiiiiiiS1_IjLj3EES5_S5_
	.p2align	8
	.type	_ZL33flash_attn_stream_k_fixup_uniformILi64ELi16ELi2EEvPfPK15HIP_vector_typeIfLj2EEiiiiiiS1_IjLj3EES5_S5_,@function
_ZL33flash_attn_stream_k_fixup_uniformILi64ELi16ELi2EEvPfPK15HIP_vector_typeIfLj2EEiiiiiiS1_IjLj3EES5_S5_: ; @_ZL33flash_attn_stream_k_fixup_uniformILi64ELi16ELi2EEvPfPK15HIP_vector_typeIfLj2EEiiiiiiS1_IjLj3EES5_S5_
; %bb.0:
	s_clause 0x2
	s_load_dwordx8 s[12:19], s[4:5], 0x1c
	s_load_dwordx4 s[20:23], s[4:5], 0x3c
	s_load_dwordx2 s[10:11], s[4:5], 0x10
	s_waitcnt lgkmcnt(0)
	s_mul_hi_u32 s0, s15, s6
	s_add_i32 s0, s6, s0
	s_lshr_b32 s0, s0, s16
	s_mul_i32 s1, s0, s17
	s_sub_i32 s2, s6, s1
	s_mul_hi_u32 s1, s2, s18
	s_add_i32 s1, s2, s1
	s_lshr_b32 s1, s1, s19
	s_mul_i32 s3, s1, s20
	s_sub_i32 s2, s2, s3
	s_mul_hi_u32 s3, s2, s21
	s_add_i32 s3, s2, s3
	s_lshr_b32 s3, s3, s22
	s_mul_i32 s9, s3, s23
	s_lshl_b32 s15, s3, 1
	s_sub_i32 s9, s2, s9
	s_lshl_b32 s2, s9, 4
	s_add_i32 s2, s2, s7
	s_cmp_lt_i32 s2, s10
	s_cselect_b32 s2, -1, 0
	s_add_i32 s3, s15, s8
	s_cmp_lt_i32 s3, s13
	s_cselect_b32 s3, -1, 0
	s_and_b32 s2, s2, s3
	s_andn2_b32 vcc_lo, exec_lo, s2
	s_cbranch_vccnz .LBB38_6
; %bb.1:
	s_mul_i32 s0, s0, s10
	s_mul_i32 s10, s1, s13
	s_add_i32 s0, s0, s7
	s_mul_i32 s0, s0, s11
	s_add_i32 s13, s0, s8
	s_load_dwordx4 s[0:3], s[4:5], 0x0
	s_add_i32 s4, s13, s10
	s_mul_i32 s5, s11, s9
	s_add_i32 s4, s4, s15
	s_lshl_b32 s5, s5, 10
	s_lshl_b32 s4, s4, 6
	;; [unrolled: 1-line block ×3, first 2 shown]
	s_add_i32 s5, s5, s4
	s_mul_i32 s4, s14, s6
	v_or_b32_e32 v1, s5, v0
	s_add_i32 s11, s4, s14
	v_ashrrev_i32_e32 v2, 31, v1
	v_lshlrev_b64 v[1:2], 2, v[1:2]
	s_waitcnt lgkmcnt(0)
	v_add_co_u32 v1, vcc_lo, s0, v1
	v_add_co_ci_u32_e64 v2, null, s1, v2, vcc_lo
	s_add_i32 s0, s10, s8
	s_lshl_b32 s1, s11, 5
	s_add_i32 s0, s0, s1
	global_load_dword v5, v[1:2], off
	s_sub_i32 s0, s0, 32
	s_ashr_i32 s1, s0, 31
	s_lshl_b64 s[0:1], s[0:1], 3
	s_add_u32 s0, s2, s0
	s_addc_u32 s1, s3, s1
	s_add_i32 s5, s11, -2
	s_load_dword s13, s[0:1], 0x4
	s_cmp_lt_i32 s5, s4
	s_cbranch_scc1 .LBB38_4
; %bb.2:
	s_lshl_b32 s16, s12, 7
	s_load_dword s15, s[0:1], 0x0
	s_ashr_i32 s17, s16, 31
	s_waitcnt lgkmcnt(0)
	v_mov_b32_e32 v6, s13
	s_lshl_b64 s[0:1], s[16:17], 2
	s_add_u32 s5, s2, s0
	s_addc_u32 s9, s3, s1
	s_add_i32 s6, s6, 1
	s_lshl_b32 s0, s7, 7
	s_lshl_b32 s1, s8, 6
	s_mul_i32 s6, s14, s6
	s_add_i32 s0, s1, s0
	s_lshl_b32 s1, s6, 11
	s_add_i32 s0, s0, s1
	s_lshl_b32 s1, s6, 5
	v_or_b32_e32 v0, s0, v0
	s_lshl_b32 s0, s12, 5
	s_add_i32 s1, s8, s1
	s_add_i32 s6, s11, -1
	s_add_i32 s0, s1, s0
	v_add_nc_u32_e32 v3, 0xfffff000, v0
	v_mov_b32_e32 v0, s15
	s_add_i32 s0, s0, s10
	s_sub_i32 s0, s0, 64
.LBB38_3:                               ; =>This Inner Loop Header: Depth=1
	v_ashrrev_i32_e32 v4, 31, v3
	s_ashr_i32 s1, s0, 31
	s_lshl_b64 s[10:11], s[0:1], 3
	s_add_u32 s10, s2, s10
	v_lshlrev_b64 v[7:8], 2, v[3:4]
	s_addc_u32 s11, s3, s11
	v_add_nc_u32_e32 v3, 0xfffff800, v3
	s_add_i32 s6, s6, -1
	s_sub_i32 s0, s0, 32
	s_cmp_le_i32 s6, s4
	v_add_co_u32 v7, vcc_lo, s5, v7
	v_add_co_ci_u32_e64 v8, null, s9, v8, vcc_lo
	s_load_dwordx2 s[10:11], s[10:11], 0x0
	global_load_dword v4, v[7:8], off
	v_max_f32_e32 v7, v0, v0
	s_waitcnt lgkmcnt(0)
	v_max_f32_e64 v8, s10, s10
	v_max_f32_e32 v7, v7, v8
	v_sub_f32_e32 v8, s10, v7
	v_sub_f32_e32 v0, v0, v7
	v_mul_f32_e32 v9, 0x3fb8aa3b, v8
	v_mul_f32_e32 v12, 0x3fb8aa3b, v0
	v_cmp_ngt_f32_e32 vcc_lo, 0xc2ce8ed0, v8
	v_fma_f32 v10, 0x3fb8aa3b, v8, -v9
	v_rndne_f32_e32 v11, v9
	v_fma_f32 v13, 0x3fb8aa3b, v0, -v12
	v_rndne_f32_e32 v14, v12
	v_fmac_f32_e32 v10, 0x32a5705f, v8
	v_sub_f32_e32 v9, v9, v11
	v_fmac_f32_e32 v13, 0x32a5705f, v0
	v_cvt_i32_f32_e32 v11, v11
	v_add_f32_e32 v9, v9, v10
	v_sub_f32_e32 v10, v12, v14
	v_exp_f32_e32 v9, v9
	v_add_f32_e32 v10, v10, v13
	v_exp_f32_e32 v10, v10
	v_ldexp_f32 v9, v9, v11
	v_cvt_i32_f32_e32 v11, v14
	v_cndmask_b32_e32 v9, 0, v9, vcc_lo
	v_cmp_nlt_f32_e32 vcc_lo, 0x42b17218, v8
	v_ldexp_f32 v10, v10, v11
	v_mov_b32_e32 v11, v6
	v_cndmask_b32_e32 v9, 0x7f800000, v9, vcc_lo
	v_cmp_ngt_f32_e32 vcc_lo, 0xc2ce8ed0, v0
	v_cndmask_b32_e32 v10, 0, v10, vcc_lo
	v_cmp_le_f32_e32 vcc_lo, 0xc1a00000, v8
	v_cndmask_b32_e32 v8, 0, v9, vcc_lo
	v_cmp_nlt_f32_e32 vcc_lo, 0x42b17218, v0
	s_waitcnt vmcnt(1)
	v_mov_b32_e32 v9, v5
	v_cndmask_b32_e32 v5, 0x7f800000, v10, vcc_lo
	v_mul_f32_e32 v10, s11, v8
	v_cmp_le_f32_e32 vcc_lo, 0xc1a00000, v0
	v_mov_b32_e32 v0, v7
	v_mov_b32_e32 v6, v10
	v_cndmask_b32_e32 v12, 0, v5, vcc_lo
	v_fmac_f32_e32 v6, v11, v12
	s_waitcnt vmcnt(0)
	v_mul_f32_e32 v5, v4, v8
	v_fmac_f32_e32 v5, v9, v12
	s_cbranch_scc0 .LBB38_3
	s_branch .LBB38_5
.LBB38_4:
	s_waitcnt lgkmcnt(0)
	v_mov_b32_e32 v6, s13
.LBB38_5:
	s_waitcnt vmcnt(0)
	v_div_scale_f32 v0, null, v6, v6, v5
	v_rcp_f32_e32 v3, v0
	v_fma_f32 v4, -v0, v3, 1.0
	v_fmac_f32_e32 v3, v4, v3
	v_div_scale_f32 v4, vcc_lo, v5, v6, v5
	v_mul_f32_e32 v7, v4, v3
	v_fma_f32 v8, -v0, v7, v4
	v_fmac_f32_e32 v7, v8, v3
	v_fma_f32 v0, -v0, v7, v4
	v_div_fmas_f32 v0, v0, v3, v7
	v_div_fixup_f32 v0, v0, v6, v5
	global_store_dword v[1:2], v0, off
.LBB38_6:
	s_endpgm
	.section	.rodata,"a",@progbits
	.p2align	6, 0x0
	.amdhsa_kernel _ZL33flash_attn_stream_k_fixup_uniformILi64ELi16ELi2EEvPfPK15HIP_vector_typeIfLj2EEiiiiiiS1_IjLj3EES5_S5_
		.amdhsa_group_segment_fixed_size 0
		.amdhsa_private_segment_fixed_size 0
		.amdhsa_kernarg_size 76
		.amdhsa_user_sgpr_count 6
		.amdhsa_user_sgpr_private_segment_buffer 1
		.amdhsa_user_sgpr_dispatch_ptr 0
		.amdhsa_user_sgpr_queue_ptr 0
		.amdhsa_user_sgpr_kernarg_segment_ptr 1
		.amdhsa_user_sgpr_dispatch_id 0
		.amdhsa_user_sgpr_flat_scratch_init 0
		.amdhsa_user_sgpr_private_segment_size 0
		.amdhsa_wavefront_size32 1
		.amdhsa_uses_dynamic_stack 0
		.amdhsa_system_sgpr_private_segment_wavefront_offset 0
		.amdhsa_system_sgpr_workgroup_id_x 1
		.amdhsa_system_sgpr_workgroup_id_y 1
		.amdhsa_system_sgpr_workgroup_id_z 1
		.amdhsa_system_sgpr_workgroup_info 0
		.amdhsa_system_vgpr_workitem_id 0
		.amdhsa_next_free_vgpr 15
		.amdhsa_next_free_sgpr 24
		.amdhsa_reserve_vcc 1
		.amdhsa_reserve_flat_scratch 0
		.amdhsa_float_round_mode_32 0
		.amdhsa_float_round_mode_16_64 0
		.amdhsa_float_denorm_mode_32 3
		.amdhsa_float_denorm_mode_16_64 3
		.amdhsa_dx10_clamp 1
		.amdhsa_ieee_mode 1
		.amdhsa_fp16_overflow 0
		.amdhsa_workgroup_processor_mode 1
		.amdhsa_memory_ordered 1
		.amdhsa_forward_progress 1
		.amdhsa_shared_vgpr_count 0
		.amdhsa_exception_fp_ieee_invalid_op 0
		.amdhsa_exception_fp_denorm_src 0
		.amdhsa_exception_fp_ieee_div_zero 0
		.amdhsa_exception_fp_ieee_overflow 0
		.amdhsa_exception_fp_ieee_underflow 0
		.amdhsa_exception_fp_ieee_inexact 0
		.amdhsa_exception_int_div_zero 0
	.end_amdhsa_kernel
	.section	.text._ZL33flash_attn_stream_k_fixup_uniformILi64ELi16ELi2EEvPfPK15HIP_vector_typeIfLj2EEiiiiiiS1_IjLj3EES5_S5_,"axG",@progbits,_ZL33flash_attn_stream_k_fixup_uniformILi64ELi16ELi2EEvPfPK15HIP_vector_typeIfLj2EEiiiiiiS1_IjLj3EES5_S5_,comdat
.Lfunc_end38:
	.size	_ZL33flash_attn_stream_k_fixup_uniformILi64ELi16ELi2EEvPfPK15HIP_vector_typeIfLj2EEiiiiiiS1_IjLj3EES5_S5_, .Lfunc_end38-_ZL33flash_attn_stream_k_fixup_uniformILi64ELi16ELi2EEvPfPK15HIP_vector_typeIfLj2EEiiiiiiS1_IjLj3EES5_S5_
                                        ; -- End function
	.set _ZL33flash_attn_stream_k_fixup_uniformILi64ELi16ELi2EEvPfPK15HIP_vector_typeIfLj2EEiiiiiiS1_IjLj3EES5_S5_.num_vgpr, 15
	.set _ZL33flash_attn_stream_k_fixup_uniformILi64ELi16ELi2EEvPfPK15HIP_vector_typeIfLj2EEiiiiiiS1_IjLj3EES5_S5_.num_agpr, 0
	.set _ZL33flash_attn_stream_k_fixup_uniformILi64ELi16ELi2EEvPfPK15HIP_vector_typeIfLj2EEiiiiiiS1_IjLj3EES5_S5_.numbered_sgpr, 24
	.set _ZL33flash_attn_stream_k_fixup_uniformILi64ELi16ELi2EEvPfPK15HIP_vector_typeIfLj2EEiiiiiiS1_IjLj3EES5_S5_.num_named_barrier, 0
	.set _ZL33flash_attn_stream_k_fixup_uniformILi64ELi16ELi2EEvPfPK15HIP_vector_typeIfLj2EEiiiiiiS1_IjLj3EES5_S5_.private_seg_size, 0
	.set _ZL33flash_attn_stream_k_fixup_uniformILi64ELi16ELi2EEvPfPK15HIP_vector_typeIfLj2EEiiiiiiS1_IjLj3EES5_S5_.uses_vcc, 1
	.set _ZL33flash_attn_stream_k_fixup_uniformILi64ELi16ELi2EEvPfPK15HIP_vector_typeIfLj2EEiiiiiiS1_IjLj3EES5_S5_.uses_flat_scratch, 0
	.set _ZL33flash_attn_stream_k_fixup_uniformILi64ELi16ELi2EEvPfPK15HIP_vector_typeIfLj2EEiiiiiiS1_IjLj3EES5_S5_.has_dyn_sized_stack, 0
	.set _ZL33flash_attn_stream_k_fixup_uniformILi64ELi16ELi2EEvPfPK15HIP_vector_typeIfLj2EEiiiiiiS1_IjLj3EES5_S5_.has_recursion, 0
	.set _ZL33flash_attn_stream_k_fixup_uniformILi64ELi16ELi2EEvPfPK15HIP_vector_typeIfLj2EEiiiiiiS1_IjLj3EES5_S5_.has_indirect_call, 0
	.section	.AMDGPU.csdata,"",@progbits
; Kernel info:
; codeLenInByte = 848
; TotalNumSgprs: 26
; NumVgprs: 15
; ScratchSize: 0
; MemoryBound: 0
; FloatMode: 240
; IeeeMode: 1
; LDSByteSize: 0 bytes/workgroup (compile time only)
; SGPRBlocks: 0
; VGPRBlocks: 1
; NumSGPRsForWavesPerEU: 26
; NumVGPRsForWavesPerEU: 15
; Occupancy: 16
; WaveLimiterHint : 0
; COMPUTE_PGM_RSRC2:SCRATCH_EN: 0
; COMPUTE_PGM_RSRC2:USER_SGPR: 6
; COMPUTE_PGM_RSRC2:TRAP_HANDLER: 0
; COMPUTE_PGM_RSRC2:TGID_X_EN: 1
; COMPUTE_PGM_RSRC2:TGID_Y_EN: 1
; COMPUTE_PGM_RSRC2:TGID_Z_EN: 1
; COMPUTE_PGM_RSRC2:TIDIG_COMP_CNT: 0
	.section	.text._ZL33flash_attn_stream_k_fixup_generalILi64ELi16ELi2EEvPfPK15HIP_vector_typeIfLj2EEiiiiS1_IjLj3EES5_S5_S5_,"axG",@progbits,_ZL33flash_attn_stream_k_fixup_generalILi64ELi16ELi2EEvPfPK15HIP_vector_typeIfLj2EEiiiiS1_IjLj3EES5_S5_S5_,comdat
	.globl	_ZL33flash_attn_stream_k_fixup_generalILi64ELi16ELi2EEvPfPK15HIP_vector_typeIfLj2EEiiiiS1_IjLj3EES5_S5_S5_ ; -- Begin function _ZL33flash_attn_stream_k_fixup_generalILi64ELi16ELi2EEvPfPK15HIP_vector_typeIfLj2EEiiiiS1_IjLj3EES5_S5_S5_
	.p2align	8
	.type	_ZL33flash_attn_stream_k_fixup_generalILi64ELi16ELi2EEvPfPK15HIP_vector_typeIfLj2EEiiiiS1_IjLj3EES5_S5_S5_,@function
_ZL33flash_attn_stream_k_fixup_generalILi64ELi16ELi2EEvPfPK15HIP_vector_typeIfLj2EEiiiiS1_IjLj3EES5_S5_S5_: ; @_ZL33flash_attn_stream_k_fixup_generalILi64ELi16ELi2EEvPfPK15HIP_vector_typeIfLj2EEiiiiS1_IjLj3EES5_S5_S5_
; %bb.0:
	s_clause 0x1
	s_load_dwordx4 s[0:3], s[4:5], 0x10
	s_load_dword s9, s[4:5], 0x50
	s_mov_b32 s16, 0
	s_waitcnt lgkmcnt(0)
	s_mul_hi_i32 s17, s3, s6
	s_mul_i32 s18, s3, s6
	s_cmp_lg_u64 s[16:17], 0
	s_cbranch_scc0 .LBB39_21
; %bb.1:
	s_add_u32 s10, s9, 0
	s_addc_u32 s11, 0, 0
	s_xor_b64 s[10:11], s[10:11], 0
	v_cvt_f32_u32_e32 v1, s10
	v_cvt_f32_u32_e32 v2, s11
	s_sub_u32 s14, 0, s10
	s_subb_u32 s15, 0, s11
	v_fmamk_f32 v1, v2, 0x4f800000, v1
	v_rcp_f32_e32 v1, v1
	v_mul_f32_e32 v1, 0x5f7ffffc, v1
	v_mul_f32_e32 v2, 0x2f800000, v1
	v_trunc_f32_e32 v2, v2
	v_fmamk_f32 v1, v2, 0xcf800000, v1
	v_cvt_u32_f32_e32 v2, v2
	v_cvt_u32_f32_e32 v1, v1
	v_readfirstlane_b32 s12, v2
	v_readfirstlane_b32 s13, v1
	s_mul_i32 s19, s14, s12
	s_mul_hi_u32 s21, s14, s13
	s_mul_i32 s20, s15, s13
	s_add_i32 s19, s21, s19
	s_mul_i32 s22, s14, s13
	s_add_i32 s19, s19, s20
	s_mul_hi_u32 s21, s13, s22
	s_mul_i32 s24, s13, s19
	s_mul_hi_u32 s23, s12, s22
	s_mul_i32 s20, s12, s22
	s_mul_hi_u32 s22, s13, s19
	s_add_u32 s21, s21, s24
	s_addc_u32 s22, 0, s22
	s_mul_hi_u32 s25, s12, s19
	s_add_u32 s20, s21, s20
	s_mul_i32 s19, s12, s19
	s_addc_u32 s20, s22, s23
	s_addc_u32 s21, s25, 0
	s_add_u32 s19, s20, s19
	s_addc_u32 s20, 0, s21
	s_add_u32 s13, s13, s19
	s_cselect_b32 s19, -1, 0
	s_mul_hi_u32 s21, s14, s13
	s_cmp_lg_u32 s19, 0
	s_mul_i32 s19, s14, s13
	s_addc_u32 s12, s12, s20
	s_mul_i32 s15, s15, s13
	s_mul_i32 s14, s14, s12
	s_mul_hi_u32 s20, s13, s19
	s_add_i32 s14, s21, s14
	s_mul_hi_u32 s21, s12, s19
	s_add_i32 s14, s14, s15
	s_mul_i32 s15, s12, s19
	s_mul_i32 s23, s13, s14
	s_mul_hi_u32 s22, s13, s14
	s_add_u32 s20, s20, s23
	s_addc_u32 s22, 0, s22
	s_mul_hi_u32 s19, s12, s14
	s_add_u32 s15, s20, s15
	s_mul_i32 s14, s12, s14
	s_addc_u32 s15, s22, s21
	s_addc_u32 s19, s19, 0
	s_add_u32 s14, s15, s14
	s_addc_u32 s15, 0, s19
	s_add_u32 s19, s13, s14
	s_cselect_b32 s13, -1, 0
	s_cmp_lg_u32 s13, 0
	s_addc_u32 s20, s12, s15
	s_ashr_i32 s12, s17, 31
	s_add_u32 s14, s18, s12
	s_mov_b32 s13, s12
	s_addc_u32 s15, s17, s12
	s_xor_b64 s[14:15], s[14:15], s[12:13]
	s_mul_i32 s21, s14, s20
	s_mul_hi_u32 s22, s14, s19
	s_mul_hi_u32 s17, s14, s20
	;; [unrolled: 1-line block ×3, first 2 shown]
	s_mul_i32 s19, s15, s19
	s_add_u32 s21, s22, s21
	s_addc_u32 s17, 0, s17
	s_mul_hi_u32 s23, s15, s20
	s_add_u32 s19, s21, s19
	s_mul_i32 s20, s15, s20
	s_addc_u32 s17, s17, s24
	s_addc_u32 s19, s23, 0
	s_add_u32 s17, s17, s20
	s_addc_u32 s19, 0, s19
	s_mul_hi_u32 s20, s10, s17
	s_mul_i32 s21, s10, s19
	s_mul_i32 s22, s11, s17
	s_add_i32 s20, s20, s21
	s_mul_i32 s21, s10, s17
	s_add_i32 s20, s20, s22
	s_sub_i32 s22, s15, s20
	s_sub_u32 s14, s14, s21
	s_cselect_b32 s21, -1, 0
	s_cmp_lg_u32 s21, 0
	s_subb_u32 s22, s22, s11
	s_sub_u32 s23, s14, s10
	s_cselect_b32 s24, -1, 0
	s_cmp_lg_u32 s24, 0
	s_subb_u32 s22, s22, 0
	s_cmp_ge_u32 s22, s11
	s_cselect_b32 s24, -1, 0
	s_cmp_ge_u32 s23, s10
	s_cselect_b32 s23, -1, 0
	s_cmp_eq_u32 s22, s11
	s_cselect_b32 s22, s23, s24
	s_add_u32 s23, s17, 1
	s_addc_u32 s24, s19, 0
	s_add_u32 s25, s17, 2
	s_addc_u32 s26, s19, 0
	s_cmp_lg_u32 s22, 0
	s_cselect_b32 s22, s25, s23
	s_cselect_b32 s23, s26, s24
	s_cmp_lg_u32 s21, 0
	s_subb_u32 s15, s15, s20
	s_cmp_ge_u32 s15, s11
	s_cselect_b32 s20, -1, 0
	s_cmp_ge_u32 s14, s10
	s_cselect_b32 s10, -1, 0
	s_cmp_eq_u32 s15, s11
	s_cselect_b32 s10, s10, s20
	s_cmp_lg_u32 s10, 0
	s_cselect_b32 s11, s23, s19
	s_cselect_b32 s10, s22, s17
	s_xor_b64 s[12:13], s[12:13], 0
	s_xor_b64 s[10:11], s[10:11], s[12:13]
	s_sub_u32 s10, s10, s12
	s_load_dwordx4 s[12:15], s[4:5], 0x44
	s_andn2_b32 vcc_lo, exec_lo, s16
	s_cbranch_vccnz .LBB39_3
.LBB39_2:
	v_cvt_f32_u32_e32 v1, s9
	s_sub_i32 s11, 0, s9
	v_rcp_iflag_f32_e32 v1, v1
	v_mul_f32_e32 v1, 0x4f7ffffe, v1
	v_cvt_u32_f32_e32 v1, v1
	v_readfirstlane_b32 s10, v1
	s_mul_i32 s11, s11, s10
	s_mul_hi_u32 s11, s10, s11
	s_add_i32 s10, s10, s11
	s_mul_hi_u32 s10, s18, s10
	s_mul_i32 s11, s10, s9
	s_waitcnt lgkmcnt(0)
	s_add_i32 s15, s10, 1
	s_sub_i32 s11, s18, s11
	s_sub_i32 s16, s11, s9
	s_cmp_ge_u32 s11, s9
	s_cselect_b32 s10, s15, s10
	s_cselect_b32 s11, s16, s11
	s_add_i32 s15, s10, 1
	s_cmp_ge_u32 s11, s9
	s_cselect_b32 s10, s15, s10
.LBB39_3:
	s_add_i32 s11, s6, 1
	s_mov_b32 s16, 0
	s_mul_hi_i32 s17, s3, s11
	s_mul_i32 s11, s3, s11
	s_cmp_lg_u64 s[16:17], 0
	s_cbranch_scc0 .LBB39_22
; %bb.4:
	s_add_u32 s18, s9, 0
	s_addc_u32 s19, 0, 0
	s_xor_b64 s[18:19], s[18:19], 0
	v_cvt_f32_u32_e32 v1, s18
	v_cvt_f32_u32_e32 v2, s19
	s_sub_u32 s21, 0, s18
	s_subb_u32 s22, 0, s19
	v_fmamk_f32 v1, v2, 0x4f800000, v1
	v_rcp_f32_e32 v1, v1
	v_mul_f32_e32 v1, 0x5f7ffffc, v1
	v_mul_f32_e32 v2, 0x2f800000, v1
	v_trunc_f32_e32 v2, v2
	v_fmamk_f32 v1, v2, 0xcf800000, v1
	v_cvt_u32_f32_e32 v2, v2
	v_cvt_u32_f32_e32 v1, v1
	s_waitcnt lgkmcnt(0)
	v_readfirstlane_b32 s15, v2
	v_readfirstlane_b32 s20, v1
	s_mul_i32 s23, s21, s15
	s_mul_hi_u32 s25, s21, s20
	s_mul_i32 s24, s22, s20
	s_add_i32 s23, s25, s23
	s_mul_i32 s26, s21, s20
	s_add_i32 s23, s23, s24
	s_mul_hi_u32 s25, s20, s26
	s_mul_i32 s28, s20, s23
	s_mul_hi_u32 s27, s15, s26
	s_mul_i32 s24, s15, s26
	s_mul_hi_u32 s26, s20, s23
	s_add_u32 s25, s25, s28
	s_addc_u32 s26, 0, s26
	s_mul_hi_u32 s29, s15, s23
	s_add_u32 s24, s25, s24
	s_mul_i32 s23, s15, s23
	s_addc_u32 s24, s26, s27
	s_addc_u32 s25, s29, 0
	s_add_u32 s23, s24, s23
	s_addc_u32 s24, 0, s25
	s_add_u32 s20, s20, s23
	s_cselect_b32 s23, -1, 0
	s_mul_hi_u32 s25, s21, s20
	s_cmp_lg_u32 s23, 0
	s_mul_i32 s23, s21, s20
	s_addc_u32 s15, s15, s24
	s_mul_i32 s22, s22, s20
	s_mul_i32 s21, s21, s15
	s_mul_hi_u32 s24, s20, s23
	s_add_i32 s21, s25, s21
	s_mul_hi_u32 s25, s15, s23
	s_add_i32 s21, s21, s22
	s_mul_i32 s22, s15, s23
	s_mul_i32 s27, s20, s21
	s_mul_hi_u32 s26, s20, s21
	s_add_u32 s24, s24, s27
	s_addc_u32 s26, 0, s26
	s_mul_hi_u32 s23, s15, s21
	s_add_u32 s22, s24, s22
	s_mul_i32 s21, s15, s21
	s_addc_u32 s22, s26, s25
	s_addc_u32 s23, s23, 0
	s_add_u32 s21, s22, s21
	s_addc_u32 s22, 0, s23
	s_add_u32 s24, s20, s21
	s_cselect_b32 s20, -1, 0
	s_cmp_lg_u32 s20, 0
	s_addc_u32 s15, s15, s22
	s_ashr_i32 s20, s17, 31
	s_add_u32 s22, s11, s20
	s_mov_b32 s21, s20
	s_addc_u32 s23, s17, s20
	s_xor_b64 s[22:23], s[22:23], s[20:21]
	s_mul_i32 s25, s22, s15
	s_mul_hi_u32 s26, s22, s24
	s_mul_hi_u32 s17, s22, s15
	;; [unrolled: 1-line block ×3, first 2 shown]
	s_mul_i32 s24, s23, s24
	s_add_u32 s25, s26, s25
	s_addc_u32 s17, 0, s17
	s_mul_hi_u32 s27, s23, s15
	s_add_u32 s24, s25, s24
	s_mul_i32 s15, s23, s15
	s_addc_u32 s17, s17, s28
	s_addc_u32 s24, s27, 0
	s_add_u32 s15, s17, s15
	s_addc_u32 s17, 0, s24
	s_mul_hi_u32 s24, s18, s15
	s_mul_i32 s25, s18, s17
	s_mul_i32 s26, s19, s15
	s_add_i32 s24, s24, s25
	s_mul_i32 s25, s18, s15
	s_add_i32 s24, s24, s26
	s_sub_i32 s26, s23, s24
	s_sub_u32 s22, s22, s25
	s_cselect_b32 s25, -1, 0
	s_cmp_lg_u32 s25, 0
	s_subb_u32 s26, s26, s19
	s_sub_u32 s27, s22, s18
	s_cselect_b32 s28, -1, 0
	s_cmp_lg_u32 s28, 0
	s_subb_u32 s26, s26, 0
	s_cmp_ge_u32 s26, s19
	s_cselect_b32 s28, -1, 0
	s_cmp_ge_u32 s27, s18
	s_cselect_b32 s27, -1, 0
	s_cmp_eq_u32 s26, s19
	s_cselect_b32 s26, s27, s28
	s_add_u32 s27, s15, 1
	s_addc_u32 s28, s17, 0
	s_add_u32 s29, s15, 2
	s_addc_u32 s30, s17, 0
	s_cmp_lg_u32 s26, 0
	s_cselect_b32 s26, s29, s27
	s_cselect_b32 s27, s30, s28
	s_cmp_lg_u32 s25, 0
	s_subb_u32 s23, s23, s24
	s_cmp_ge_u32 s23, s19
	s_cselect_b32 s24, -1, 0
	s_cmp_ge_u32 s22, s18
	s_cselect_b32 s18, -1, 0
	s_cmp_eq_u32 s23, s19
	s_cselect_b32 s18, s18, s24
	s_cmp_lg_u32 s18, 0
	s_cselect_b32 s19, s27, s17
	s_cselect_b32 s18, s26, s15
	s_xor_b64 s[20:21], s[20:21], 0
	s_xor_b64 s[18:19], s[18:19], s[20:21]
	s_sub_u32 s18, s18, s20
	s_andn2_b32 vcc_lo, exec_lo, s16
	s_cbranch_vccnz .LBB39_6
.LBB39_5:
	v_cvt_f32_u32_e32 v1, s9
	s_sub_i32 s16, 0, s9
	v_rcp_iflag_f32_e32 v1, v1
	v_mul_f32_e32 v1, 0x4f7ffffe, v1
	v_cvt_u32_f32_e32 v1, v1
	s_waitcnt lgkmcnt(0)
	v_readfirstlane_b32 s15, v1
	s_mul_i32 s16, s16, s15
	s_mul_hi_u32 s16, s15, s16
	s_add_i32 s15, s15, s16
	s_mul_hi_u32 s15, s11, s15
	s_mul_i32 s16, s15, s9
	s_sub_i32 s11, s11, s16
	s_add_i32 s16, s15, 1
	s_sub_i32 s17, s11, s9
	s_cmp_ge_u32 s11, s9
	s_cselect_b32 s15, s16, s15
	s_cselect_b32 s11, s17, s11
	s_add_i32 s16, s15, 1
	s_cmp_ge_u32 s11, s9
	s_cselect_b32 s18, s16, s15
.LBB39_6:
	s_cmp_eq_u32 s10, s18
	s_waitcnt lgkmcnt(0)
	s_mul_hi_u32 s11, s10, s12
	s_cselect_b32 s15, -1, 0
	s_add_i32 s11, s11, s10
	s_lshr_b32 s11, s11, s13
	s_mul_i32 s16, s11, s14
	s_cmp_eq_u32 s16, s10
	s_mul_hi_u32 s16, s18, s12
	s_cselect_b32 s17, -1, 0
	s_add_i32 s16, s16, s18
	s_lshr_b32 s16, s16, s13
	s_cmp_eq_u32 s11, s16
	s_mul_i32 s16, s16, s14
	s_cselect_b32 s19, -1, 0
	s_cmp_lg_u32 s16, s18
	s_cselect_b32 s16, -1, 0
	s_or_b32 s15, s15, s17
	s_and_b32 s16, s19, s16
	s_or_b32 s15, s15, s16
	s_and_b32 vcc_lo, exec_lo, s15
	s_cbranch_vccnz .LBB39_24
; %bb.7:
	s_clause 0x1
	s_load_dwordx8 s[20:27], s[4:5], 0x20
	s_load_dword s16, s[4:5], 0x40
	s_waitcnt lgkmcnt(0)
	s_mul_hi_u32 s15, s10, s20
	s_add_i32 s15, s15, s10
	s_lshr_b32 s15, s15, s21
	s_mul_i32 s17, s15, s22
	s_sub_i32 s17, s10, s17
	s_mul_hi_u32 s18, s17, s23
	s_add_i32 s18, s17, s18
	s_lshr_b32 s22, s18, s24
	s_mul_i32 s18, s22, s25
	s_sub_i32 s17, s17, s18
	s_mul_hi_u32 s18, s17, s26
	s_add_i32 s18, s17, s18
	s_lshr_b32 s18, s18, s27
	s_mul_i32 s16, s18, s16
	s_lshl_b32 s24, s18, 1
	s_sub_i32 s16, s17, s16
	s_mul_hi_u32 s17, s16, s12
	s_add_i32 s16, s16, s17
	s_lshr_b32 s23, s16, s13
	s_lshl_b32 s16, s23, 4
	s_add_i32 s16, s16, s7
	s_cmp_lt_i32 s16, s0
	s_cselect_b32 s16, -1, 0
	s_add_i32 s17, s24, s8
	s_cmp_lt_i32 s17, s2
	s_cselect_b32 s17, -1, 0
	s_and_b32 s16, s16, s17
	s_andn2_b32 vcc_lo, exec_lo, s16
	s_cbranch_vccnz .LBB39_24
; %bb.8:
	s_load_dwordx4 s[16:19], s[4:5], 0x0
	s_mov_b32 s4, 0
	s_lshl_b32 s20, s9, 7
	s_mov_b32 s21, s4
	s_lshl_b32 s5, s7, 1
	s_lshl_b64 s[20:21], s[20:21], 2
	s_mul_i32 s0, s15, s0
	s_add_i32 s15, s5, s8
	s_mul_i32 s22, s22, s2
	v_cvt_f32_u32_e32 v4, s9
	v_rcp_iflag_f32_e32 v4, v4
	s_waitcnt lgkmcnt(0)
	s_add_u32 s20, s18, s20
	s_addc_u32 s21, s19, s21
	s_add_i32 s0, s0, s7
	s_mul_i32 s0, s0, s1
	s_mul_i32 s1, s1, s23
	s_add_i32 s0, s0, s8
	s_lshl_b32 s1, s1, 10
	s_add_i32 s0, s0, s22
	v_mul_f32_e32 v4, 0x4f7ffffe, v4
	s_add_i32 s0, s0, s24
	s_lshl_b32 s0, s0, 6
	s_add_i32 s1, s1, s0
	s_lshl_b32 s0, s6, 5
	v_or_b32_e32 v1, s1, v0
	s_add_i32 s0, s15, s0
	v_lshl_or_b32 v0, s15, 6, v0
	s_ashr_i32 s1, s0, 31
	v_cvt_u32_f32_e32 v4, v4
	v_ashrrev_i32_e32 v2, 31, v1
	s_lshl_b64 s[0:1], s[0:1], 3
	s_add_u32 s0, s18, s0
	s_addc_u32 s1, s19, s1
	v_lshlrev_b64 v[1:2], 2, v[1:2]
	s_load_dwordx2 s[0:1], s[0:1], 0x0
	s_add_i32 s8, s6, -1
	s_sub_i32 s2, 0, s9
	v_add_co_u32 v1, vcc_lo, s16, v1
	v_add_co_ci_u32_e64 v2, null, s17, v2, vcc_lo
	global_load_dword v3, v[1:2], off
	s_waitcnt lgkmcnt(0)
	v_mov_b32_e32 v5, s1
	v_mov_b32_e32 v6, s0
.LBB39_9:                               ; =>This Inner Loop Header: Depth=1
	s_mul_hi_i32 s5, s8, s3
	s_mul_i32 s6, s8, s3
	s_cmp_lg_u64 s[4:5], 0
	s_mov_b32 s7, -1
                                        ; implicit-def: $sgpr0_sgpr1
	s_cbranch_scc0 .LBB39_11
; %bb.10:                               ;   in Loop: Header=BB39_9 Depth=1
	s_add_u32 s0, s9, 0
	s_addc_u32 s1, 0, 0
	s_xor_b64 s[0:1], s[0:1], 0
	v_cvt_f32_u32_e32 v7, s0
	v_cvt_f32_u32_e32 v8, s1
	s_sub_u32 s17, 0, s0
	s_subb_u32 s22, 0, s1
	v_fmac_f32_e32 v7, 0x4f800000, v8
	v_rcp_f32_e32 v7, v7
	v_mul_f32_e32 v7, 0x5f7ffffc, v7
	v_mul_f32_e32 v8, 0x2f800000, v7
	v_trunc_f32_e32 v8, v8
	v_fmac_f32_e32 v7, 0xcf800000, v8
	v_cvt_u32_f32_e32 v8, v8
	v_cvt_u32_f32_e32 v7, v7
	v_readfirstlane_b32 s7, v8
	v_readfirstlane_b32 s16, v7
	s_mul_i32 s23, s17, s7
	s_mul_hi_u32 s25, s17, s16
	s_mul_i32 s24, s22, s16
	s_add_i32 s23, s25, s23
	s_mul_i32 s26, s17, s16
	s_add_i32 s23, s23, s24
	s_mul_hi_u32 s25, s16, s26
	s_mul_i32 s28, s16, s23
	s_mul_hi_u32 s27, s7, s26
	s_mul_i32 s24, s7, s26
	s_mul_hi_u32 s26, s16, s23
	s_add_u32 s25, s25, s28
	s_addc_u32 s26, 0, s26
	s_mul_hi_u32 s29, s7, s23
	s_add_u32 s24, s25, s24
	s_mul_i32 s23, s7, s23
	s_addc_u32 s24, s26, s27
	s_addc_u32 s25, s29, 0
	s_add_u32 s23, s24, s23
	s_addc_u32 s24, 0, s25
	s_add_u32 s16, s16, s23
	s_cselect_b32 s23, -1, 0
	s_mul_hi_u32 s25, s17, s16
	s_cmp_lg_u32 s23, 0
	s_mul_i32 s23, s17, s16
	s_addc_u32 s7, s7, s24
	s_mul_i32 s22, s22, s16
	s_mul_i32 s17, s17, s7
	s_mul_hi_u32 s24, s16, s23
	s_add_i32 s17, s25, s17
	s_mul_hi_u32 s25, s7, s23
	s_add_i32 s17, s17, s22
	s_mul_i32 s22, s7, s23
	s_mul_i32 s27, s16, s17
	s_mul_hi_u32 s26, s16, s17
	s_add_u32 s24, s24, s27
	s_addc_u32 s26, 0, s26
	s_mul_hi_u32 s23, s7, s17
	s_add_u32 s22, s24, s22
	s_mul_i32 s17, s7, s17
	s_addc_u32 s22, s26, s25
	s_addc_u32 s23, s23, 0
	s_add_u32 s17, s22, s17
	s_addc_u32 s22, 0, s23
	s_add_u32 s24, s16, s17
	s_cselect_b32 s16, -1, 0
	s_cmp_lg_u32 s16, 0
	s_addc_u32 s7, s7, s22
	s_ashr_i32 s16, s5, 31
	s_add_u32 s22, s6, s16
	s_mov_b32 s17, s16
	s_addc_u32 s23, s5, s16
	s_xor_b64 s[22:23], s[22:23], s[16:17]
	s_mul_i32 s25, s22, s7
	s_mul_hi_u32 s26, s22, s24
	s_mul_hi_u32 s5, s22, s7
	;; [unrolled: 1-line block ×3, first 2 shown]
	s_mul_i32 s24, s23, s24
	s_add_u32 s25, s26, s25
	s_addc_u32 s5, 0, s5
	s_mul_hi_u32 s27, s23, s7
	s_add_u32 s24, s25, s24
	s_mul_i32 s7, s23, s7
	s_addc_u32 s5, s5, s28
	s_addc_u32 s24, s27, 0
	s_add_u32 s5, s5, s7
	s_addc_u32 s7, 0, s24
	s_mul_hi_u32 s24, s0, s5
	s_mul_i32 s25, s0, s7
	s_mul_i32 s26, s1, s5
	s_add_i32 s24, s24, s25
	s_mul_i32 s25, s0, s5
	s_add_i32 s24, s24, s26
	s_sub_i32 s26, s23, s24
	s_sub_u32 s22, s22, s25
	s_cselect_b32 s25, -1, 0
	s_cmp_lg_u32 s25, 0
	s_subb_u32 s26, s26, s1
	s_sub_u32 s27, s22, s0
	s_cselect_b32 s28, -1, 0
	s_cmp_lg_u32 s28, 0
	s_subb_u32 s26, s26, 0
	s_cmp_ge_u32 s26, s1
	s_cselect_b32 s28, -1, 0
	s_cmp_ge_u32 s27, s0
	s_cselect_b32 s27, -1, 0
	s_cmp_eq_u32 s26, s1
	s_cselect_b32 s26, s27, s28
	s_add_u32 s27, s5, 1
	s_addc_u32 s28, s7, 0
	s_add_u32 s29, s5, 2
	s_addc_u32 s30, s7, 0
	s_cmp_lg_u32 s26, 0
	s_cselect_b32 s26, s29, s27
	s_cselect_b32 s27, s30, s28
	s_cmp_lg_u32 s25, 0
	s_subb_u32 s23, s23, s24
	s_cmp_ge_u32 s23, s1
	s_cselect_b32 s24, -1, 0
	s_cmp_ge_u32 s22, s0
	s_cselect_b32 s0, -1, 0
	s_cmp_eq_u32 s23, s1
	s_cselect_b32 s0, s0, s24
	s_cmp_lg_u32 s0, 0
	s_cselect_b32 s1, s27, s7
	s_cselect_b32 s0, s26, s5
	s_xor_b64 s[16:17], s[16:17], 0
	s_mov_b32 s7, 0
	s_xor_b64 s[0:1], s[0:1], s[16:17]
	s_sub_u32 s0, s0, s16
.LBB39_11:                              ;   in Loop: Header=BB39_9 Depth=1
	s_andn2_b32 vcc_lo, exec_lo, s7
	s_cbranch_vccnz .LBB39_13
; %bb.12:                               ;   in Loop: Header=BB39_9 Depth=1
	v_readfirstlane_b32 s0, v4
	s_mul_i32 s1, s2, s0
	s_mul_hi_u32 s1, s0, s1
	s_add_i32 s0, s0, s1
	s_mul_hi_u32 s0, s6, s0
	s_mul_i32 s1, s0, s9
	s_add_i32 s5, s0, 1
	s_sub_i32 s1, s6, s1
	s_sub_i32 s6, s1, s9
	s_cmp_ge_u32 s1, s9
	s_cselect_b32 s0, s5, s0
	s_cselect_b32 s1, s6, s1
	s_add_i32 s5, s0, 1
	s_cmp_ge_u32 s1, s9
	s_cselect_b32 s0, s5, s0
.LBB39_13:                              ;   in Loop: Header=BB39_9 Depth=1
	s_cmp_lg_u32 s10, s0
	s_mov_b32 s6, -1
                                        ; implicit-def: $sgpr5
                                        ; implicit-def: $vgpr8
                                        ; implicit-def: $vgpr7
                                        ; implicit-def: $vgpr9
                                        ; implicit-def: $sgpr1
                                        ; implicit-def: $sgpr16
	s_cbranch_scc0 .LBB39_18
; %bb.14:                               ;   in Loop: Header=BB39_9 Depth=1
	s_add_i32 s1, s8, s9
	s_mov_b32 s7, s4
	s_lshl_b32 s1, s1, 5
	s_mov_b32 s16, s10
	s_add_i32 s6, s1, s15
	s_mul_hi_u32 s1, s0, s12
	s_lshl_b64 s[6:7], s[6:7], 3
	s_add_u32 s6, s18, s6
	s_addc_u32 s7, s19, s7
	s_add_i32 s1, s1, s0
	s_lshr_b32 s1, s1, s13
	s_mul_i32 s5, s1, s14
	s_cmp_eq_u32 s5, s0
	s_cselect_b32 s5, -1, 0
	s_cmp_lt_u32 s1, s11
	s_cselect_b32 s1, -1, 0
	s_or_b32 s1, s1, s5
	s_mov_b32 s5, -1
	s_and_b32 vcc_lo, exec_lo, s1
	s_mov_b32 s1, s8
	s_cbranch_vccnz .LBB39_16
; %bb.15:                               ;   in Loop: Header=BB39_9 Depth=1
	s_add_i32 s1, s8, -1
	s_mov_b32 s5, 0
	s_mov_b32 s16, s0
.LBB39_16:                              ;   in Loop: Header=BB39_9 Depth=1
	v_lshl_add_u32 v7, s8, 11, v0
	s_load_dwordx2 s[6:7], s[6:7], 0x0
	v_ashrrev_i32_e32 v8, 31, v7
	v_lshlrev_b64 v[7:8], 2, v[7:8]
	v_add_co_u32 v7, vcc_lo, s20, v7
	v_add_co_ci_u32_e64 v8, null, s21, v8, vcc_lo
	s_waitcnt lgkmcnt(0)
	v_max_f32_e64 v9, s6, s6
	global_load_dword v8, v[7:8], off
	v_max_f32_e32 v7, v6, v6
	v_max_f32_e32 v7, v7, v9
	v_sub_f32_e32 v9, s6, v7
	v_sub_f32_e32 v10, v6, v7
	v_mul_f32_e32 v11, 0x3fb8aa3b, v9
	v_mul_f32_e32 v12, 0x3fb8aa3b, v10
	v_cmp_ngt_f32_e32 vcc_lo, 0xc2ce8ed0, v9
	v_fma_f32 v13, 0x3fb8aa3b, v9, -v11
	v_rndne_f32_e32 v14, v11
	v_fma_f32 v15, 0x3fb8aa3b, v10, -v12
	v_rndne_f32_e32 v16, v12
	v_fmac_f32_e32 v13, 0x32a5705f, v9
	v_sub_f32_e32 v11, v11, v14
	v_fmac_f32_e32 v15, 0x32a5705f, v10
	v_sub_f32_e32 v12, v12, v16
	v_add_f32_e32 v11, v11, v13
	v_cvt_i32_f32_e32 v13, v14
	v_add_f32_e32 v12, v12, v15
	v_cvt_i32_f32_e32 v14, v16
	v_exp_f32_e32 v11, v11
	v_exp_f32_e32 v12, v12
	v_ldexp_f32 v11, v11, v13
	v_ldexp_f32 v12, v12, v14
	v_cndmask_b32_e32 v11, 0, v11, vcc_lo
	v_cmp_ngt_f32_e32 vcc_lo, 0xc2ce8ed0, v10
	v_cndmask_b32_e32 v12, 0, v12, vcc_lo
	v_cmp_nlt_f32_e32 vcc_lo, 0x42b17218, v9
	v_cndmask_b32_e32 v11, 0x7f800000, v11, vcc_lo
	v_cmp_nlt_f32_e32 vcc_lo, 0x42b17218, v10
	v_cndmask_b32_e32 v12, 0x7f800000, v12, vcc_lo
	v_cmp_le_f32_e32 vcc_lo, 0xc1a00000, v9
	v_cndmask_b32_e32 v9, 0, v11, vcc_lo
	v_cmp_le_f32_e32 vcc_lo, 0xc1a00000, v10
	v_cndmask_b32_e32 v10, 0, v12, vcc_lo
	s_waitcnt vmcnt(0)
	v_mul_f32_e32 v8, v8, v9
	v_mul_f32_e32 v9, s7, v9
	v_fmac_f32_e32 v8, v3, v10
	v_fmac_f32_e32 v9, v5, v10
	s_cbranch_execz .LBB39_19
.LBB39_17:                              ;   in Loop: Header=BB39_9 Depth=1
	s_andn2_b32 vcc_lo, exec_lo, s5
	s_cbranch_vccnz .LBB39_20
	s_branch .LBB39_23
.LBB39_18:                              ;   in Loop: Header=BB39_9 Depth=1
	s_andn2_b32 vcc_lo, exec_lo, s6
	s_cbranch_vccnz .LBB39_17
.LBB39_19:                              ;   in Loop: Header=BB39_9 Depth=1
	v_mov_b32_e32 v9, v5
	v_mov_b32_e32 v7, v6
	s_waitcnt vmcnt(0)
	v_mov_b32_e32 v8, v3
	s_add_i32 s1, s8, -1
	s_mov_b32 s16, s10
	s_cbranch_execz .LBB39_23
.LBB39_20:                              ;   in Loop: Header=BB39_9 Depth=1
	v_mov_b32_e32 v5, v9
	v_mov_b32_e32 v6, v7
	s_waitcnt vmcnt(0)
	v_mov_b32_e32 v3, v8
	s_mov_b32 s10, s16
	s_mov_b32 s8, s1
	s_branch .LBB39_9
.LBB39_21:
                                        ; implicit-def: $sgpr10_sgpr11
	s_load_dwordx4 s[12:15], s[4:5], 0x44
	s_branch .LBB39_2
.LBB39_22:
                                        ; implicit-def: $sgpr18_sgpr19
	s_branch .LBB39_5
.LBB39_23:
	v_div_scale_f32 v0, null, v9, v9, v8
	s_waitcnt vmcnt(0)
	v_rcp_f32_e32 v3, v0
	v_fma_f32 v4, -v0, v3, 1.0
	v_fmac_f32_e32 v3, v4, v3
	v_div_scale_f32 v4, vcc_lo, v8, v9, v8
	v_mul_f32_e32 v5, v4, v3
	v_fma_f32 v6, -v0, v5, v4
	v_fmac_f32_e32 v5, v6, v3
	v_fma_f32 v0, -v0, v5, v4
	v_div_fmas_f32 v0, v0, v3, v5
	v_div_fixup_f32 v0, v0, v9, v8
	global_store_dword v[1:2], v0, off
.LBB39_24:
	s_endpgm
	.section	.rodata,"a",@progbits
	.p2align	6, 0x0
	.amdhsa_kernel _ZL33flash_attn_stream_k_fixup_generalILi64ELi16ELi2EEvPfPK15HIP_vector_typeIfLj2EEiiiiS1_IjLj3EES5_S5_S5_
		.amdhsa_group_segment_fixed_size 0
		.amdhsa_private_segment_fixed_size 0
		.amdhsa_kernarg_size 336
		.amdhsa_user_sgpr_count 6
		.amdhsa_user_sgpr_private_segment_buffer 1
		.amdhsa_user_sgpr_dispatch_ptr 0
		.amdhsa_user_sgpr_queue_ptr 0
		.amdhsa_user_sgpr_kernarg_segment_ptr 1
		.amdhsa_user_sgpr_dispatch_id 0
		.amdhsa_user_sgpr_flat_scratch_init 0
		.amdhsa_user_sgpr_private_segment_size 0
		.amdhsa_wavefront_size32 1
		.amdhsa_uses_dynamic_stack 0
		.amdhsa_system_sgpr_private_segment_wavefront_offset 0
		.amdhsa_system_sgpr_workgroup_id_x 1
		.amdhsa_system_sgpr_workgroup_id_y 1
		.amdhsa_system_sgpr_workgroup_id_z 1
		.amdhsa_system_sgpr_workgroup_info 0
		.amdhsa_system_vgpr_workitem_id 0
		.amdhsa_next_free_vgpr 17
		.amdhsa_next_free_sgpr 31
		.amdhsa_reserve_vcc 1
		.amdhsa_reserve_flat_scratch 0
		.amdhsa_float_round_mode_32 0
		.amdhsa_float_round_mode_16_64 0
		.amdhsa_float_denorm_mode_32 3
		.amdhsa_float_denorm_mode_16_64 3
		.amdhsa_dx10_clamp 1
		.amdhsa_ieee_mode 1
		.amdhsa_fp16_overflow 0
		.amdhsa_workgroup_processor_mode 1
		.amdhsa_memory_ordered 1
		.amdhsa_forward_progress 1
		.amdhsa_shared_vgpr_count 0
		.amdhsa_exception_fp_ieee_invalid_op 0
		.amdhsa_exception_fp_denorm_src 0
		.amdhsa_exception_fp_ieee_div_zero 0
		.amdhsa_exception_fp_ieee_overflow 0
		.amdhsa_exception_fp_ieee_underflow 0
		.amdhsa_exception_fp_ieee_inexact 0
		.amdhsa_exception_int_div_zero 0
	.end_amdhsa_kernel
	.section	.text._ZL33flash_attn_stream_k_fixup_generalILi64ELi16ELi2EEvPfPK15HIP_vector_typeIfLj2EEiiiiS1_IjLj3EES5_S5_S5_,"axG",@progbits,_ZL33flash_attn_stream_k_fixup_generalILi64ELi16ELi2EEvPfPK15HIP_vector_typeIfLj2EEiiiiS1_IjLj3EES5_S5_S5_,comdat
.Lfunc_end39:
	.size	_ZL33flash_attn_stream_k_fixup_generalILi64ELi16ELi2EEvPfPK15HIP_vector_typeIfLj2EEiiiiS1_IjLj3EES5_S5_S5_, .Lfunc_end39-_ZL33flash_attn_stream_k_fixup_generalILi64ELi16ELi2EEvPfPK15HIP_vector_typeIfLj2EEiiiiS1_IjLj3EES5_S5_S5_
                                        ; -- End function
	.set _ZL33flash_attn_stream_k_fixup_generalILi64ELi16ELi2EEvPfPK15HIP_vector_typeIfLj2EEiiiiS1_IjLj3EES5_S5_S5_.num_vgpr, 17
	.set _ZL33flash_attn_stream_k_fixup_generalILi64ELi16ELi2EEvPfPK15HIP_vector_typeIfLj2EEiiiiS1_IjLj3EES5_S5_S5_.num_agpr, 0
	.set _ZL33flash_attn_stream_k_fixup_generalILi64ELi16ELi2EEvPfPK15HIP_vector_typeIfLj2EEiiiiS1_IjLj3EES5_S5_S5_.numbered_sgpr, 31
	.set _ZL33flash_attn_stream_k_fixup_generalILi64ELi16ELi2EEvPfPK15HIP_vector_typeIfLj2EEiiiiS1_IjLj3EES5_S5_S5_.num_named_barrier, 0
	.set _ZL33flash_attn_stream_k_fixup_generalILi64ELi16ELi2EEvPfPK15HIP_vector_typeIfLj2EEiiiiS1_IjLj3EES5_S5_S5_.private_seg_size, 0
	.set _ZL33flash_attn_stream_k_fixup_generalILi64ELi16ELi2EEvPfPK15HIP_vector_typeIfLj2EEiiiiS1_IjLj3EES5_S5_S5_.uses_vcc, 1
	.set _ZL33flash_attn_stream_k_fixup_generalILi64ELi16ELi2EEvPfPK15HIP_vector_typeIfLj2EEiiiiS1_IjLj3EES5_S5_S5_.uses_flat_scratch, 0
	.set _ZL33flash_attn_stream_k_fixup_generalILi64ELi16ELi2EEvPfPK15HIP_vector_typeIfLj2EEiiiiS1_IjLj3EES5_S5_S5_.has_dyn_sized_stack, 0
	.set _ZL33flash_attn_stream_k_fixup_generalILi64ELi16ELi2EEvPfPK15HIP_vector_typeIfLj2EEiiiiS1_IjLj3EES5_S5_S5_.has_recursion, 0
	.set _ZL33flash_attn_stream_k_fixup_generalILi64ELi16ELi2EEvPfPK15HIP_vector_typeIfLj2EEiiiiS1_IjLj3EES5_S5_S5_.has_indirect_call, 0
	.section	.AMDGPU.csdata,"",@progbits
; Kernel info:
; codeLenInByte = 2944
; TotalNumSgprs: 33
; NumVgprs: 17
; ScratchSize: 0
; MemoryBound: 0
; FloatMode: 240
; IeeeMode: 1
; LDSByteSize: 0 bytes/workgroup (compile time only)
; SGPRBlocks: 0
; VGPRBlocks: 2
; NumSGPRsForWavesPerEU: 33
; NumVGPRsForWavesPerEU: 17
; Occupancy: 16
; WaveLimiterHint : 0
; COMPUTE_PGM_RSRC2:SCRATCH_EN: 0
; COMPUTE_PGM_RSRC2:USER_SGPR: 6
; COMPUTE_PGM_RSRC2:TRAP_HANDLER: 0
; COMPUTE_PGM_RSRC2:TGID_X_EN: 1
; COMPUTE_PGM_RSRC2:TGID_Y_EN: 1
; COMPUTE_PGM_RSRC2:TGID_Z_EN: 1
; COMPUTE_PGM_RSRC2:TIDIG_COMP_CNT: 0
	.section	.text._ZL15flash_attn_tileILi64ELi64ELi8ELi2ELb0EEvPKcS1_S1_S1_S1_PKiPfP15HIP_vector_typeIfLj2EEffffjfiS5_IjLj3EEiiiiiiiiiiiliiliiiiil,"axG",@progbits,_ZL15flash_attn_tileILi64ELi64ELi8ELi2ELb0EEvPKcS1_S1_S1_S1_PKiPfP15HIP_vector_typeIfLj2EEffffjfiS5_IjLj3EEiiiiiiiiiiiliiliiiiil,comdat
	.globl	_ZL15flash_attn_tileILi64ELi64ELi8ELi2ELb0EEvPKcS1_S1_S1_S1_PKiPfP15HIP_vector_typeIfLj2EEffffjfiS5_IjLj3EEiiiiiiiiiiiliiliiiiil ; -- Begin function _ZL15flash_attn_tileILi64ELi64ELi8ELi2ELb0EEvPKcS1_S1_S1_S1_PKiPfP15HIP_vector_typeIfLj2EEffffjfiS5_IjLj3EEiiiiiiiiiiiliiliiiiil
	.p2align	8
	.type	_ZL15flash_attn_tileILi64ELi64ELi8ELi2ELb0EEvPKcS1_S1_S1_S1_PKiPfP15HIP_vector_typeIfLj2EEffffjfiS5_IjLj3EEiiiiiiiiiiiliiliiiiil,@function
_ZL15flash_attn_tileILi64ELi64ELi8ELi2ELb0EEvPKcS1_S1_S1_S1_PKiPfP15HIP_vector_typeIfLj2EEffffjfiS5_IjLj3EEiiiiiiiiiiiliiliiiiil: ; @_ZL15flash_attn_tileILi64ELi64ELi8ELi2ELb0EEvPKcS1_S1_S1_S1_PKiPfP15HIP_vector_typeIfLj2EEffffjfiS5_IjLj3EEiiiiiiiiiiiliiliiiiil
; %bb.0:
	s_clause 0x1
	s_load_dwordx4 s[0:3], s[4:5], 0x5c
	s_load_dwordx2 s[34:35], s[4:5], 0x80
	s_mov_b32 s28, s7
	s_mov_b64 s[36:37], 0
	s_waitcnt lgkmcnt(0)
	s_lshr_b32 s7, s3, 31
	s_add_i32 s7, s3, s7
	s_ashr_i32 s7, s7, 1
	v_cvt_f32_u32_e32 v2, s7
	s_sub_i32 s10, 0, s7
	v_rcp_iflag_f32_e32 v2, v2
	v_mul_f32_e32 v2, 0x4f7ffffe, v2
	v_cvt_u32_f32_e32 v2, v2
	v_readfirstlane_b32 s9, v2
	s_mul_i32 s10, s10, s9
	s_mul_hi_u32 s10, s9, s10
	s_add_i32 s9, s9, s10
	s_mul_hi_u32 s9, s8, s9
	s_mul_i32 s10, s9, s7
	s_add_i32 s11, s9, 1
	s_sub_i32 s10, s8, s10
	s_sub_i32 s12, s10, s7
	s_cmp_ge_u32 s10, s7
	s_cselect_b32 s9, s11, s9
	s_cselect_b32 s10, s12, s10
	s_add_i32 s11, s9, 1
	s_cmp_ge_u32 s10, s7
	s_cselect_b32 s7, s11, s9
	s_abs_i32 s9, s35
	s_lshl_b32 s8, s8, 1
	v_cvt_f32_u32_e32 v2, s9
	s_sub_i32 s11, 0, s9
	s_mul_i32 s12, s7, s3
	s_abs_i32 s13, s3
	s_sub_i32 s30, s8, s12
	v_rcp_iflag_f32_e32 v2, v2
	v_mul_f32_e32 v2, 0x4f7ffffe, v2
	v_cvt_u32_f32_e32 v2, v2
	v_readfirstlane_b32 s10, v2
	s_mul_i32 s11, s11, s10
	s_mul_hi_u32 s11, s10, s11
	s_add_i32 s10, s10, s11
	s_mul_hi_u32 s8, s13, s10
	s_xor_b32 s10, s3, s35
	s_mul_i32 s11, s8, s9
	s_ashr_i32 s10, s10, 31
	s_sub_i32 s11, s13, s11
	s_add_i32 s12, s8, 1
	s_sub_i32 s13, s11, s9
	s_cmp_ge_u32 s11, s9
	s_cselect_b32 s8, s12, s8
	s_cselect_b32 s11, s13, s11
	s_add_i32 s12, s8, 1
	s_cmp_ge_u32 s11, s9
	s_cselect_b32 s8, s12, s8
	s_xor_b32 s8, s8, s10
	s_sub_i32 s31, s8, s10
	s_clause 0x1
	s_load_dwordx16 s[8:23], s[4:5], 0x0
	s_load_dwordx2 s[38:39], s[4:5], 0xb8
	s_abs_i32 s29, s31
	v_cvt_f32_u32_e32 v2, s29
	v_rcp_iflag_f32_e32 v2, v2
	v_mul_f32_e32 v2, 0x4f7ffffe, v2
	s_waitcnt lgkmcnt(0)
	s_cmp_eq_u64 s[14:15], 0
	v_cvt_u32_f32_e32 v2, v2
	v_readfirstlane_b32 s33, v2
	s_cbranch_scc1 .LBB40_2
; %bb.1:
	s_abs_i32 s26, s38
	s_abs_i32 s27, s7
	v_cvt_f32_u32_e32 v2, s26
	s_sub_i32 s25, 0, s26
	v_rcp_iflag_f32_e32 v2, v2
	v_mul_f32_e32 v2, 0x4f7ffffe, v2
	v_cvt_u32_f32_e32 v2, v2
	v_readfirstlane_b32 s24, v2
	s_mul_i32 s25, s25, s24
	s_mul_hi_u32 s25, s24, s25
	s_add_i32 s24, s24, s25
	s_mul_hi_u32 s35, s27, s24
	s_load_dwordx2 s[24:25], s[4:5], 0xc8
	s_mul_i32 s35, s35, s26
	s_sub_i32 s27, s27, s35
	s_ashr_i32 s35, s7, 31
	s_sub_i32 s36, s27, s26
	s_cmp_ge_u32 s27, s26
	s_cselect_b32 s27, s36, s27
	s_sub_i32 s36, s27, s26
	s_cmp_ge_u32 s27, s26
	s_cselect_b32 s26, s36, s27
	s_xor_b32 s26, s26, s35
	s_sub_i32 s26, s26, s35
	s_ashr_i32 s27, s26, 31
	s_waitcnt lgkmcnt(0)
	s_mul_hi_u32 s35, s24, s26
	s_mul_i32 s27, s24, s27
	s_mul_i32 s25, s25, s26
	s_add_i32 s27, s35, s27
	s_mul_i32 s24, s24, s26
	s_add_i32 s27, s27, s25
	s_add_u32 s36, s14, s24
	s_addc_u32 s37, s15, s27
.LBB40_2:
	v_lshlrev_b32_e32 v57, 1, v1
	v_lshlrev_b32_e32 v4, 2, v1
	s_lshl_b32 s14, s6, 3
	s_load_dwordx4 s[24:27], s[4:5], 0x70
	v_add_nc_u32_e32 v58, s14, v57
	v_or_b32_e32 v15, 2, v4
	v_or_b32_e32 v16, 3, v4
	v_mul_hi_u32 v2, v58, s0
	v_lshrrev_b32_e32 v55, 1, v15
	v_lshrrev_b32_e32 v53, 1, v16
	v_add_nc_u32_e32 v56, s14, v55
	v_add_nc_u32_e32 v54, s14, v53
	;; [unrolled: 1-line block ×3, first 2 shown]
	v_mul_hi_u32 v3, v56, s0
	v_mul_hi_u32 v5, v54, s0
	v_lshrrev_b32_e32 v2, s1, v2
	s_waitcnt lgkmcnt(0)
	s_mul_i32 s15, s7, s26
	s_mul_i32 s27, s30, s25
	s_ashr_i32 s35, s15, 31
	s_add_u32 s8, s8, s15
	v_mul_lo_u32 v2, v2, s2
	v_add_nc_u32_e32 v3, v56, v3
	v_add_nc_u32_e32 v5, v54, v5
	s_addc_u32 s9, s9, s35
	s_ashr_i32 s15, s27, 31
	s_add_u32 s35, s8, s27
	v_lshrrev_b32_e32 v6, s1, v3
	v_lshrrev_b32_e32 v5, s1, v5
	v_sub_nc_u32_e32 v3, v58, v2
	s_mov_b32 s26, s24
	s_addc_u32 s15, s9, s15
	s_ashr_i32 s27, s24, 31
	v_mul_lo_u32 v2, v6, s2
	s_lshr_b64 s[8:9], s[26:27], 2
	v_mul_lo_u32 v7, v5, s2
	v_mad_u64_u32 v[5:6], null, s8, v3, 0
	s_lshr_b32 s9, s27, 2
	v_sub_nc_u32_e32 v13, v56, v2
	v_sub_nc_u32_e32 v14, v54, v7
	v_mov_b32_e32 v2, v6
	v_mad_u64_u32 v[7:8], null, s8, v13, 0
	v_mad_u64_u32 v[9:10], null, s8, v14, 0
	;; [unrolled: 1-line block ×3, first 2 shown]
	s_ashr_i32 s8, s25, 31
	v_mov_b32_e32 v2, v8
	v_mov_b32_e32 v8, v10
	;; [unrolled: 1-line block ×3, first 2 shown]
	v_mad_u64_u32 v[10:11], null, s9, v13, v[2:3]
	v_mad_u64_u32 v[11:12], null, s9, v14, v[8:9]
	v_lshlrev_b64 v[5:6], 2, v[5:6]
	s_and_b32 s9, s25, -4
	v_lshlrev_b32_e32 v2, 3, v0
	s_add_u32 s9, s35, s9
	v_mov_b32_e32 v8, v10
	s_addc_u32 s8, s15, s8
	v_mov_b32_e32 v10, v11
	v_add_co_u32 v11, vcc_lo, s35, v5
	v_add_co_ci_u32_e64 v12, null, s15, v6, vcc_lo
	v_add_co_u32 v13, vcc_lo, s9, v5
	v_add_co_ci_u32_e64 v14, null, s8, v6, vcc_lo
	v_lshlrev_b64 v[5:6], 2, v[7:8]
	v_lshlrev_b64 v[7:8], 2, v[9:10]
	v_add_co_u32 v9, vcc_lo, v11, v2
	v_add_co_ci_u32_e64 v10, null, 0, v12, vcc_lo
	v_add_co_u32 v11, vcc_lo, v13, v2
	v_add_co_ci_u32_e64 v12, null, 0, v14, vcc_lo
	;; [unrolled: 2-line block ×6, first 2 shown]
	s_clause 0x3
	global_load_dwordx2 v[9:10], v[9:10], off
	global_load_dwordx2 v[11:12], v[11:12], off
	;; [unrolled: 1-line block ×4, first 2 shown]
	s_load_dword s8, s[4:5], 0x40
	v_lshl_or_b32 v8, v0, 2, 0x5800
	v_lshlrev_b32_e32 v5, 9, v1
	s_cmp_eq_u64 s[18:19], 0
	v_lshl_add_u32 v15, v15, 7, v8
	v_add_nc_u32_e32 v17, v8, v5
	v_lshl_add_u32 v8, v16, 7, v8
	s_waitcnt vmcnt(2) lgkmcnt(0)
	v_fma_mixlo_f16 v12, s8, v12, 0
	v_fma_mixlo_f16 v10, s8, v10, 0
	s_waitcnt vmcnt(1)
	v_fma_mixlo_f16 v14, s8, v14, 0
	s_waitcnt vmcnt(0)
	v_fma_mixlo_f16 v7, s8, v7, 0
	v_fma_mixlo_f16 v9, s8, v9, 0
	;; [unrolled: 1-line block ×3, first 2 shown]
	v_lshlrev_b32_e32 v10, 16, v10
	v_lshlrev_b32_e32 v12, 16, v12
	v_fma_mixlo_f16 v13, s8, v13, 0
	v_lshlrev_b32_e32 v14, 16, v14
	v_fma_mixlo_f16 v6, s8, v6, 0
	v_lshlrev_b32_e32 v7, 16, v7
	v_or_b32_sdwa v9, v10, v9 dst_sel:DWORD dst_unused:UNUSED_PAD src0_sel:DWORD src1_sel:WORD_0
	v_or_b32_sdwa v10, v12, v11 dst_sel:DWORD dst_unused:UNUSED_PAD src0_sel:DWORD src1_sel:WORD_0
	;; [unrolled: 1-line block ×4, first 2 shown]
	ds_write2_b32 v17, v9, v10 offset1:32
	ds_write_b32 v15, v11
	ds_write_b32 v8, v6
	s_waitcnt lgkmcnt(0)
	s_barrier
	buffer_gl0_inv
	s_cbranch_scc1 .LBB40_4
; %bb.3:
	s_load_dword s8, s[4:5], 0xd0
	s_mov_b32 s9, 0
	s_waitcnt lgkmcnt(0)
	s_mul_i32 s8, s8, s7
	s_add_i32 s8, s8, s6
	s_lshl_b64 s[8:9], s[8:9], 2
	s_add_u32 s8, s18, s8
	s_addc_u32 s9, s19, s9
	s_load_dword s34, s[8:9], 0x0
.LBB40_4:
	v_mbcnt_lo_u32_b32 v59, -1, 0
	s_lshl_b32 s6, s28, 7
	s_waitcnt lgkmcnt(0)
	s_cmp_lt_i32 s6, s34
	s_cbranch_scc1 .LBB40_7
; %bb.5:
	v_mbcnt_lo_u32_b32 v6, -1, 0
	v_mov_b32_e32 v60, 32
	v_xor_b32_e32 v67, 16, v6
	v_xor_b32_e32 v65, 8, v6
	;; [unrolled: 1-line block ×5, first 2 shown]
	s_cbranch_execz .LBB40_8
; %bb.6:
	v_mov_b32_e32 v109, 0
	v_mov_b32_e32 v73, 0
	;; [unrolled: 1-line block ×12, first 2 shown]
	s_branch .LBB40_11
.LBB40_7:
                                        ; implicit-def: $vgpr6
                                        ; implicit-def: $vgpr60
                                        ; implicit-def: $vgpr67
                                        ; implicit-def: $vgpr65
                                        ; implicit-def: $vgpr64
                                        ; implicit-def: $vgpr63
                                        ; implicit-def: $vgpr61
.LBB40_8:
	s_clause 0x1
	s_load_dwordx4 s[24:27], s[4:5], 0x98
	s_load_dwordx2 s[18:19], s[4:5], 0x8c
	s_sub_i32 s8, 0, s29
	s_ashr_i32 s38, s39, 1
	s_mul_i32 s8, s8, s33
	s_ashr_i32 s39, s7, 31
	s_mul_hi_u32 s8, s33, s8
	s_abs_i32 s15, s30
	s_add_i32 s33, s33, s8
	s_ashr_i32 s35, s30, 31
	s_mul_hi_u32 s33, s15, s33
	s_ashr_i32 s31, s31, 31
	s_load_dwordx2 s[40:41], s[4:5], 0xa8
	s_mul_i32 s42, s33, s29
	v_lshrrev_b32_e32 v6, 3, v0
	v_add3_u32 v17, s14, v57, 1
	v_lshlrev_b32_e32 v62, 2, v0
	v_add_nc_u32_e32 v76, 0x5800, v5
	v_lshl_add_u32 v81, v1, 10, 0x4800
	v_add_nc_u32_e32 v16, v6, v4
	s_waitcnt lgkmcnt(0)
	s_ashr_i32 s8, s26, 2
	s_ashr_i32 s9, s18, 2
	s_mul_hi_u32 s18, s24, s7
	s_mul_i32 s26, s24, s39
	s_mul_i32 s25, s25, s7
	s_add_i32 s18, s18, s26
	s_mul_i32 s24, s24, s7
	s_add_i32 s18, s18, s25
	s_add_u32 s10, s10, s24
	s_addc_u32 s11, s11, s18
	s_sub_i32 s15, s15, s42
	s_xor_b32 s18, s35, s31
	s_add_i32 s24, s33, 1
	s_sub_i32 s25, s15, s29
	s_cmp_ge_u32 s15, s29
	v_mul_hi_u32 v4, s0, v17
	s_cselect_b32 s24, s24, s33
	s_cselect_b32 s15, s25, s15
	s_add_i32 s25, s24, 1
	s_cmp_ge_u32 s15, s29
	v_mul_lo_u32 v6, s9, v16
	s_cselect_b32 s15, s25, s24
	s_mul_hi_u32 s24, s40, s7
	s_xor_b32 s15, s15, s18
	s_mul_i32 s25, s40, s39
	s_sub_i32 s15, s15, s18
	s_mul_i32 s18, s41, s7
	s_mul_i32 s19, s15, s19
	v_add_nc_u32_e32 v20, v17, v4
	s_ashr_i32 s29, s19, 31
	s_add_u32 s10, s10, s19
	s_addc_u32 s11, s11, s29
	s_add_i32 s19, s24, s25
	v_mul_lo_u32 v4, s8, v16
	s_mul_i32 s26, s40, s7
	s_mul_i32 s15, s15, s27
	s_add_i32 s19, s19, s18
	s_add_u32 s12, s12, s26
	s_addc_u32 s13, s13, s19
	s_ashr_i32 s18, s15, 31
	s_add_u32 s12, s12, s15
	s_addc_u32 s13, s13, s18
	s_lshl_b32 s15, s9, 4
	s_lshl_b32 s0, s8, 4
	v_add_nc_u32_e32 v8, s15, v6
	v_add_nc_u32_e32 v35, s0, v4
	v_lshrrev_b32_e32 v20, s1, v20
	v_and_b32_e32 v19, 28, v62
	v_ashrrev_i32_e32 v7, 31, v6
	v_add_nc_u32_e32 v10, s15, v8
	v_add_nc_u32_e32 v37, s0, v35
	v_mul_lo_u32 v20, v20, s2
	v_lshlrev_b32_e32 v18, 2, v19
	v_ashrrev_i32_e32 v9, 31, v8
	v_add_nc_u32_e32 v12, s15, v10
	v_add_nc_u32_e32 v39, s0, v37
	v_ashrrev_i32_e32 v11, 31, v10
	v_ashrrev_i32_e32 v36, 31, v35
	;; [unrolled: 1-line block ×3, first 2 shown]
	v_add_nc_u32_e32 v14, s15, v12
	v_add_nc_u32_e32 v41, s0, v39
	v_sub_nc_u32_e32 v5, v17, v20
	v_ashrrev_i32_e32 v13, 31, v12
	v_ashrrev_i32_e32 v40, 31, v39
	v_add_nc_u32_e32 v27, s15, v14
	v_add_nc_u32_e32 v43, s0, v41
	v_ashrrev_i32_e32 v15, 31, v14
	v_mul_lo_u32 v80, v5, s38
	v_ashrrev_i32_e32 v5, 31, v4
	v_add_nc_u32_e32 v29, s15, v27
	v_add_nc_u32_e32 v45, s0, v43
	v_ashrrev_i32_e32 v28, 31, v27
	v_ashrrev_i32_e32 v42, 31, v41
	;; [unrolled: 1-line block ×3, first 2 shown]
	v_add_nc_u32_e32 v31, s15, v29
	v_add_nc_u32_e32 v47, s0, v45
	v_ashrrev_i32_e32 v30, 31, v29
	v_ashrrev_i32_e32 v46, 31, v45
	v_mad_u32_u24 v66, 0x90, v16, v18
	v_ashrrev_i32_e32 v32, 31, v31
	v_ashrrev_i32_e32 v48, 31, v47
	v_lshl_or_b32 v79, v16, 7, v18
	v_mul_lo_u32 v78, v3, s38
	v_lshlrev_b64 v[17:18], 2, v[6:7]
	v_lshlrev_b32_e32 v89, 2, v19
	v_lshlrev_b64 v[19:20], 2, v[8:9]
	v_lshlrev_b64 v[21:22], 2, v[10:11]
	;; [unrolled: 1-line block ×15, first 2 shown]
	v_mov_b32_e32 v49, 0
	v_add_nc_u32_e32 v68, 0x900, v66
	v_add_nc_u32_e32 v69, 0x1200, v66
	;; [unrolled: 1-line block ×7, first 2 shown]
	v_mul_u32_u24_e32 v77, 0x90, v0
	v_add_nc_u32_e32 v82, 0x800, v79
	v_add_nc_u32_e32 v83, 0x1000, v79
	;; [unrolled: 1-line block ×7, first 2 shown]
	v_mov_b32_e32 v1, 0xfeffffff
	v_mov_b32_e32 v60, 32
	v_xor_b32_e32 v67, 16, v59
	v_xor_b32_e32 v65, 8, v59
	;; [unrolled: 1-line block ×5, first 2 shown]
	v_add_nc_u32_e32 v90, v81, v2
	v_mov_b32_e32 v91, 0x10001
	v_add_nc_u32_e32 v92, 0x400, v62
	v_add_nc_u32_e32 v93, 0x800, v62
	;; [unrolled: 1-line block ×15, first 2 shown]
	v_mov_b32_e32 v107, 0
	v_mov_b32_e32 v108, 0
	;; [unrolled: 1-line block ×10, first 2 shown]
	s_add_u32 s0, s4, 0xd0
	s_addc_u32 s1, s5, 0
.LBB40_9:                               ; =>This Inner Loop Header: Depth=1
	s_mul_hi_i32 s19, s6, s9
	s_mul_i32 s18, s6, s9
	v_mov_b32_e32 v113, v110
	s_lshl_b64 s[18:19], s[18:19], 2
	v_mov_b32_e32 v110, v1
	s_add_u32 s15, s10, s18
	s_addc_u32 s18, s11, s19
	v_add_co_u32 v1, vcc_lo, s15, v17
	v_mov_b32_e32 v51, v112
	v_mov_b32_e32 v112, v111
	;; [unrolled: 1-line block ×3, first 2 shown]
	v_add_co_ci_u32_e64 v2, null, s18, v18, vcc_lo
	v_add_co_u32 v1, vcc_lo, v1, v89
	v_mov_b32_e32 v50, v4
	v_add_co_ci_u32_e64 v2, null, 0, v2, vcc_lo
	v_mov_b32_e32 v52, v3
	v_mov_b32_e32 v120, 0
	;; [unrolled: 1-line block ×3, first 2 shown]
	global_load_dwordx4 v[1:4], v[1:2], off
	v_mov_b32_e32 v115, 0
	v_mov_b32_e32 v114, 0
	;; [unrolled: 1-line block ×5, first 2 shown]
	s_mul_hi_i32 s19, s6, s8
	s_waitcnt vmcnt(0)
	ds_write_b128 v66, v[1:4]
	v_add_co_u32 v1, vcc_lo, s15, v19
	v_add_co_ci_u32_e64 v2, null, s18, v20, vcc_lo
	v_add_co_u32 v1, vcc_lo, v1, v89
	v_add_co_ci_u32_e64 v2, null, 0, v2, vcc_lo
	global_load_dwordx4 v[1:4], v[1:2], off
	s_waitcnt vmcnt(0)
	ds_write_b128 v68, v[1:4]
	v_add_co_u32 v1, vcc_lo, s15, v21
	v_add_co_ci_u32_e64 v2, null, s18, v22, vcc_lo
	v_add_co_u32 v1, vcc_lo, v1, v89
	v_add_co_ci_u32_e64 v2, null, 0, v2, vcc_lo
	global_load_dwordx4 v[1:4], v[1:2], off
	;; [unrolled: 7-line block ×6, first 2 shown]
	s_waitcnt vmcnt(0)
	ds_write_b128 v74, v[1:4]
	v_add_co_u32 v1, vcc_lo, s15, v31
	v_add_co_ci_u32_e64 v2, null, s18, v32, vcc_lo
	s_mul_i32 s18, s6, s8
	v_add_co_u32 v1, vcc_lo, v1, v89
	v_add_co_ci_u32_e64 v2, null, 0, v2, vcc_lo
	v_cmp_gt_i32_e32 vcc_lo, 32, v67
	s_lshl_b64 s[18:19], s[18:19], 2
	global_load_dwordx4 v[1:4], v[1:2], off
	s_add_u32 s15, s12, s18
	s_addc_u32 s18, s13, s19
	s_waitcnt vmcnt(0)
	ds_write_b128 v75, v[1:4]
	s_waitcnt lgkmcnt(0)
	s_barrier
	buffer_gl0_inv
	ds_read_b128 v[121:124], v77
	ds_read_b128 v[125:128], v77 offset:4608
	ds_read_b128 v[129:132], v77 offset:9216
	ds_read_b128 v[1:4], v77 offset:13824
	ds_read_b128 v[133:136], v76
	ds_read_b128 v[13:16], v76 offset:128
	ds_read_b128 v[9:12], v76 offset:256
	;; [unrolled: 1-line block ×3, first 2 shown]
	s_waitcnt lgkmcnt(3)
	;;#ASMSTART
	v_dot2_f32_f16 v120, v121, v133, v120
	;;#ASMEND
	;;#ASMSTART
	v_dot2_f32_f16 v120, v122, v134, v120
	;;#ASMEND
	;;#ASMSTART
	v_dot2_f32_f16 v120, v123, v135, v120
	;;#ASMEND
	;;#ASMSTART
	v_dot2_f32_f16 v120, v124, v136, v120
	;;#ASMEND
	s_waitcnt lgkmcnt(2)
	;;#ASMSTART
	v_dot2_f32_f16 v119, v121, v13, v119
	;;#ASMEND
	;;#ASMSTART
	v_dot2_f32_f16 v119, v122, v14, v119
	;;#ASMEND
	;;#ASMSTART
	v_dot2_f32_f16 v119, v123, v15, v119
	;;#ASMEND
	;;#ASMSTART
	v_dot2_f32_f16 v119, v124, v16, v119
	;;#ASMEND
	;; [unrolled: 13-line block ×3, first 2 shown]
	s_waitcnt lgkmcnt(0)
	;;#ASMSTART
	v_dot2_f32_f16 v114, v121, v5, v114
	;;#ASMEND
	;;#ASMSTART
	v_dot2_f32_f16 v114, v122, v6, v114
	;;#ASMEND
	;; [unrolled: 3-line block ×3, first 2 shown]
	v_mov_b32_e32 v123, 0
	;;#ASMSTART
	v_dot2_f32_f16 v114, v124, v8, v114
	;;#ASMEND
	;;#ASMSTART
	v_dot2_f32_f16 v123, v125, v133, v123
	;;#ASMEND
	;; [unrolled: 3-line block ×4, first 2 shown]
	v_mov_b32_e32 v122, 0
	;;#ASMSTART
	v_dot2_f32_f16 v123, v128, v136, v123
	;;#ASMEND
	;;#ASMSTART
	v_dot2_f32_f16 v122, v125, v13, v122
	;;#ASMEND
	;; [unrolled: 3-line block ×12, first 2 shown]
	v_mov_b32_e32 v125, 0
	;;#ASMSTART
	v_dot2_f32_f16 v116, v128, v8, v116
	;;#ASMEND
	;;#ASMSTART
	v_dot2_f32_f16 v125, v129, v133, v125
	;;#ASMEND
	;;#ASMSTART
	v_dot2_f32_f16 v125, v130, v134, v125
	;;#ASMEND
	;;#ASMSTART
	v_dot2_f32_f16 v125, v131, v135, v125
	;;#ASMEND
	v_mov_b32_e32 v124, 0
	;;#ASMSTART
	v_dot2_f32_f16 v125, v132, v136, v125
	;;#ASMEND
	;;#ASMSTART
	v_dot2_f32_f16 v124, v129, v13, v124
	;;#ASMEND
	;;#ASMSTART
	v_dot2_f32_f16 v124, v130, v14, v124
	;;#ASMEND
	;;#ASMSTART
	v_dot2_f32_f16 v124, v131, v15, v124
	;;#ASMEND
	;; [unrolled: 13-line block ×3, first 2 shown]
	;;#ASMSTART
	v_dot2_f32_f16 v121, v132, v12, v121
	;;#ASMEND
	;;#ASMSTART
	v_dot2_f32_f16 v118, v129, v5, v118
	;;#ASMEND
	;;#ASMSTART
	v_dot2_f32_f16 v118, v130, v6, v118
	;;#ASMEND
	;;#ASMSTART
	v_dot2_f32_f16 v118, v131, v7, v118
	;;#ASMEND
	v_mov_b32_e32 v127, 0
	;;#ASMSTART
	v_dot2_f32_f16 v118, v132, v8, v118
	;;#ASMEND
	;;#ASMSTART
	v_dot2_f32_f16 v127, v1, v133, v127
	;;#ASMEND
	;;#ASMSTART
	v_dot2_f32_f16 v127, v2, v134, v127
	;;#ASMEND
	;;#ASMSTART
	v_dot2_f32_f16 v127, v3, v135, v127
	;;#ASMEND
	v_mov_b32_e32 v126, 0
	;; [unrolled: 13-line block ×4, first 2 shown]
	;;#ASMSTART
	v_dot2_f32_f16 v13, v4, v12, v13
	;;#ASMEND
	;;#ASMSTART
	v_dot2_f32_f16 v9, v1, v5, v9
	;;#ASMEND
	;; [unrolled: 3-line block ×5, first 2 shown]
	ds_read_b128 v[1:4], v77 offset:16
	ds_read_b128 v[5:8], v77 offset:4624
	;; [unrolled: 1-line block ×8, first 2 shown]
	s_waitcnt lgkmcnt(3)
	;;#ASMSTART
	v_dot2_f32_f16 v120, v1, v136, v120
	;;#ASMEND
	;;#ASMSTART
	v_dot2_f32_f16 v120, v2, v137, v120
	;;#ASMEND
	;;#ASMSTART
	v_dot2_f32_f16 v120, v3, v138, v120
	;;#ASMEND
	;;#ASMSTART
	v_dot2_f32_f16 v120, v4, v139, v120
	;;#ASMEND
	s_waitcnt lgkmcnt(2)
	;;#ASMSTART
	v_dot2_f32_f16 v119, v1, v140, v119
	;;#ASMEND
	;;#ASMSTART
	v_dot2_f32_f16 v119, v2, v141, v119
	;;#ASMEND
	;;#ASMSTART
	v_dot2_f32_f16 v119, v3, v142, v119
	;;#ASMEND
	;;#ASMSTART
	v_dot2_f32_f16 v119, v4, v143, v119
	;;#ASMEND
	;; [unrolled: 13-line block ×4, first 2 shown]
	;;#ASMSTART
	v_dot2_f32_f16 v123, v5, v136, v123
	;;#ASMEND
	;;#ASMSTART
	v_dot2_f32_f16 v123, v6, v137, v123
	;;#ASMEND
	;; [unrolled: 3-line block ×48, first 2 shown]
	ds_read_b128 v[1:4], v77 offset:32
	ds_read_b128 v[5:8], v77 offset:4640
	;; [unrolled: 1-line block ×8, first 2 shown]
	s_waitcnt lgkmcnt(3)
	;;#ASMSTART
	v_dot2_f32_f16 v120, v1, v136, v120
	;;#ASMEND
	;;#ASMSTART
	v_dot2_f32_f16 v120, v2, v137, v120
	;;#ASMEND
	;;#ASMSTART
	v_dot2_f32_f16 v120, v3, v138, v120
	;;#ASMEND
	;;#ASMSTART
	v_dot2_f32_f16 v120, v4, v139, v120
	;;#ASMEND
	s_waitcnt lgkmcnt(2)
	;;#ASMSTART
	v_dot2_f32_f16 v119, v1, v140, v119
	;;#ASMEND
	;;#ASMSTART
	v_dot2_f32_f16 v119, v2, v141, v119
	;;#ASMEND
	;;#ASMSTART
	v_dot2_f32_f16 v119, v3, v142, v119
	;;#ASMEND
	;;#ASMSTART
	v_dot2_f32_f16 v119, v4, v143, v119
	;;#ASMEND
	;; [unrolled: 13-line block ×4, first 2 shown]
	;;#ASMSTART
	v_dot2_f32_f16 v123, v5, v136, v123
	;;#ASMEND
	;;#ASMSTART
	v_dot2_f32_f16 v123, v6, v137, v123
	;;#ASMEND
	;;#ASMSTART
	v_dot2_f32_f16 v123, v7, v138, v123
	;;#ASMEND
	;;#ASMSTART
	v_dot2_f32_f16 v123, v8, v139, v123
	;;#ASMEND
	;;#ASMSTART
	v_dot2_f32_f16 v122, v5, v140, v122
	;;#ASMEND
	;;#ASMSTART
	v_dot2_f32_f16 v122, v6, v141, v122
	;;#ASMEND
	;;#ASMSTART
	v_dot2_f32_f16 v122, v7, v142, v122
	;;#ASMEND
	;;#ASMSTART
	v_dot2_f32_f16 v122, v8, v143, v122
	;;#ASMEND
	;;#ASMSTART
	v_dot2_f32_f16 v117, v5, v144, v117
	;;#ASMEND
	;;#ASMSTART
	v_dot2_f32_f16 v117, v6, v145, v117
	;;#ASMEND
	;;#ASMSTART
	v_dot2_f32_f16 v117, v7, v146, v117
	;;#ASMEND
	;;#ASMSTART
	v_dot2_f32_f16 v117, v8, v147, v117
	;;#ASMEND
	;;#ASMSTART
	v_dot2_f32_f16 v116, v5, v148, v116
	;;#ASMEND
	;;#ASMSTART
	v_dot2_f32_f16 v116, v6, v149, v116
	;;#ASMEND
	;;#ASMSTART
	v_dot2_f32_f16 v116, v7, v150, v116
	;;#ASMEND
	;;#ASMSTART
	v_dot2_f32_f16 v116, v8, v151, v116
	;;#ASMEND
	;;#ASMSTART
	v_dot2_f32_f16 v125, v128, v136, v125
	;;#ASMEND
	;;#ASMSTART
	v_dot2_f32_f16 v125, v129, v137, v125
	;;#ASMEND
	;;#ASMSTART
	v_dot2_f32_f16 v125, v130, v138, v125
	;;#ASMEND
	;;#ASMSTART
	v_dot2_f32_f16 v125, v131, v139, v125
	;;#ASMEND
	;;#ASMSTART
	v_dot2_f32_f16 v124, v128, v140, v124
	;;#ASMEND
	;;#ASMSTART
	v_dot2_f32_f16 v124, v129, v141, v124
	;;#ASMEND
	;;#ASMSTART
	v_dot2_f32_f16 v124, v130, v142, v124
	;;#ASMEND
	;;#ASMSTART
	v_dot2_f32_f16 v124, v131, v143, v124
	;;#ASMEND
	;;#ASMSTART
	v_dot2_f32_f16 v121, v128, v144, v121
	;;#ASMEND
	;;#ASMSTART
	v_dot2_f32_f16 v121, v129, v145, v121
	;;#ASMEND
	;;#ASMSTART
	v_dot2_f32_f16 v121, v130, v146, v121
	;;#ASMEND
	;;#ASMSTART
	v_dot2_f32_f16 v121, v131, v147, v121
	;;#ASMEND
	;;#ASMSTART
	v_dot2_f32_f16 v118, v128, v148, v118
	;;#ASMEND
	;;#ASMSTART
	v_dot2_f32_f16 v118, v129, v149, v118
	;;#ASMEND
	;;#ASMSTART
	v_dot2_f32_f16 v118, v130, v150, v118
	;;#ASMEND
	;;#ASMSTART
	v_dot2_f32_f16 v118, v131, v151, v118
	;;#ASMEND
	;;#ASMSTART
	v_dot2_f32_f16 v127, v132, v136, v127
	;;#ASMEND
	;;#ASMSTART
	v_dot2_f32_f16 v127, v133, v137, v127
	;;#ASMEND
	;;#ASMSTART
	v_dot2_f32_f16 v127, v134, v138, v127
	;;#ASMEND
	;;#ASMSTART
	v_dot2_f32_f16 v127, v135, v139, v127
	;;#ASMEND
	;;#ASMSTART
	v_dot2_f32_f16 v126, v132, v140, v126
	;;#ASMEND
	;;#ASMSTART
	v_dot2_f32_f16 v126, v133, v141, v126
	;;#ASMEND
	;;#ASMSTART
	v_dot2_f32_f16 v126, v134, v142, v126
	;;#ASMEND
	;;#ASMSTART
	v_dot2_f32_f16 v126, v135, v143, v126
	;;#ASMEND
	;;#ASMSTART
	v_dot2_f32_f16 v13, v132, v144, v13
	;;#ASMEND
	;;#ASMSTART
	v_dot2_f32_f16 v13, v133, v145, v13
	;;#ASMEND
	;;#ASMSTART
	v_dot2_f32_f16 v13, v134, v146, v13
	;;#ASMEND
	;;#ASMSTART
	v_dot2_f32_f16 v13, v135, v147, v13
	;;#ASMEND
	;;#ASMSTART
	v_dot2_f32_f16 v9, v132, v148, v9
	;;#ASMEND
	;;#ASMSTART
	v_dot2_f32_f16 v9, v133, v149, v9
	;;#ASMEND
	;;#ASMSTART
	v_dot2_f32_f16 v9, v134, v150, v9
	;;#ASMEND
	;;#ASMSTART
	v_dot2_f32_f16 v9, v135, v151, v9
	;;#ASMEND
	ds_read_b128 v[1:4], v77 offset:48
	ds_read_b128 v[5:8], v77 offset:4656
	;; [unrolled: 1-line block ×8, first 2 shown]
	s_waitcnt lgkmcnt(3)
	;;#ASMSTART
	v_dot2_f32_f16 v120, v1, v136, v120
	;;#ASMEND
	;;#ASMSTART
	v_dot2_f32_f16 v120, v2, v137, v120
	;;#ASMEND
	;;#ASMSTART
	v_dot2_f32_f16 v120, v3, v138, v120
	;;#ASMEND
	;;#ASMSTART
	v_dot2_f32_f16 v120, v4, v139, v120
	;;#ASMEND
	s_waitcnt lgkmcnt(2)
	;;#ASMSTART
	v_dot2_f32_f16 v119, v1, v140, v119
	;;#ASMEND
	;;#ASMSTART
	v_dot2_f32_f16 v119, v2, v141, v119
	;;#ASMEND
	;;#ASMSTART
	v_dot2_f32_f16 v119, v3, v142, v119
	;;#ASMEND
	;;#ASMSTART
	v_dot2_f32_f16 v119, v4, v143, v119
	;;#ASMEND
	;; [unrolled: 13-line block ×4, first 2 shown]
	;;#ASMSTART
	v_dot2_f32_f16 v123, v5, v136, v123
	;;#ASMEND
	;;#ASMSTART
	v_dot2_f32_f16 v123, v6, v137, v123
	;;#ASMEND
	;; [unrolled: 3-line block ×48, first 2 shown]
	ds_read_b128 v[1:4], v77 offset:64
	ds_read_b128 v[5:8], v77 offset:4672
	;; [unrolled: 1-line block ×8, first 2 shown]
	s_waitcnt lgkmcnt(3)
	;;#ASMSTART
	v_dot2_f32_f16 v120, v1, v136, v120
	;;#ASMEND
	;;#ASMSTART
	v_dot2_f32_f16 v120, v2, v137, v120
	;;#ASMEND
	;;#ASMSTART
	v_dot2_f32_f16 v120, v3, v138, v120
	;;#ASMEND
	;;#ASMSTART
	v_dot2_f32_f16 v120, v4, v139, v120
	;;#ASMEND
	s_waitcnt lgkmcnt(2)
	;;#ASMSTART
	v_dot2_f32_f16 v119, v1, v140, v119
	;;#ASMEND
	;;#ASMSTART
	v_dot2_f32_f16 v119, v2, v141, v119
	;;#ASMEND
	;;#ASMSTART
	v_dot2_f32_f16 v119, v3, v142, v119
	;;#ASMEND
	;;#ASMSTART
	v_dot2_f32_f16 v119, v4, v143, v119
	;;#ASMEND
	;; [unrolled: 13-line block ×4, first 2 shown]
	;;#ASMSTART
	v_dot2_f32_f16 v123, v5, v136, v123
	;;#ASMEND
	;;#ASMSTART
	v_dot2_f32_f16 v123, v6, v137, v123
	;;#ASMEND
	;; [unrolled: 3-line block ×48, first 2 shown]
	ds_read_b128 v[1:4], v77 offset:80
	ds_read_b128 v[5:8], v77 offset:4688
	;; [unrolled: 1-line block ×8, first 2 shown]
	s_waitcnt lgkmcnt(3)
	;;#ASMSTART
	v_dot2_f32_f16 v120, v1, v136, v120
	;;#ASMEND
	;;#ASMSTART
	v_dot2_f32_f16 v120, v2, v137, v120
	;;#ASMEND
	;;#ASMSTART
	v_dot2_f32_f16 v120, v3, v138, v120
	;;#ASMEND
	;;#ASMSTART
	v_dot2_f32_f16 v120, v4, v139, v120
	;;#ASMEND
	s_waitcnt lgkmcnt(2)
	;;#ASMSTART
	v_dot2_f32_f16 v119, v1, v140, v119
	;;#ASMEND
	;;#ASMSTART
	v_dot2_f32_f16 v119, v2, v141, v119
	;;#ASMEND
	;;#ASMSTART
	v_dot2_f32_f16 v119, v3, v142, v119
	;;#ASMEND
	;;#ASMSTART
	v_dot2_f32_f16 v119, v4, v143, v119
	;;#ASMEND
	;; [unrolled: 13-line block ×4, first 2 shown]
	;;#ASMSTART
	v_dot2_f32_f16 v123, v5, v136, v123
	;;#ASMEND
	;;#ASMSTART
	v_dot2_f32_f16 v123, v6, v137, v123
	;;#ASMEND
	;;#ASMSTART
	v_dot2_f32_f16 v123, v7, v138, v123
	;;#ASMEND
	;;#ASMSTART
	v_dot2_f32_f16 v123, v8, v139, v123
	;;#ASMEND
	;;#ASMSTART
	v_dot2_f32_f16 v122, v5, v140, v122
	;;#ASMEND
	;;#ASMSTART
	v_dot2_f32_f16 v122, v6, v141, v122
	;;#ASMEND
	;;#ASMSTART
	v_dot2_f32_f16 v122, v7, v142, v122
	;;#ASMEND
	;;#ASMSTART
	v_dot2_f32_f16 v122, v8, v143, v122
	;;#ASMEND
	;;#ASMSTART
	v_dot2_f32_f16 v117, v5, v144, v117
	;;#ASMEND
	;;#ASMSTART
	v_dot2_f32_f16 v117, v6, v145, v117
	;;#ASMEND
	;;#ASMSTART
	v_dot2_f32_f16 v117, v7, v146, v117
	;;#ASMEND
	;;#ASMSTART
	v_dot2_f32_f16 v117, v8, v147, v117
	;;#ASMEND
	;;#ASMSTART
	v_dot2_f32_f16 v116, v5, v148, v116
	;;#ASMEND
	;;#ASMSTART
	v_dot2_f32_f16 v116, v6, v149, v116
	;;#ASMEND
	;;#ASMSTART
	v_dot2_f32_f16 v116, v7, v150, v116
	;;#ASMEND
	;;#ASMSTART
	v_dot2_f32_f16 v116, v8, v151, v116
	;;#ASMEND
	;;#ASMSTART
	v_dot2_f32_f16 v125, v128, v136, v125
	;;#ASMEND
	;;#ASMSTART
	v_dot2_f32_f16 v125, v129, v137, v125
	;;#ASMEND
	;;#ASMSTART
	v_dot2_f32_f16 v125, v130, v138, v125
	;;#ASMEND
	;;#ASMSTART
	v_dot2_f32_f16 v125, v131, v139, v125
	;;#ASMEND
	;;#ASMSTART
	v_dot2_f32_f16 v124, v128, v140, v124
	;;#ASMEND
	;;#ASMSTART
	v_dot2_f32_f16 v124, v129, v141, v124
	;;#ASMEND
	;;#ASMSTART
	v_dot2_f32_f16 v124, v130, v142, v124
	;;#ASMEND
	;;#ASMSTART
	v_dot2_f32_f16 v124, v131, v143, v124
	;;#ASMEND
	;;#ASMSTART
	v_dot2_f32_f16 v121, v128, v144, v121
	;;#ASMEND
	;;#ASMSTART
	v_dot2_f32_f16 v121, v129, v145, v121
	;;#ASMEND
	;;#ASMSTART
	v_dot2_f32_f16 v121, v130, v146, v121
	;;#ASMEND
	;;#ASMSTART
	v_dot2_f32_f16 v121, v131, v147, v121
	;;#ASMEND
	;;#ASMSTART
	v_dot2_f32_f16 v118, v128, v148, v118
	;;#ASMEND
	;;#ASMSTART
	v_dot2_f32_f16 v118, v129, v149, v118
	;;#ASMEND
	;;#ASMSTART
	v_dot2_f32_f16 v118, v130, v150, v118
	;;#ASMEND
	;;#ASMSTART
	v_dot2_f32_f16 v118, v131, v151, v118
	;;#ASMEND
	;;#ASMSTART
	v_dot2_f32_f16 v127, v132, v136, v127
	;;#ASMEND
	;;#ASMSTART
	v_dot2_f32_f16 v127, v133, v137, v127
	;;#ASMEND
	;;#ASMSTART
	v_dot2_f32_f16 v127, v134, v138, v127
	;;#ASMEND
	;;#ASMSTART
	v_dot2_f32_f16 v127, v135, v139, v127
	;;#ASMEND
	;;#ASMSTART
	v_dot2_f32_f16 v126, v132, v140, v126
	;;#ASMEND
	;;#ASMSTART
	v_dot2_f32_f16 v126, v133, v141, v126
	;;#ASMEND
	;;#ASMSTART
	v_dot2_f32_f16 v126, v134, v142, v126
	;;#ASMEND
	;;#ASMSTART
	v_dot2_f32_f16 v126, v135, v143, v126
	;;#ASMEND
	;;#ASMSTART
	v_dot2_f32_f16 v13, v132, v144, v13
	;;#ASMEND
	;;#ASMSTART
	v_dot2_f32_f16 v13, v133, v145, v13
	;;#ASMEND
	;;#ASMSTART
	v_dot2_f32_f16 v13, v134, v146, v13
	;;#ASMEND
	;;#ASMSTART
	v_dot2_f32_f16 v13, v135, v147, v13
	;;#ASMEND
	;;#ASMSTART
	v_dot2_f32_f16 v9, v132, v148, v9
	;;#ASMEND
	;;#ASMSTART
	v_dot2_f32_f16 v9, v133, v149, v9
	;;#ASMEND
	;;#ASMSTART
	v_dot2_f32_f16 v9, v134, v150, v9
	;;#ASMEND
	;;#ASMSTART
	v_dot2_f32_f16 v9, v135, v151, v9
	;;#ASMEND
	ds_read_b128 v[1:4], v77 offset:96
	ds_read_b128 v[5:8], v77 offset:4704
	;; [unrolled: 1-line block ×8, first 2 shown]
	s_waitcnt lgkmcnt(3)
	;;#ASMSTART
	v_dot2_f32_f16 v120, v1, v136, v120
	;;#ASMEND
	;;#ASMSTART
	v_dot2_f32_f16 v120, v2, v137, v120
	;;#ASMEND
	;;#ASMSTART
	v_dot2_f32_f16 v120, v3, v138, v120
	;;#ASMEND
	;;#ASMSTART
	v_dot2_f32_f16 v120, v4, v139, v120
	;;#ASMEND
	s_waitcnt lgkmcnt(2)
	;;#ASMSTART
	v_dot2_f32_f16 v119, v1, v140, v119
	;;#ASMEND
	;;#ASMSTART
	v_dot2_f32_f16 v119, v2, v141, v119
	;;#ASMEND
	;;#ASMSTART
	v_dot2_f32_f16 v119, v3, v142, v119
	;;#ASMEND
	;;#ASMSTART
	v_dot2_f32_f16 v119, v4, v143, v119
	;;#ASMEND
	;; [unrolled: 13-line block ×4, first 2 shown]
	;;#ASMSTART
	v_dot2_f32_f16 v123, v5, v136, v123
	;;#ASMEND
	;;#ASMSTART
	v_dot2_f32_f16 v123, v6, v137, v123
	;;#ASMEND
	;; [unrolled: 3-line block ×48, first 2 shown]
	ds_read_b128 v[1:4], v77 offset:112
	ds_read_b128 v[5:8], v77 offset:4720
	;; [unrolled: 1-line block ×8, first 2 shown]
	s_waitcnt lgkmcnt(3)
	;;#ASMSTART
	v_dot2_f32_f16 v120, v1, v136, v120
	;;#ASMEND
	;;#ASMSTART
	v_dot2_f32_f16 v120, v2, v137, v120
	;;#ASMEND
	;;#ASMSTART
	v_dot2_f32_f16 v120, v3, v138, v120
	;;#ASMEND
	;;#ASMSTART
	v_dot2_f32_f16 v120, v4, v139, v120
	;;#ASMEND
	s_waitcnt lgkmcnt(2)
	;;#ASMSTART
	v_dot2_f32_f16 v119, v1, v140, v119
	;;#ASMEND
	;;#ASMSTART
	v_dot2_f32_f16 v119, v2, v141, v119
	;;#ASMEND
	;;#ASMSTART
	v_dot2_f32_f16 v119, v3, v142, v119
	;;#ASMEND
	;;#ASMSTART
	v_dot2_f32_f16 v119, v4, v143, v119
	;;#ASMEND
	s_waitcnt lgkmcnt(1)
	;;#ASMSTART
	v_dot2_f32_f16 v115, v1, v144, v115
	;;#ASMEND
	;;#ASMSTART
	v_dot2_f32_f16 v115, v2, v145, v115
	;;#ASMEND
	;;#ASMSTART
	v_dot2_f32_f16 v115, v3, v146, v115
	;;#ASMEND
	;;#ASMSTART
	v_dot2_f32_f16 v115, v4, v147, v115
	;;#ASMEND
	s_waitcnt lgkmcnt(0)
	;;#ASMSTART
	v_dot2_f32_f16 v114, v1, v148, v114
	;;#ASMEND
	;;#ASMSTART
	v_dot2_f32_f16 v114, v2, v149, v114
	;;#ASMEND
	;;#ASMSTART
	v_dot2_f32_f16 v114, v3, v150, v114
	;;#ASMEND
	;;#ASMSTART
	v_dot2_f32_f16 v114, v4, v151, v114
	;;#ASMEND
	;;#ASMSTART
	v_dot2_f32_f16 v123, v5, v136, v123
	;;#ASMEND
	;;#ASMSTART
	v_dot2_f32_f16 v123, v6, v137, v123
	;;#ASMEND
	;; [unrolled: 3-line block ×6, first 2 shown]
	v_cndmask_b32_e32 v1, v59, v67, vcc_lo
	v_cmp_gt_i32_e32 vcc_lo, 32, v65
	;;#ASMSTART
	v_dot2_f32_f16 v122, v7, v142, v122
	;;#ASMEND
	;;#ASMSTART
	v_dot2_f32_f16 v122, v8, v143, v122
	;;#ASMEND
	;; [unrolled: 3-line block ×7, first 2 shown]
	v_lshlrev_b32_e32 v5, 2, v1
	v_cndmask_b32_e32 v1, v59, v65, vcc_lo
	v_cmp_gt_i32_e32 vcc_lo, 32, v64
	;;#ASMSTART
	v_dot2_f32_f16 v116, v6, v149, v116
	;;#ASMEND
	;;#ASMSTART
	v_dot2_f32_f16 v116, v7, v150, v116
	;;#ASMEND
	;; [unrolled: 3-line block ×3, first 2 shown]
	v_lshlrev_b32_e32 v6, 2, v1
	v_cndmask_b32_e32 v1, v59, v64, vcc_lo
	v_cmp_gt_i32_e32 vcc_lo, 32, v63
	;;#ASMSTART
	v_dot2_f32_f16 v125, v128, v136, v125
	;;#ASMEND
	;;#ASMSTART
	v_dot2_f32_f16 v125, v129, v137, v125
	;;#ASMEND
	;;#ASMSTART
	v_dot2_f32_f16 v125, v130, v138, v125
	;;#ASMEND
	;;#ASMSTART
	v_dot2_f32_f16 v125, v131, v139, v125
	;;#ASMEND
	;;#ASMSTART
	v_dot2_f32_f16 v124, v128, v140, v124
	;;#ASMEND
	;;#ASMSTART
	v_dot2_f32_f16 v124, v129, v141, v124
	;;#ASMEND
	v_lshlrev_b32_e32 v7, 2, v1
	v_cndmask_b32_e32 v1, v59, v63, vcc_lo
	v_cmp_gt_i32_e32 vcc_lo, 32, v61
	;;#ASMSTART
	v_dot2_f32_f16 v124, v130, v142, v124
	;;#ASMEND
	;;#ASMSTART
	v_dot2_f32_f16 v124, v131, v143, v124
	;;#ASMEND
	;; [unrolled: 3-line block ×7, first 2 shown]
	v_add_nc_u32_e32 v3, s6, v0
	v_lshlrev_b32_e32 v128, 2, v1
	v_cndmask_b32_e32 v1, v59, v61, vcc_lo
	;;#ASMSTART
	v_dot2_f32_f16 v118, v129, v149, v118
	;;#ASMEND
	;;#ASMSTART
	v_dot2_f32_f16 v118, v130, v150, v118
	;;#ASMEND
	;; [unrolled: 3-line block ×4, first 2 shown]
	v_lshlrev_b32_e32 v129, 2, v1
	v_add_nc_u32_e32 v1, v3, v78
	;;#ASMSTART
	v_dot2_f32_f16 v127, v133, v137, v127
	;;#ASMEND
	;;#ASMSTART
	v_dot2_f32_f16 v127, v134, v138, v127
	;;#ASMEND
	;;#ASMSTART
	v_dot2_f32_f16 v127, v135, v139, v127
	;;#ASMEND
	;;#ASMSTART
	v_dot2_f32_f16 v126, v132, v140, v126
	;;#ASMEND
	v_ashrrev_i32_e32 v2, 31, v1
	;;#ASMSTART
	v_dot2_f32_f16 v126, v133, v141, v126
	;;#ASMEND
	;;#ASMSTART
	v_dot2_f32_f16 v126, v134, v142, v126
	;;#ASMEND
	;; [unrolled: 3-line block ×4, first 2 shown]
	v_lshlrev_b64 v[1:2], 1, v[1:2]
	;;#ASMSTART
	v_dot2_f32_f16 v13, v133, v145, v13
	;;#ASMEND
	;;#ASMSTART
	v_dot2_f32_f16 v13, v134, v146, v13
	;;#ASMEND
	;; [unrolled: 3-line block ×5, first 2 shown]
	v_add_co_u32 v1, vcc_lo, s36, v1
	v_add_co_ci_u32_e64 v2, null, s37, v2, vcc_lo
	;;#ASMSTART
	v_dot2_f32_f16 v9, v134, v150, v9
	;;#ASMEND
	;;#ASMSTART
	v_dot2_f32_f16 v9, v135, v151, v9
	;;#ASMEND
	v_add_nc_u32_e32 v3, v3, v80
	s_clause 0x1
	global_load_ushort v4, v[1:2], off
	global_load_ushort v10, v[1:2], off offset:64
	s_waitcnt vmcnt(1)
	v_cvt_f32_f16_e32 v4, v4
	s_waitcnt vmcnt(0)
	v_cvt_f32_f16_e32 v10, v10
	v_add_f32_e32 v130, v120, v4
	v_add_f32_e32 v131, v123, v10
	v_add_f32_e32 v123, v119, v4
	v_add_f32_e32 v15, v122, v10
	v_add_f32_e32 v8, 0x40051340, v130
	v_add_f32_e32 v11, 0x40051340, v131
	v_add_f32_e32 v4, 0x40051340, v123
	v_max3_f32 v8, v110, v8, v11
	s_clause 0x1
	global_load_ushort v11, v[1:2], off offset:128
	global_load_ushort v1, v[1:2], off offset:192
	s_waitcnt vmcnt(1)
	v_cvt_f32_f16_e32 v11, v11
	s_waitcnt vmcnt(0)
	v_cvt_f32_f16_e32 v2, v1
	v_add_f32_e32 v125, v125, v11
	v_add_f32_e32 v127, v127, v2
	v_add_f32_e32 v120, v124, v11
	v_add_f32_e32 v12, 0x40051340, v125
	v_add_f32_e32 v1, 0x40051340, v127
	v_max3_f32 v1, v8, v12, v1
	v_add_f32_e32 v12, v126, v2
	ds_bpermute_b32 v8, v5, v1
	v_add_f32_e32 v2, 0x40051340, v12
	s_waitcnt lgkmcnt(0)
	v_max_f32_e32 v8, v8, v8
	v_max_f32_e32 v1, v1, v8
	ds_bpermute_b32 v8, v6, v1
	s_waitcnt lgkmcnt(0)
	v_max_f32_e32 v8, v8, v8
	v_max_f32_e32 v1, v1, v8
	ds_bpermute_b32 v8, v7, v1
	;; [unrolled: 4-line block ×4, first 2 shown]
	s_waitcnt lgkmcnt(0)
	v_max_f32_e32 v8, v8, v8
	v_max_f32_e32 v1, v1, v8
	v_add_f32_e32 v8, 0x40051340, v15
	v_max3_f32 v4, v111, v4, v8
	v_add_f32_e32 v8, 0x40051340, v120
	v_max3_f32 v2, v4, v8, v2
	ds_bpermute_b32 v4, v5, v2
	s_waitcnt lgkmcnt(0)
	v_max_f32_e32 v4, v4, v4
	v_max_f32_e32 v2, v2, v4
	ds_bpermute_b32 v4, v6, v2
	s_waitcnt lgkmcnt(0)
	v_max_f32_e32 v4, v4, v4
	v_max_f32_e32 v2, v2, v4
	ds_bpermute_b32 v4, v7, v2
	s_waitcnt lgkmcnt(0)
	v_max_f32_e32 v4, v4, v4
	v_max_f32_e32 v2, v2, v4
	ds_bpermute_b32 v4, v128, v2
	s_waitcnt lgkmcnt(0)
	v_max_f32_e32 v4, v4, v4
	v_max_f32_e32 v2, v2, v4
	ds_bpermute_b32 v4, v129, v2
	s_waitcnt lgkmcnt(0)
	v_max_f32_e32 v4, v4, v4
	v_max_f32_e32 v2, v2, v4
	v_ashrrev_i32_e32 v4, 31, v3
	v_sub_f32_e32 v15, v15, v2
	v_lshlrev_b64 v[3:4], 1, v[3:4]
	v_sub_f32_e32 v12, v12, v2
	v_add_co_u32 v3, vcc_lo, s36, v3
	v_add_co_ci_u32_e64 v4, null, s37, v4, vcc_lo
	s_clause 0x1
	global_load_ushort v8, v[3:4], off
	global_load_ushort v11, v[3:4], off offset:64
	s_waitcnt vmcnt(1)
	v_cvt_f32_f16_e32 v8, v8
	s_waitcnt vmcnt(0)
	v_cvt_f32_f16_e32 v11, v11
	v_add_f32_e32 v119, v115, v8
	v_add_f32_e32 v117, v117, v11
	;; [unrolled: 1-line block ×5, first 2 shown]
	v_max3_f32 v10, v52, v10, v14
	s_clause 0x1
	global_load_ushort v14, v[3:4], off offset:128
	global_load_ushort v3, v[3:4], off offset:192
	s_waitcnt vmcnt(0)
	s_barrier
	buffer_gl0_inv
	v_cvt_f32_f16_e32 v122, v14
	v_cvt_f32_f16_e32 v4, v3
	v_add_f32_e32 v16, v121, v122
	v_add_f32_e32 v115, v13, v4
	;; [unrolled: 1-line block ×4, first 2 shown]
	v_max3_f32 v3, v10, v14, v3
	v_add_f32_e32 v14, v114, v8
	ds_bpermute_b32 v10, v5, v3
	v_add_f32_e32 v8, 0x40051340, v14
	s_waitcnt lgkmcnt(0)
	v_max_f32_e32 v10, v10, v10
	v_max_f32_e32 v3, v3, v10
	ds_bpermute_b32 v10, v6, v3
	s_waitcnt lgkmcnt(0)
	v_max_f32_e32 v10, v10, v10
	v_max_f32_e32 v3, v3, v10
	ds_bpermute_b32 v10, v7, v3
	s_waitcnt lgkmcnt(0)
	v_max_f32_e32 v10, v10, v10
	v_max_f32_e32 v3, v3, v10
	ds_bpermute_b32 v10, v128, v3
	s_waitcnt lgkmcnt(0)
	v_max_f32_e32 v10, v10, v10
	v_max_f32_e32 v3, v3, v10
	ds_bpermute_b32 v10, v129, v3
	s_waitcnt lgkmcnt(0)
	v_max_f32_e32 v10, v10, v10
	v_max_f32_e32 v3, v3, v10
	v_add_f32_e32 v10, 0x40051340, v11
	v_sub_f32_e32 v16, v16, v3
	v_max3_f32 v13, v50, v8, v10
	v_add_f32_e32 v10, v118, v122
	v_add_f32_e32 v8, v9, v4
	;; [unrolled: 1-line block ×4, first 2 shown]
	v_max3_f32 v4, v13, v114, v4
	v_sub_f32_e32 v13, v110, v1
	ds_bpermute_b32 v5, v5, v4
	s_waitcnt lgkmcnt(0)
	v_max_f32_e32 v5, v5, v5
	v_max_f32_e32 v4, v4, v5
	ds_bpermute_b32 v5, v6, v4
	s_waitcnt lgkmcnt(0)
	v_max_f32_e32 v5, v5, v5
	v_max_f32_e32 v4, v4, v5
	;; [unrolled: 4-line block ×5, first 2 shown]
	v_sub_f32_e32 v5, v130, v1
	v_sub_f32_e32 v14, v14, v4
	v_mul_f32_e32 v6, 0x3fb8aa3b, v5
	v_cmp_ngt_f32_e32 vcc_lo, 0xc2ce8ed0, v5
	v_sub_f32_e32 v11, v11, v4
	v_sub_f32_e32 v10, v10, v4
	;; [unrolled: 1-line block ×3, first 2 shown]
	v_fma_f32 v7, 0x3fb8aa3b, v5, -v6
	v_rndne_f32_e32 v9, v6
	v_sub_f32_e32 v50, v50, v4
	v_fmac_f32_e32 v7, 0x32a5705f, v5
	v_sub_f32_e32 v6, v6, v9
	v_add_f32_e32 v6, v6, v7
	v_cvt_i32_f32_e32 v7, v9
	v_exp_f32_e32 v6, v6
	v_ldexp_f32 v6, v6, v7
	v_cndmask_b32_e32 v6, 0, v6, vcc_lo
	v_cmp_nlt_f32_e32 vcc_lo, 0x42b17218, v5
	v_cndmask_b32_e32 v5, 0x7f800000, v6, vcc_lo
	v_sub_f32_e32 v6, v131, v1
	v_cvt_f16_f32_e32 v9, v5
	v_mul_f32_e32 v7, 0x3fb8aa3b, v6
	v_cmp_ngt_f32_e32 vcc_lo, 0xc2ce8ed0, v6
	v_fma_f32 v110, 0x3fb8aa3b, v6, -v7
	v_rndne_f32_e32 v114, v7
	v_fmac_f32_e32 v110, 0x32a5705f, v6
	v_sub_f32_e32 v7, v7, v114
	v_add_f32_e32 v7, v7, v110
	v_cvt_i32_f32_e32 v110, v114
	v_exp_f32_e32 v7, v7
	v_ldexp_f32 v7, v7, v110
	v_cndmask_b32_e32 v7, 0, v7, vcc_lo
	v_cmp_nlt_f32_e32 vcc_lo, 0x42b17218, v6
	v_cndmask_b32_e32 v6, 0x7f800000, v7, vcc_lo
	v_add_f32_e32 v5, v5, v6
	v_cvt_f16_f32_e32 v7, v6
	v_sub_f32_e32 v6, v125, v1
	v_mul_f32_e32 v110, 0x3fb8aa3b, v6
	v_cmp_ngt_f32_e32 vcc_lo, 0xc2ce8ed0, v6
	v_fma_f32 v114, 0x3fb8aa3b, v6, -v110
	v_rndne_f32_e32 v116, v110
	v_fmac_f32_e32 v114, 0x32a5705f, v6
	v_sub_f32_e32 v110, v110, v116
	v_add_f32_e32 v110, v110, v114
	v_cvt_i32_f32_e32 v114, v116
	v_exp_f32_e32 v110, v110
	v_ldexp_f32 v110, v110, v114
	v_cndmask_b32_e32 v110, 0, v110, vcc_lo
	v_cmp_nlt_f32_e32 vcc_lo, 0x42b17218, v6
	v_cndmask_b32_e32 v6, 0x7f800000, v110, vcc_lo
	v_sub_f32_e32 v110, v127, v1
	v_add_f32_e32 v5, v6, v5
	v_mul_f32_e32 v114, 0x3fb8aa3b, v110
	v_cmp_ngt_f32_e32 vcc_lo, 0xc2ce8ed0, v110
	v_cvt_f16_f32_e32 v6, v6
	v_fma_f32 v116, 0x3fb8aa3b, v110, -v114
	v_rndne_f32_e32 v118, v114
	v_fmac_f32_e32 v116, 0x32a5705f, v110
	v_sub_f32_e32 v114, v114, v118
	v_add_f32_e32 v114, v114, v116
	v_cvt_i32_f32_e32 v116, v118
	v_exp_f32_e32 v114, v114
	v_ldexp_f32 v114, v114, v116
	v_cndmask_b32_e32 v114, 0, v114, vcc_lo
	v_cmp_nlt_f32_e32 vcc_lo, 0x42b17218, v110
	v_cndmask_b32_e32 v114, 0x7f800000, v114, vcc_lo
	v_cmp_ngt_f32_e32 vcc_lo, 0xc2ce8ed0, v13
	v_add_f32_e32 v110, v114, v5
	v_cvt_f16_f32_e32 v5, v114
	v_mul_f32_e32 v114, 0x3fb8aa3b, v13
	v_fma_f32 v116, 0x3fb8aa3b, v13, -v114
	v_rndne_f32_e32 v118, v114
	v_fmac_f32_e32 v116, 0x32a5705f, v13
	v_sub_f32_e32 v114, v114, v118
	v_add_f32_e32 v114, v114, v116
	v_cvt_i32_f32_e32 v116, v118
	v_exp_f32_e32 v114, v114
	v_ldexp_f32 v114, v114, v116
	v_cndmask_b32_e32 v114, 0, v114, vcc_lo
	v_cmp_nlt_f32_e32 vcc_lo, 0x42b17218, v13
	v_cndmask_b32_e32 v13, 0x7f800000, v114, vcc_lo
	v_sub_f32_e32 v114, v111, v2
	v_fmac_f32_e32 v110, v113, v13
	v_cvt_f16_f32_e32 v13, v13
	v_mul_u32_u24_sdwa v113, v13, v91 dst_sel:DWORD dst_unused:UNUSED_PAD src0_sel:WORD_0 src1_sel:DWORD
	v_sub_f32_e32 v13, v123, v2
	v_mul_f32_e32 v111, 0x3fb8aa3b, v13
	v_cmp_ngt_f32_e32 vcc_lo, 0xc2ce8ed0, v13
	v_fma_f32 v116, 0x3fb8aa3b, v13, -v111
	v_rndne_f32_e32 v118, v111
	v_fmac_f32_e32 v116, 0x32a5705f, v13
	v_sub_f32_e32 v111, v111, v118
	v_add_f32_e32 v111, v111, v116
	v_cvt_i32_f32_e32 v116, v118
	v_exp_f32_e32 v111, v111
	v_ldexp_f32 v111, v111, v116
	v_cndmask_b32_e32 v111, 0, v111, vcc_lo
	v_cmp_nlt_f32_e32 vcc_lo, 0x42b17218, v13
	v_cndmask_b32_e32 v13, 0x7f800000, v111, vcc_lo
	v_mul_f32_e32 v111, 0x3fb8aa3b, v15
	v_cmp_ngt_f32_e32 vcc_lo, 0xc2ce8ed0, v15
	v_cvt_f16_f32_e32 v118, v13
	v_fma_f32 v116, 0x3fb8aa3b, v15, -v111
	v_rndne_f32_e32 v121, v111
	v_pack_b32_f16 v9, v9, v118
	v_fmac_f32_e32 v116, 0x32a5705f, v15
	v_sub_f32_e32 v111, v111, v121
	v_add_f32_e32 v111, v111, v116
	v_cvt_i32_f32_e32 v116, v121
	v_exp_f32_e32 v111, v111
	v_ldexp_f32 v111, v111, v116
	v_cndmask_b32_e32 v111, 0, v111, vcc_lo
	v_cmp_nlt_f32_e32 vcc_lo, 0x42b17218, v15
	v_cndmask_b32_e32 v15, 0x7f800000, v111, vcc_lo
	v_sub_f32_e32 v111, v120, v2
	v_add_f32_e32 v13, v13, v15
	v_mul_f32_e32 v116, 0x3fb8aa3b, v111
	v_cmp_ngt_f32_e32 vcc_lo, 0xc2ce8ed0, v111
	v_cvt_f16_f32_e32 v15, v15
	v_fma_f32 v120, 0x3fb8aa3b, v111, -v116
	v_rndne_f32_e32 v121, v116
	v_pack_b32_f16 v7, v7, v15
	v_fmac_f32_e32 v120, 0x32a5705f, v111
	v_sub_f32_e32 v116, v116, v121
	v_add_f32_e32 v116, v116, v120
	v_cvt_i32_f32_e32 v120, v121
	v_exp_f32_e32 v116, v116
	v_ldexp_f32 v116, v116, v120
	v_cndmask_b32_e32 v116, 0, v116, vcc_lo
	v_cmp_nlt_f32_e32 vcc_lo, 0x42b17218, v111
	v_cndmask_b32_e32 v111, 0x7f800000, v116, vcc_lo
	v_cmp_ngt_f32_e32 vcc_lo, 0xc2ce8ed0, v12
	v_add_f32_e32 v116, v111, v13
	v_cvt_f16_f32_e32 v13, v111
	v_mul_f32_e32 v111, 0x3fb8aa3b, v12
	v_pack_b32_f16 v6, v6, v13
	v_fma_f32 v120, 0x3fb8aa3b, v12, -v111
	v_rndne_f32_e32 v121, v111
	v_fmac_f32_e32 v120, 0x32a5705f, v12
	v_sub_f32_e32 v111, v111, v121
	v_add_f32_e32 v111, v111, v120
	v_cvt_i32_f32_e32 v120, v121
	v_exp_f32_e32 v111, v111
	v_ldexp_f32 v111, v111, v120
	v_cndmask_b32_e32 v111, 0, v111, vcc_lo
	v_cmp_nlt_f32_e32 vcc_lo, 0x42b17218, v12
	v_cndmask_b32_e32 v12, 0x7f800000, v111, vcc_lo
	v_cmp_ngt_f32_e32 vcc_lo, 0xc2ce8ed0, v114
	v_add_f32_e32 v111, v12, v116
	v_mul_f32_e32 v116, 0x3fb8aa3b, v114
	v_cvt_f16_f32_e32 v12, v12
	v_fma_f32 v120, 0x3fb8aa3b, v114, -v116
	v_rndne_f32_e32 v121, v116
	v_fmac_f32_e32 v120, 0x32a5705f, v114
	v_sub_f32_e32 v116, v116, v121
	v_add_f32_e32 v116, v116, v120
	v_cvt_i32_f32_e32 v120, v121
	v_exp_f32_e32 v116, v116
	v_ldexp_f32 v116, v116, v120
	v_cndmask_b32_e32 v116, 0, v116, vcc_lo
	v_cmp_nlt_f32_e32 vcc_lo, 0x42b17218, v114
	v_cndmask_b32_e32 v114, 0x7f800000, v116, vcc_lo
	v_sub_f32_e32 v116, v52, v3
	v_sub_f32_e32 v52, v119, v3
	v_fmac_f32_e32 v111, v112, v114
	v_cvt_f16_f32_e32 v112, v114
	v_cmp_ngt_f32_e32 vcc_lo, 0xc2ce8ed0, v52
	v_mul_u32_u24_sdwa v114, v112, v91 dst_sel:DWORD dst_unused:UNUSED_PAD src0_sel:WORD_0 src1_sel:DWORD
	v_mul_f32_e32 v112, 0x3fb8aa3b, v52
	v_fma_f32 v119, 0x3fb8aa3b, v52, -v112
	v_rndne_f32_e32 v120, v112
	v_fmac_f32_e32 v119, 0x32a5705f, v52
	v_sub_f32_e32 v112, v112, v120
	v_add_f32_e32 v112, v112, v119
	v_cvt_i32_f32_e32 v119, v120
	v_exp_f32_e32 v112, v112
	v_ldexp_f32 v112, v112, v119
	v_cndmask_b32_e32 v112, 0, v112, vcc_lo
	v_cmp_nlt_f32_e32 vcc_lo, 0x42b17218, v52
	v_cndmask_b32_e32 v52, 0x7f800000, v112, vcc_lo
	v_sub_f32_e32 v112, v117, v3
	v_cvt_f16_f32_e32 v119, v52
	v_mul_f32_e32 v117, 0x3fb8aa3b, v112
	v_cmp_ngt_f32_e32 vcc_lo, 0xc2ce8ed0, v112
	v_fma_f32 v120, 0x3fb8aa3b, v112, -v117
	v_rndne_f32_e32 v121, v117
	v_fmac_f32_e32 v120, 0x32a5705f, v112
	v_sub_f32_e32 v117, v117, v121
	v_add_f32_e32 v117, v117, v120
	v_cvt_i32_f32_e32 v120, v121
	v_exp_f32_e32 v117, v117
	v_ldexp_f32 v117, v117, v120
	v_cndmask_b32_e32 v117, 0, v117, vcc_lo
	v_cmp_nlt_f32_e32 vcc_lo, 0x42b17218, v112
	v_cndmask_b32_e32 v112, 0x7f800000, v117, vcc_lo
	v_cmp_ngt_f32_e32 vcc_lo, 0xc2ce8ed0, v16
	v_add_f32_e32 v52, v52, v112
	v_cvt_f16_f32_e32 v117, v112
	v_mul_f32_e32 v112, 0x3fb8aa3b, v16
	v_fma_f32 v120, 0x3fb8aa3b, v16, -v112
	v_rndne_f32_e32 v121, v112
	v_fmac_f32_e32 v120, 0x32a5705f, v16
	v_sub_f32_e32 v112, v112, v121
	v_add_f32_e32 v112, v112, v120
	v_cvt_i32_f32_e32 v120, v121
	v_exp_f32_e32 v112, v112
	v_ldexp_f32 v112, v112, v120
	v_cndmask_b32_e32 v112, 0, v112, vcc_lo
	v_cmp_nlt_f32_e32 vcc_lo, 0x42b17218, v16
	v_cndmask_b32_e32 v16, 0x7f800000, v112, vcc_lo
	v_add_f32_e32 v112, v16, v52
	v_cvt_f16_f32_e32 v52, v16
	v_sub_f32_e32 v16, v115, v3
	v_mul_f32_e32 v115, 0x3fb8aa3b, v16
	v_cmp_ngt_f32_e32 vcc_lo, 0xc2ce8ed0, v16
	v_fma_f32 v120, 0x3fb8aa3b, v16, -v115
	v_rndne_f32_e32 v121, v115
	v_fmac_f32_e32 v120, 0x32a5705f, v16
	v_sub_f32_e32 v115, v115, v121
	v_add_f32_e32 v115, v115, v120
	v_cvt_i32_f32_e32 v120, v121
	v_exp_f32_e32 v115, v115
	v_ldexp_f32 v115, v115, v120
	v_cndmask_b32_e32 v115, 0, v115, vcc_lo
	v_cmp_nlt_f32_e32 vcc_lo, 0x42b17218, v16
	v_cndmask_b32_e32 v16, 0x7f800000, v115, vcc_lo
	v_mul_f32_e32 v115, 0x3fb8aa3b, v116
	v_cmp_ngt_f32_e32 vcc_lo, 0xc2ce8ed0, v116
	v_add_f32_e32 v112, v16, v112
	v_fma_f32 v120, 0x3fb8aa3b, v116, -v115
	v_rndne_f32_e32 v121, v115
	v_cvt_f16_f32_e32 v16, v16
	v_fmac_f32_e32 v120, 0x32a5705f, v116
	v_sub_f32_e32 v115, v115, v121
	v_add_f32_e32 v115, v115, v120
	v_cvt_i32_f32_e32 v120, v121
	v_exp_f32_e32 v115, v115
	v_ldexp_f32 v115, v115, v120
	v_cndmask_b32_e32 v115, 0, v115, vcc_lo
	v_cmp_nlt_f32_e32 vcc_lo, 0x42b17218, v116
	v_cndmask_b32_e32 v115, 0x7f800000, v115, vcc_lo
	v_cmp_ngt_f32_e32 vcc_lo, 0xc2ce8ed0, v14
	v_fmac_f32_e32 v112, v51, v115
	v_cvt_f16_f32_e32 v51, v115
	v_mul_u32_u24_sdwa v115, v51, v91 dst_sel:DWORD dst_unused:UNUSED_PAD src0_sel:WORD_0 src1_sel:DWORD
	v_mul_f32_e32 v51, 0x3fb8aa3b, v14
	v_fma_f32 v116, 0x3fb8aa3b, v14, -v51
	v_rndne_f32_e32 v120, v51
	v_fmac_f32_e32 v116, 0x32a5705f, v14
	v_sub_f32_e32 v51, v51, v120
	v_add_f32_e32 v51, v51, v116
	v_cvt_i32_f32_e32 v116, v120
	v_exp_f32_e32 v51, v51
	v_ldexp_f32 v51, v51, v116
	v_mul_f32_e32 v116, 0x3fb8aa3b, v11
	v_cndmask_b32_e32 v51, 0, v51, vcc_lo
	v_fma_f32 v120, 0x3fb8aa3b, v11, -v116
	v_rndne_f32_e32 v121, v116
	v_cmp_nlt_f32_e32 vcc_lo, 0x42b17218, v14
	v_fmac_f32_e32 v120, 0x32a5705f, v11
	v_sub_f32_e32 v116, v116, v121
	v_cndmask_b32_e32 v14, 0x7f800000, v51, vcc_lo
	v_cmp_ngt_f32_e32 vcc_lo, 0xc2ce8ed0, v11
	v_add_f32_e32 v116, v116, v120
	v_cvt_i32_f32_e32 v120, v121
	v_cvt_f16_f32_e32 v51, v14
	v_exp_f32_e32 v116, v116
	v_ldexp_f32 v116, v116, v120
	v_cndmask_b32_e32 v116, 0, v116, vcc_lo
	v_cmp_nlt_f32_e32 vcc_lo, 0x42b17218, v11
	v_cndmask_b32_e32 v11, 0x7f800000, v116, vcc_lo
	v_mul_f32_e32 v116, 0x3fb8aa3b, v10
	v_cmp_ngt_f32_e32 vcc_lo, 0xc2ce8ed0, v10
	v_add_f32_e32 v14, v14, v11
	v_fma_f32 v120, 0x3fb8aa3b, v10, -v116
	v_rndne_f32_e32 v121, v116
	v_cvt_f16_f32_e32 v11, v11
	v_fmac_f32_e32 v120, 0x32a5705f, v10
	v_sub_f32_e32 v116, v116, v121
	v_add_f32_e32 v116, v116, v120
	v_cvt_i32_f32_e32 v120, v121
	v_exp_f32_e32 v116, v116
	v_ldexp_f32 v116, v116, v120
	v_cndmask_b32_e32 v116, 0, v116, vcc_lo
	v_cmp_nlt_f32_e32 vcc_lo, 0x42b17218, v10
	v_cndmask_b32_e32 v10, 0x7f800000, v116, vcc_lo
	v_cmp_ngt_f32_e32 vcc_lo, 0xc2ce8ed0, v8
	v_add_f32_e32 v14, v10, v14
	v_cvt_f16_f32_e32 v120, v10
	v_mul_f32_e32 v10, 0x3fb8aa3b, v8
	v_fma_f32 v116, 0x3fb8aa3b, v8, -v10
	v_rndne_f32_e32 v121, v10
	v_fmac_f32_e32 v116, 0x32a5705f, v8
	v_sub_f32_e32 v10, v10, v121
	v_add_f32_e32 v10, v10, v116
	v_cvt_i32_f32_e32 v116, v121
	v_exp_f32_e32 v10, v10
	v_ldexp_f32 v10, v10, v116
	v_cndmask_b32_e32 v10, 0, v10, vcc_lo
	v_cmp_nlt_f32_e32 vcc_lo, 0x42b17218, v8
	v_cndmask_b32_e32 v8, 0x7f800000, v10, vcc_lo
	v_cmp_ngt_f32_e32 vcc_lo, 0xc2ce8ed0, v50
	v_add_f32_e32 v10, v8, v14
	v_cvt_f16_f32_e32 v14, v8
	v_mul_f32_e32 v8, 0x3fb8aa3b, v50
	v_fma_f32 v116, 0x3fb8aa3b, v50, -v8
	v_rndne_f32_e32 v121, v8
	v_fmac_f32_e32 v116, 0x32a5705f, v50
	v_sub_f32_e32 v8, v8, v121
	v_add_f32_e32 v8, v8, v116
	v_cvt_i32_f32_e32 v116, v121
	v_exp_f32_e32 v8, v8
	v_ldexp_f32 v8, v8, v116
	v_cndmask_b32_e32 v8, 0, v8, vcc_lo
	v_cmp_nlt_f32_e32 vcc_lo, 0x42b17218, v50
	v_mov_b32_e32 v50, v73
	v_mov_b32_e32 v73, v10
	v_pack_b32_f16 v10, v119, v51
	v_cndmask_b32_e32 v8, 0x7f800000, v8, vcc_lo
	v_fmac_f32_e32 v73, v50, v8
	v_cvt_f16_f32_e32 v8, v8
	v_mul_u32_u24_sdwa v8, v8, v91 dst_sel:DWORD dst_unused:UNUSED_PAD src0_sel:WORD_0 src1_sel:DWORD
	v_pk_mul_f16 v116, v49, v8
	v_pack_b32_f16 v8, v117, v11
	ds_write2_b64 v90, v[9:10], v[7:8] offset1:32
	v_pack_b32_f16 v7, v52, v120
	v_pack_b32_f16 v9, v16, v14
	;; [unrolled: 1-line block ×3, first 2 shown]
	v_add_co_u32 v5, vcc_lo, s15, v33
	ds_write2_b64 v90, v[6:7], v[8:9] offset0:64 offset1:96
	v_add_co_ci_u32_e64 v6, null, s18, v34, vcc_lo
	v_add_co_u32 v51, vcc_lo, v5, v89
	v_add_co_ci_u32_e64 v52, null, 0, v6, vcc_lo
	v_add_co_u32 v5, vcc_lo, s15, v35
	v_add_co_ci_u32_e64 v6, null, s18, v36, vcc_lo
	global_load_dwordx4 v[117:120], v[51:52], off
	v_add_co_u32 v49, vcc_lo, v5, v89
	v_add_co_ci_u32_e64 v50, null, 0, v6, vcc_lo
	v_add_co_u32 v5, vcc_lo, s15, v37
	v_add_co_ci_u32_e64 v6, null, s18, v38, vcc_lo
	global_load_dwordx4 v[49:52], v[49:50], off
	v_add_co_u32 v15, vcc_lo, v5, v89
	v_add_co_ci_u32_e64 v16, null, 0, v6, vcc_lo
	v_add_co_u32 v5, vcc_lo, s15, v39
	v_add_co_ci_u32_e64 v6, null, s18, v40, vcc_lo
	;; [unrolled: 2-line block ×11, first 2 shown]
	s_waitcnt vmcnt(1)
	ds_write_b128 v79, v[117:120]
	s_waitcnt vmcnt(0)
	ds_write_b128 v82, v[49:52]
	s_clause 0x1
	global_load_dwordx4 v[49:52], v[15:16], off
	global_load_dwordx4 v[13:16], v[13:14], off
	s_waitcnt vmcnt(1)
	ds_write_b128 v83, v[49:52]
	s_waitcnt vmcnt(0)
	ds_write_b128 v84, v[13:16]
	global_load_dwordx4 v[11:14], v[11:12], off
	s_waitcnt vmcnt(0)
	ds_write_b128 v85, v[11:14]
	global_load_dwordx4 v[9:12], v[9:10], off
	;; [unrolled: 3-line block ×4, first 2 shown]
	s_waitcnt vmcnt(0)
	ds_write_b128 v88, v[5:8]
	s_waitcnt lgkmcnt(0)
	s_barrier
	buffer_gl0_inv
	ds_read2_b32 v[117:118], v62 offset1:32
	ds_read_b128 v[5:8], v81
	ds_read_b128 v[9:12], v81 offset:16
	ds_read_b128 v[13:16], v81 offset:32
	;; [unrolled: 1-line block ×3, first 2 shown]
	s_waitcnt lgkmcnt(3)
	v_mul_u32_u24_sdwa v119, v5, v91 dst_sel:DWORD dst_unused:UNUSED_PAD src0_sel:WORD_0 src1_sel:DWORD
	v_mul_u32_u24_sdwa v5, v5, v91 dst_sel:DWORD dst_unused:UNUSED_PAD src0_sel:WORD_1 src1_sel:DWORD
	v_mul_u32_u24_sdwa v120, v6, v91 dst_sel:DWORD dst_unused:UNUSED_PAD src0_sel:WORD_0 src1_sel:DWORD
	v_mul_u32_u24_sdwa v6, v6, v91 dst_sel:DWORD dst_unused:UNUSED_PAD src0_sel:WORD_1 src1_sel:DWORD
	v_pk_mul_f16 v119, v117, v119
	v_pk_mul_f16 v5, v117, v5
	v_pk_fma_f16 v6, v117, v6, v116
	v_pk_fma_f16 v109, v109, v113, v119
	;; [unrolled: 1-line block ×3, first 2 shown]
	v_pk_mul_f16 v108, v117, v120
	v_mul_u32_u24_sdwa v113, v8, v91 dst_sel:DWORD dst_unused:UNUSED_PAD src0_sel:WORD_0 src1_sel:DWORD
	v_mul_u32_u24_sdwa v8, v8, v91 dst_sel:DWORD dst_unused:UNUSED_PAD src0_sel:WORD_1 src1_sel:DWORD
	v_pk_fma_f16 v107, v107, v115, v108
	v_mul_u32_u24_sdwa v108, v7, v91 dst_sel:DWORD dst_unused:UNUSED_PAD src0_sel:WORD_0 src1_sel:DWORD
	v_mul_u32_u24_sdwa v7, v7, v91 dst_sel:DWORD dst_unused:UNUSED_PAD src0_sel:WORD_1 src1_sel:DWORD
	v_pk_fma_f16 v8, v118, v8, v6
	v_pk_fma_f16 v107, v118, v113, v107
	;; [unrolled: 1-line block ×4, first 2 shown]
	ds_read2_b32 v[5:6], v62 offset0:64 offset1:96
	s_waitcnt lgkmcnt(3)
	v_mul_u32_u24_sdwa v109, v9, v91 dst_sel:DWORD dst_unused:UNUSED_PAD src0_sel:WORD_0 src1_sel:DWORD
	v_mul_u32_u24_sdwa v9, v9, v91 dst_sel:DWORD dst_unused:UNUSED_PAD src0_sel:WORD_1 src1_sel:DWORD
	v_mul_u32_u24_sdwa v113, v10, v91 dst_sel:DWORD dst_unused:UNUSED_PAD src0_sel:WORD_0 src1_sel:DWORD
	v_mul_u32_u24_sdwa v10, v10, v91 dst_sel:DWORD dst_unused:UNUSED_PAD src0_sel:WORD_1 src1_sel:DWORD
	s_waitcnt lgkmcnt(0)
	v_pk_fma_f16 v108, v5, v109, v108
	v_pk_fma_f16 v7, v5, v9, v7
	;; [unrolled: 1-line block ×4, first 2 shown]
	v_mul_u32_u24_sdwa v8, v11, v91 dst_sel:DWORD dst_unused:UNUSED_PAD src0_sel:WORD_0 src1_sel:DWORD
	v_mul_u32_u24_sdwa v10, v11, v91 dst_sel:DWORD dst_unused:UNUSED_PAD src0_sel:WORD_1 src1_sel:DWORD
	v_mul_u32_u24_sdwa v11, v12, v91 dst_sel:DWORD dst_unused:UNUSED_PAD src0_sel:WORD_0 src1_sel:DWORD
	v_mul_u32_u24_sdwa v12, v12, v91 dst_sel:DWORD dst_unused:UNUSED_PAD src0_sel:WORD_1 src1_sel:DWORD
	v_pk_fma_f16 v8, v6, v8, v108
	v_pk_fma_f16 v7, v6, v10, v7
	;; [unrolled: 1-line block ×4, first 2 shown]
	ds_read2_b32 v[5:6], v62 offset0:128 offset1:160
	v_mul_u32_u24_sdwa v11, v13, v91 dst_sel:DWORD dst_unused:UNUSED_PAD src0_sel:WORD_0 src1_sel:DWORD
	v_mul_u32_u24_sdwa v12, v13, v91 dst_sel:DWORD dst_unused:UNUSED_PAD src0_sel:WORD_1 src1_sel:DWORD
	v_mul_u32_u24_sdwa v13, v14, v91 dst_sel:DWORD dst_unused:UNUSED_PAD src0_sel:WORD_0 src1_sel:DWORD
	v_mul_u32_u24_sdwa v14, v14, v91 dst_sel:DWORD dst_unused:UNUSED_PAD src0_sel:WORD_1 src1_sel:DWORD
	s_waitcnt lgkmcnt(0)
	v_pk_fma_f16 v8, v5, v11, v8
	v_pk_fma_f16 v7, v5, v12, v7
	;; [unrolled: 1-line block ×4, first 2 shown]
	v_mul_u32_u24_sdwa v10, v15, v91 dst_sel:DWORD dst_unused:UNUSED_PAD src0_sel:WORD_0 src1_sel:DWORD
	v_mul_u32_u24_sdwa v11, v15, v91 dst_sel:DWORD dst_unused:UNUSED_PAD src0_sel:WORD_1 src1_sel:DWORD
	v_mul_u32_u24_sdwa v12, v16, v91 dst_sel:DWORD dst_unused:UNUSED_PAD src0_sel:WORD_0 src1_sel:DWORD
	v_mul_u32_u24_sdwa v13, v16, v91 dst_sel:DWORD dst_unused:UNUSED_PAD src0_sel:WORD_1 src1_sel:DWORD
	v_mul_u32_u24_sdwa v14, v50, v91 dst_sel:DWORD dst_unused:UNUSED_PAD src0_sel:WORD_1 src1_sel:DWORD
	v_pk_fma_f16 v8, v6, v10, v8
	v_pk_fma_f16 v7, v6, v11, v7
	;; [unrolled: 1-line block ×4, first 2 shown]
	ds_read2_b32 v[5:6], v62 offset0:192 offset1:224
	v_mul_u32_u24_sdwa v11, v49, v91 dst_sel:DWORD dst_unused:UNUSED_PAD src0_sel:WORD_0 src1_sel:DWORD
	v_mul_u32_u24_sdwa v12, v49, v91 dst_sel:DWORD dst_unused:UNUSED_PAD src0_sel:WORD_1 src1_sel:DWORD
	v_mul_u32_u24_sdwa v13, v50, v91 dst_sel:DWORD dst_unused:UNUSED_PAD src0_sel:WORD_0 src1_sel:DWORD
	s_waitcnt lgkmcnt(0)
	v_pk_fma_f16 v8, v5, v11, v8
	v_pk_fma_f16 v7, v5, v12, v7
	;; [unrolled: 1-line block ×4, first 2 shown]
	v_mul_u32_u24_sdwa v10, v51, v91 dst_sel:DWORD dst_unused:UNUSED_PAD src0_sel:WORD_0 src1_sel:DWORD
	v_mul_u32_u24_sdwa v11, v51, v91 dst_sel:DWORD dst_unused:UNUSED_PAD src0_sel:WORD_1 src1_sel:DWORD
	v_mul_u32_u24_sdwa v12, v52, v91 dst_sel:DWORD dst_unused:UNUSED_PAD src0_sel:WORD_0 src1_sel:DWORD
	v_mul_u32_u24_sdwa v13, v52, v91 dst_sel:DWORD dst_unused:UNUSED_PAD src0_sel:WORD_1 src1_sel:DWORD
	v_pk_fma_f16 v14, v6, v10, v8
	v_pk_fma_f16 v11, v6, v11, v7
	;; [unrolled: 1-line block ×4, first 2 shown]
	ds_read2_b32 v[9:10], v92 offset1:32
	ds_read_b128 v[5:8], v81 offset:64
	s_waitcnt lgkmcnt(0)
	v_mul_u32_u24_sdwa v15, v5, v91 dst_sel:DWORD dst_unused:UNUSED_PAD src0_sel:WORD_0 src1_sel:DWORD
	v_mul_u32_u24_sdwa v5, v5, v91 dst_sel:DWORD dst_unused:UNUSED_PAD src0_sel:WORD_1 src1_sel:DWORD
	v_mul_u32_u24_sdwa v16, v6, v91 dst_sel:DWORD dst_unused:UNUSED_PAD src0_sel:WORD_0 src1_sel:DWORD
	v_mul_u32_u24_sdwa v6, v6, v91 dst_sel:DWORD dst_unused:UNUSED_PAD src0_sel:WORD_1 src1_sel:DWORD
	v_pk_fma_f16 v14, v9, v15, v14
	v_pk_fma_f16 v5, v9, v5, v11
	v_pk_fma_f16 v11, v9, v16, v12
	v_pk_fma_f16 v6, v9, v6, v13
	v_mul_u32_u24_sdwa v9, v7, v91 dst_sel:DWORD dst_unused:UNUSED_PAD src0_sel:WORD_0 src1_sel:DWORD
	v_mul_u32_u24_sdwa v7, v7, v91 dst_sel:DWORD dst_unused:UNUSED_PAD src0_sel:WORD_1 src1_sel:DWORD
	v_mul_u32_u24_sdwa v12, v8, v91 dst_sel:DWORD dst_unused:UNUSED_PAD src0_sel:WORD_0 src1_sel:DWORD
	v_mul_u32_u24_sdwa v8, v8, v91 dst_sel:DWORD dst_unused:UNUSED_PAD src0_sel:WORD_1 src1_sel:DWORD
	v_pk_fma_f16 v13, v10, v9, v14
	v_pk_fma_f16 v14, v10, v7, v5
	v_pk_fma_f16 v11, v10, v12, v11
	v_pk_fma_f16 v12, v10, v8, v6
	ds_read2_b32 v[9:10], v92 offset0:64 offset1:96
	ds_read_b128 v[5:8], v81 offset:80
	s_waitcnt lgkmcnt(0)
	v_mul_u32_u24_sdwa v15, v5, v91 dst_sel:DWORD dst_unused:UNUSED_PAD src0_sel:WORD_0 src1_sel:DWORD
	v_mul_u32_u24_sdwa v5, v5, v91 dst_sel:DWORD dst_unused:UNUSED_PAD src0_sel:WORD_1 src1_sel:DWORD
	v_mul_u32_u24_sdwa v16, v6, v91 dst_sel:DWORD dst_unused:UNUSED_PAD src0_sel:WORD_0 src1_sel:DWORD
	v_mul_u32_u24_sdwa v6, v6, v91 dst_sel:DWORD dst_unused:UNUSED_PAD src0_sel:WORD_1 src1_sel:DWORD
	v_pk_fma_f16 v13, v9, v15, v13
	v_pk_fma_f16 v5, v9, v5, v14
	v_pk_fma_f16 v11, v9, v16, v11
	v_pk_fma_f16 v6, v9, v6, v12
	v_mul_u32_u24_sdwa v9, v7, v91 dst_sel:DWORD dst_unused:UNUSED_PAD src0_sel:WORD_0 src1_sel:DWORD
	v_mul_u32_u24_sdwa v7, v7, v91 dst_sel:DWORD dst_unused:UNUSED_PAD src0_sel:WORD_1 src1_sel:DWORD
	v_mul_u32_u24_sdwa v12, v8, v91 dst_sel:DWORD dst_unused:UNUSED_PAD src0_sel:WORD_0 src1_sel:DWORD
	v_mul_u32_u24_sdwa v8, v8, v91 dst_sel:DWORD dst_unused:UNUSED_PAD src0_sel:WORD_1 src1_sel:DWORD
	v_pk_fma_f16 v13, v10, v9, v13
	v_pk_fma_f16 v14, v10, v7, v5
	v_pk_fma_f16 v11, v10, v12, v11
	v_pk_fma_f16 v12, v10, v8, v6
	ds_read2_b32 v[9:10], v92 offset0:128 offset1:160
	;; [unrolled: 19-line block ×3, first 2 shown]
	ds_read_b128 v[5:8], v81 offset:112
	s_waitcnt lgkmcnt(0)
	v_mul_u32_u24_sdwa v15, v5, v91 dst_sel:DWORD dst_unused:UNUSED_PAD src0_sel:WORD_0 src1_sel:DWORD
	v_mul_u32_u24_sdwa v5, v5, v91 dst_sel:DWORD dst_unused:UNUSED_PAD src0_sel:WORD_1 src1_sel:DWORD
	v_mul_u32_u24_sdwa v16, v6, v91 dst_sel:DWORD dst_unused:UNUSED_PAD src0_sel:WORD_0 src1_sel:DWORD
	v_mul_u32_u24_sdwa v6, v6, v91 dst_sel:DWORD dst_unused:UNUSED_PAD src0_sel:WORD_1 src1_sel:DWORD
	v_pk_fma_f16 v13, v9, v15, v13
	v_pk_fma_f16 v5, v9, v5, v14
	;; [unrolled: 1-line block ×4, first 2 shown]
	v_mul_u32_u24_sdwa v9, v7, v91 dst_sel:DWORD dst_unused:UNUSED_PAD src0_sel:WORD_0 src1_sel:DWORD
	v_mul_u32_u24_sdwa v7, v7, v91 dst_sel:DWORD dst_unused:UNUSED_PAD src0_sel:WORD_1 src1_sel:DWORD
	v_mul_u32_u24_sdwa v12, v8, v91 dst_sel:DWORD dst_unused:UNUSED_PAD src0_sel:WORD_0 src1_sel:DWORD
	v_mul_u32_u24_sdwa v8, v8, v91 dst_sel:DWORD dst_unused:UNUSED_PAD src0_sel:WORD_1 src1_sel:DWORD
	v_pk_fma_f16 v13, v10, v9, v13
	v_pk_fma_f16 v14, v10, v7, v5
	;; [unrolled: 1-line block ×4, first 2 shown]
	ds_read2_b32 v[9:10], v93 offset1:32
	ds_read_b128 v[5:8], v81 offset:128
	s_waitcnt lgkmcnt(0)
	v_mul_u32_u24_sdwa v15, v5, v91 dst_sel:DWORD dst_unused:UNUSED_PAD src0_sel:WORD_0 src1_sel:DWORD
	v_mul_u32_u24_sdwa v5, v5, v91 dst_sel:DWORD dst_unused:UNUSED_PAD src0_sel:WORD_1 src1_sel:DWORD
	v_mul_u32_u24_sdwa v16, v6, v91 dst_sel:DWORD dst_unused:UNUSED_PAD src0_sel:WORD_0 src1_sel:DWORD
	v_mul_u32_u24_sdwa v6, v6, v91 dst_sel:DWORD dst_unused:UNUSED_PAD src0_sel:WORD_1 src1_sel:DWORD
	v_pk_fma_f16 v13, v9, v15, v13
	v_pk_fma_f16 v5, v9, v5, v14
	v_pk_fma_f16 v11, v9, v16, v11
	v_pk_fma_f16 v6, v9, v6, v12
	v_mul_u32_u24_sdwa v9, v7, v91 dst_sel:DWORD dst_unused:UNUSED_PAD src0_sel:WORD_0 src1_sel:DWORD
	v_mul_u32_u24_sdwa v7, v7, v91 dst_sel:DWORD dst_unused:UNUSED_PAD src0_sel:WORD_1 src1_sel:DWORD
	v_mul_u32_u24_sdwa v12, v8, v91 dst_sel:DWORD dst_unused:UNUSED_PAD src0_sel:WORD_0 src1_sel:DWORD
	v_mul_u32_u24_sdwa v8, v8, v91 dst_sel:DWORD dst_unused:UNUSED_PAD src0_sel:WORD_1 src1_sel:DWORD
	v_pk_fma_f16 v13, v10, v9, v13
	v_pk_fma_f16 v14, v10, v7, v5
	v_pk_fma_f16 v11, v10, v12, v11
	v_pk_fma_f16 v12, v10, v8, v6
	ds_read2_b32 v[9:10], v93 offset0:64 offset1:96
	ds_read_b128 v[5:8], v81 offset:144
	s_waitcnt lgkmcnt(0)
	v_mul_u32_u24_sdwa v15, v5, v91 dst_sel:DWORD dst_unused:UNUSED_PAD src0_sel:WORD_0 src1_sel:DWORD
	v_mul_u32_u24_sdwa v5, v5, v91 dst_sel:DWORD dst_unused:UNUSED_PAD src0_sel:WORD_1 src1_sel:DWORD
	v_mul_u32_u24_sdwa v16, v6, v91 dst_sel:DWORD dst_unused:UNUSED_PAD src0_sel:WORD_0 src1_sel:DWORD
	v_mul_u32_u24_sdwa v6, v6, v91 dst_sel:DWORD dst_unused:UNUSED_PAD src0_sel:WORD_1 src1_sel:DWORD
	v_pk_fma_f16 v13, v9, v15, v13
	v_pk_fma_f16 v5, v9, v5, v14
	v_pk_fma_f16 v11, v9, v16, v11
	v_pk_fma_f16 v6, v9, v6, v12
	v_mul_u32_u24_sdwa v9, v7, v91 dst_sel:DWORD dst_unused:UNUSED_PAD src0_sel:WORD_0 src1_sel:DWORD
	v_mul_u32_u24_sdwa v7, v7, v91 dst_sel:DWORD dst_unused:UNUSED_PAD src0_sel:WORD_1 src1_sel:DWORD
	v_mul_u32_u24_sdwa v12, v8, v91 dst_sel:DWORD dst_unused:UNUSED_PAD src0_sel:WORD_0 src1_sel:DWORD
	v_mul_u32_u24_sdwa v8, v8, v91 dst_sel:DWORD dst_unused:UNUSED_PAD src0_sel:WORD_1 src1_sel:DWORD
	v_pk_fma_f16 v13, v10, v9, v13
	v_pk_fma_f16 v14, v10, v7, v5
	v_pk_fma_f16 v11, v10, v12, v11
	v_pk_fma_f16 v12, v10, v8, v6
	ds_read2_b32 v[9:10], v93 offset0:128 offset1:160
	;; [unrolled: 19-line block ×3, first 2 shown]
	ds_read_b128 v[5:8], v81 offset:176
	s_waitcnt lgkmcnt(0)
	v_mul_u32_u24_sdwa v15, v5, v91 dst_sel:DWORD dst_unused:UNUSED_PAD src0_sel:WORD_0 src1_sel:DWORD
	v_mul_u32_u24_sdwa v5, v5, v91 dst_sel:DWORD dst_unused:UNUSED_PAD src0_sel:WORD_1 src1_sel:DWORD
	v_mul_u32_u24_sdwa v16, v6, v91 dst_sel:DWORD dst_unused:UNUSED_PAD src0_sel:WORD_0 src1_sel:DWORD
	v_mul_u32_u24_sdwa v6, v6, v91 dst_sel:DWORD dst_unused:UNUSED_PAD src0_sel:WORD_1 src1_sel:DWORD
	v_pk_fma_f16 v13, v9, v15, v13
	v_pk_fma_f16 v5, v9, v5, v14
	;; [unrolled: 1-line block ×4, first 2 shown]
	v_mul_u32_u24_sdwa v9, v7, v91 dst_sel:DWORD dst_unused:UNUSED_PAD src0_sel:WORD_0 src1_sel:DWORD
	v_mul_u32_u24_sdwa v7, v7, v91 dst_sel:DWORD dst_unused:UNUSED_PAD src0_sel:WORD_1 src1_sel:DWORD
	v_mul_u32_u24_sdwa v12, v8, v91 dst_sel:DWORD dst_unused:UNUSED_PAD src0_sel:WORD_0 src1_sel:DWORD
	v_mul_u32_u24_sdwa v8, v8, v91 dst_sel:DWORD dst_unused:UNUSED_PAD src0_sel:WORD_1 src1_sel:DWORD
	v_pk_fma_f16 v13, v10, v9, v13
	v_pk_fma_f16 v14, v10, v7, v5
	;; [unrolled: 1-line block ×4, first 2 shown]
	ds_read2_b32 v[9:10], v94 offset1:32
	ds_read_b128 v[5:8], v81 offset:192
	s_waitcnt lgkmcnt(0)
	v_mul_u32_u24_sdwa v15, v5, v91 dst_sel:DWORD dst_unused:UNUSED_PAD src0_sel:WORD_0 src1_sel:DWORD
	v_mul_u32_u24_sdwa v5, v5, v91 dst_sel:DWORD dst_unused:UNUSED_PAD src0_sel:WORD_1 src1_sel:DWORD
	v_mul_u32_u24_sdwa v16, v6, v91 dst_sel:DWORD dst_unused:UNUSED_PAD src0_sel:WORD_0 src1_sel:DWORD
	v_mul_u32_u24_sdwa v6, v6, v91 dst_sel:DWORD dst_unused:UNUSED_PAD src0_sel:WORD_1 src1_sel:DWORD
	v_pk_fma_f16 v13, v9, v15, v13
	v_pk_fma_f16 v5, v9, v5, v14
	v_pk_fma_f16 v11, v9, v16, v11
	v_pk_fma_f16 v6, v9, v6, v12
	v_mul_u32_u24_sdwa v9, v7, v91 dst_sel:DWORD dst_unused:UNUSED_PAD src0_sel:WORD_0 src1_sel:DWORD
	v_mul_u32_u24_sdwa v7, v7, v91 dst_sel:DWORD dst_unused:UNUSED_PAD src0_sel:WORD_1 src1_sel:DWORD
	v_mul_u32_u24_sdwa v12, v8, v91 dst_sel:DWORD dst_unused:UNUSED_PAD src0_sel:WORD_0 src1_sel:DWORD
	v_mul_u32_u24_sdwa v8, v8, v91 dst_sel:DWORD dst_unused:UNUSED_PAD src0_sel:WORD_1 src1_sel:DWORD
	v_pk_fma_f16 v13, v10, v9, v13
	v_pk_fma_f16 v14, v10, v7, v5
	v_pk_fma_f16 v11, v10, v12, v11
	v_pk_fma_f16 v12, v10, v8, v6
	ds_read2_b32 v[9:10], v94 offset0:64 offset1:96
	ds_read_b128 v[5:8], v81 offset:208
	s_waitcnt lgkmcnt(0)
	v_mul_u32_u24_sdwa v15, v5, v91 dst_sel:DWORD dst_unused:UNUSED_PAD src0_sel:WORD_0 src1_sel:DWORD
	v_mul_u32_u24_sdwa v5, v5, v91 dst_sel:DWORD dst_unused:UNUSED_PAD src0_sel:WORD_1 src1_sel:DWORD
	v_mul_u32_u24_sdwa v16, v6, v91 dst_sel:DWORD dst_unused:UNUSED_PAD src0_sel:WORD_0 src1_sel:DWORD
	v_mul_u32_u24_sdwa v6, v6, v91 dst_sel:DWORD dst_unused:UNUSED_PAD src0_sel:WORD_1 src1_sel:DWORD
	v_pk_fma_f16 v13, v9, v15, v13
	v_pk_fma_f16 v5, v9, v5, v14
	v_pk_fma_f16 v11, v9, v16, v11
	v_pk_fma_f16 v6, v9, v6, v12
	v_mul_u32_u24_sdwa v9, v7, v91 dst_sel:DWORD dst_unused:UNUSED_PAD src0_sel:WORD_0 src1_sel:DWORD
	v_mul_u32_u24_sdwa v7, v7, v91 dst_sel:DWORD dst_unused:UNUSED_PAD src0_sel:WORD_1 src1_sel:DWORD
	v_mul_u32_u24_sdwa v12, v8, v91 dst_sel:DWORD dst_unused:UNUSED_PAD src0_sel:WORD_0 src1_sel:DWORD
	v_mul_u32_u24_sdwa v8, v8, v91 dst_sel:DWORD dst_unused:UNUSED_PAD src0_sel:WORD_1 src1_sel:DWORD
	v_pk_fma_f16 v13, v10, v9, v13
	v_pk_fma_f16 v14, v10, v7, v5
	v_pk_fma_f16 v11, v10, v12, v11
	v_pk_fma_f16 v12, v10, v8, v6
	ds_read2_b32 v[9:10], v94 offset0:128 offset1:160
	;; [unrolled: 19-line block ×3, first 2 shown]
	ds_read_b128 v[5:8], v81 offset:240
	s_waitcnt lgkmcnt(0)
	v_mul_u32_u24_sdwa v15, v5, v91 dst_sel:DWORD dst_unused:UNUSED_PAD src0_sel:WORD_0 src1_sel:DWORD
	v_mul_u32_u24_sdwa v5, v5, v91 dst_sel:DWORD dst_unused:UNUSED_PAD src0_sel:WORD_1 src1_sel:DWORD
	v_mul_u32_u24_sdwa v16, v6, v91 dst_sel:DWORD dst_unused:UNUSED_PAD src0_sel:WORD_0 src1_sel:DWORD
	v_mul_u32_u24_sdwa v6, v6, v91 dst_sel:DWORD dst_unused:UNUSED_PAD src0_sel:WORD_1 src1_sel:DWORD
	v_pk_fma_f16 v13, v9, v15, v13
	v_pk_fma_f16 v5, v9, v5, v14
	;; [unrolled: 1-line block ×4, first 2 shown]
	v_mul_u32_u24_sdwa v9, v7, v91 dst_sel:DWORD dst_unused:UNUSED_PAD src0_sel:WORD_0 src1_sel:DWORD
	v_mul_u32_u24_sdwa v7, v7, v91 dst_sel:DWORD dst_unused:UNUSED_PAD src0_sel:WORD_1 src1_sel:DWORD
	v_mul_u32_u24_sdwa v12, v8, v91 dst_sel:DWORD dst_unused:UNUSED_PAD src0_sel:WORD_0 src1_sel:DWORD
	v_mul_u32_u24_sdwa v8, v8, v91 dst_sel:DWORD dst_unused:UNUSED_PAD src0_sel:WORD_1 src1_sel:DWORD
	v_pk_fma_f16 v13, v10, v9, v13
	v_pk_fma_f16 v14, v10, v7, v5
	;; [unrolled: 1-line block ×4, first 2 shown]
	ds_read2_b32 v[9:10], v95 offset1:32
	ds_read_b128 v[5:8], v81 offset:256
	s_waitcnt lgkmcnt(0)
	v_mul_u32_u24_sdwa v15, v5, v91 dst_sel:DWORD dst_unused:UNUSED_PAD src0_sel:WORD_0 src1_sel:DWORD
	v_mul_u32_u24_sdwa v5, v5, v91 dst_sel:DWORD dst_unused:UNUSED_PAD src0_sel:WORD_1 src1_sel:DWORD
	v_mul_u32_u24_sdwa v16, v6, v91 dst_sel:DWORD dst_unused:UNUSED_PAD src0_sel:WORD_0 src1_sel:DWORD
	v_mul_u32_u24_sdwa v6, v6, v91 dst_sel:DWORD dst_unused:UNUSED_PAD src0_sel:WORD_1 src1_sel:DWORD
	v_pk_fma_f16 v13, v9, v15, v13
	v_pk_fma_f16 v5, v9, v5, v14
	v_pk_fma_f16 v11, v9, v16, v11
	v_pk_fma_f16 v6, v9, v6, v12
	v_mul_u32_u24_sdwa v9, v7, v91 dst_sel:DWORD dst_unused:UNUSED_PAD src0_sel:WORD_0 src1_sel:DWORD
	v_mul_u32_u24_sdwa v7, v7, v91 dst_sel:DWORD dst_unused:UNUSED_PAD src0_sel:WORD_1 src1_sel:DWORD
	v_mul_u32_u24_sdwa v12, v8, v91 dst_sel:DWORD dst_unused:UNUSED_PAD src0_sel:WORD_0 src1_sel:DWORD
	v_mul_u32_u24_sdwa v8, v8, v91 dst_sel:DWORD dst_unused:UNUSED_PAD src0_sel:WORD_1 src1_sel:DWORD
	v_pk_fma_f16 v13, v10, v9, v13
	v_pk_fma_f16 v14, v10, v7, v5
	v_pk_fma_f16 v11, v10, v12, v11
	v_pk_fma_f16 v12, v10, v8, v6
	ds_read2_b32 v[9:10], v95 offset0:64 offset1:96
	ds_read_b128 v[5:8], v81 offset:272
	s_waitcnt lgkmcnt(0)
	v_mul_u32_u24_sdwa v15, v5, v91 dst_sel:DWORD dst_unused:UNUSED_PAD src0_sel:WORD_0 src1_sel:DWORD
	v_mul_u32_u24_sdwa v5, v5, v91 dst_sel:DWORD dst_unused:UNUSED_PAD src0_sel:WORD_1 src1_sel:DWORD
	v_mul_u32_u24_sdwa v16, v6, v91 dst_sel:DWORD dst_unused:UNUSED_PAD src0_sel:WORD_0 src1_sel:DWORD
	v_mul_u32_u24_sdwa v6, v6, v91 dst_sel:DWORD dst_unused:UNUSED_PAD src0_sel:WORD_1 src1_sel:DWORD
	v_pk_fma_f16 v13, v9, v15, v13
	v_pk_fma_f16 v5, v9, v5, v14
	v_pk_fma_f16 v11, v9, v16, v11
	v_pk_fma_f16 v6, v9, v6, v12
	v_mul_u32_u24_sdwa v9, v7, v91 dst_sel:DWORD dst_unused:UNUSED_PAD src0_sel:WORD_0 src1_sel:DWORD
	v_mul_u32_u24_sdwa v7, v7, v91 dst_sel:DWORD dst_unused:UNUSED_PAD src0_sel:WORD_1 src1_sel:DWORD
	v_mul_u32_u24_sdwa v12, v8, v91 dst_sel:DWORD dst_unused:UNUSED_PAD src0_sel:WORD_0 src1_sel:DWORD
	v_mul_u32_u24_sdwa v8, v8, v91 dst_sel:DWORD dst_unused:UNUSED_PAD src0_sel:WORD_1 src1_sel:DWORD
	v_pk_fma_f16 v13, v10, v9, v13
	v_pk_fma_f16 v14, v10, v7, v5
	v_pk_fma_f16 v11, v10, v12, v11
	v_pk_fma_f16 v12, v10, v8, v6
	ds_read2_b32 v[9:10], v95 offset0:128 offset1:160
	;; [unrolled: 19-line block ×3, first 2 shown]
	ds_read_b128 v[5:8], v81 offset:304
	s_waitcnt lgkmcnt(0)
	v_mul_u32_u24_sdwa v15, v5, v91 dst_sel:DWORD dst_unused:UNUSED_PAD src0_sel:WORD_0 src1_sel:DWORD
	v_mul_u32_u24_sdwa v5, v5, v91 dst_sel:DWORD dst_unused:UNUSED_PAD src0_sel:WORD_1 src1_sel:DWORD
	v_mul_u32_u24_sdwa v16, v6, v91 dst_sel:DWORD dst_unused:UNUSED_PAD src0_sel:WORD_0 src1_sel:DWORD
	v_mul_u32_u24_sdwa v6, v6, v91 dst_sel:DWORD dst_unused:UNUSED_PAD src0_sel:WORD_1 src1_sel:DWORD
	v_pk_fma_f16 v13, v9, v15, v13
	v_pk_fma_f16 v5, v9, v5, v14
	;; [unrolled: 1-line block ×4, first 2 shown]
	v_mul_u32_u24_sdwa v9, v7, v91 dst_sel:DWORD dst_unused:UNUSED_PAD src0_sel:WORD_0 src1_sel:DWORD
	v_mul_u32_u24_sdwa v7, v7, v91 dst_sel:DWORD dst_unused:UNUSED_PAD src0_sel:WORD_1 src1_sel:DWORD
	v_mul_u32_u24_sdwa v12, v8, v91 dst_sel:DWORD dst_unused:UNUSED_PAD src0_sel:WORD_0 src1_sel:DWORD
	v_mul_u32_u24_sdwa v8, v8, v91 dst_sel:DWORD dst_unused:UNUSED_PAD src0_sel:WORD_1 src1_sel:DWORD
	v_pk_fma_f16 v13, v10, v9, v13
	v_pk_fma_f16 v14, v10, v7, v5
	;; [unrolled: 1-line block ×4, first 2 shown]
	ds_read2_b32 v[9:10], v96 offset1:32
	ds_read_b128 v[5:8], v81 offset:320
	s_waitcnt lgkmcnt(0)
	v_mul_u32_u24_sdwa v15, v5, v91 dst_sel:DWORD dst_unused:UNUSED_PAD src0_sel:WORD_0 src1_sel:DWORD
	v_mul_u32_u24_sdwa v5, v5, v91 dst_sel:DWORD dst_unused:UNUSED_PAD src0_sel:WORD_1 src1_sel:DWORD
	v_mul_u32_u24_sdwa v16, v6, v91 dst_sel:DWORD dst_unused:UNUSED_PAD src0_sel:WORD_0 src1_sel:DWORD
	v_mul_u32_u24_sdwa v6, v6, v91 dst_sel:DWORD dst_unused:UNUSED_PAD src0_sel:WORD_1 src1_sel:DWORD
	v_pk_fma_f16 v13, v9, v15, v13
	v_pk_fma_f16 v5, v9, v5, v14
	v_pk_fma_f16 v11, v9, v16, v11
	v_pk_fma_f16 v6, v9, v6, v12
	v_mul_u32_u24_sdwa v9, v7, v91 dst_sel:DWORD dst_unused:UNUSED_PAD src0_sel:WORD_0 src1_sel:DWORD
	v_mul_u32_u24_sdwa v7, v7, v91 dst_sel:DWORD dst_unused:UNUSED_PAD src0_sel:WORD_1 src1_sel:DWORD
	v_mul_u32_u24_sdwa v12, v8, v91 dst_sel:DWORD dst_unused:UNUSED_PAD src0_sel:WORD_0 src1_sel:DWORD
	v_mul_u32_u24_sdwa v8, v8, v91 dst_sel:DWORD dst_unused:UNUSED_PAD src0_sel:WORD_1 src1_sel:DWORD
	v_pk_fma_f16 v13, v10, v9, v13
	v_pk_fma_f16 v14, v10, v7, v5
	v_pk_fma_f16 v11, v10, v12, v11
	v_pk_fma_f16 v12, v10, v8, v6
	ds_read2_b32 v[9:10], v96 offset0:64 offset1:96
	ds_read_b128 v[5:8], v81 offset:336
	s_waitcnt lgkmcnt(0)
	v_mul_u32_u24_sdwa v15, v5, v91 dst_sel:DWORD dst_unused:UNUSED_PAD src0_sel:WORD_0 src1_sel:DWORD
	v_mul_u32_u24_sdwa v5, v5, v91 dst_sel:DWORD dst_unused:UNUSED_PAD src0_sel:WORD_1 src1_sel:DWORD
	v_mul_u32_u24_sdwa v16, v6, v91 dst_sel:DWORD dst_unused:UNUSED_PAD src0_sel:WORD_0 src1_sel:DWORD
	v_mul_u32_u24_sdwa v6, v6, v91 dst_sel:DWORD dst_unused:UNUSED_PAD src0_sel:WORD_1 src1_sel:DWORD
	v_pk_fma_f16 v13, v9, v15, v13
	v_pk_fma_f16 v5, v9, v5, v14
	v_pk_fma_f16 v11, v9, v16, v11
	v_pk_fma_f16 v6, v9, v6, v12
	v_mul_u32_u24_sdwa v9, v7, v91 dst_sel:DWORD dst_unused:UNUSED_PAD src0_sel:WORD_0 src1_sel:DWORD
	v_mul_u32_u24_sdwa v7, v7, v91 dst_sel:DWORD dst_unused:UNUSED_PAD src0_sel:WORD_1 src1_sel:DWORD
	v_mul_u32_u24_sdwa v12, v8, v91 dst_sel:DWORD dst_unused:UNUSED_PAD src0_sel:WORD_0 src1_sel:DWORD
	v_mul_u32_u24_sdwa v8, v8, v91 dst_sel:DWORD dst_unused:UNUSED_PAD src0_sel:WORD_1 src1_sel:DWORD
	v_pk_fma_f16 v13, v10, v9, v13
	v_pk_fma_f16 v14, v10, v7, v5
	v_pk_fma_f16 v11, v10, v12, v11
	v_pk_fma_f16 v12, v10, v8, v6
	ds_read2_b32 v[9:10], v96 offset0:128 offset1:160
	;; [unrolled: 19-line block ×3, first 2 shown]
	ds_read_b128 v[5:8], v81 offset:368
	s_waitcnt lgkmcnt(0)
	v_mul_u32_u24_sdwa v15, v5, v91 dst_sel:DWORD dst_unused:UNUSED_PAD src0_sel:WORD_0 src1_sel:DWORD
	v_mul_u32_u24_sdwa v5, v5, v91 dst_sel:DWORD dst_unused:UNUSED_PAD src0_sel:WORD_1 src1_sel:DWORD
	v_mul_u32_u24_sdwa v16, v6, v91 dst_sel:DWORD dst_unused:UNUSED_PAD src0_sel:WORD_0 src1_sel:DWORD
	v_mul_u32_u24_sdwa v6, v6, v91 dst_sel:DWORD dst_unused:UNUSED_PAD src0_sel:WORD_1 src1_sel:DWORD
	v_pk_fma_f16 v13, v9, v15, v13
	v_pk_fma_f16 v5, v9, v5, v14
	;; [unrolled: 1-line block ×4, first 2 shown]
	v_mul_u32_u24_sdwa v9, v7, v91 dst_sel:DWORD dst_unused:UNUSED_PAD src0_sel:WORD_0 src1_sel:DWORD
	v_mul_u32_u24_sdwa v7, v7, v91 dst_sel:DWORD dst_unused:UNUSED_PAD src0_sel:WORD_1 src1_sel:DWORD
	v_mul_u32_u24_sdwa v12, v8, v91 dst_sel:DWORD dst_unused:UNUSED_PAD src0_sel:WORD_0 src1_sel:DWORD
	v_mul_u32_u24_sdwa v8, v8, v91 dst_sel:DWORD dst_unused:UNUSED_PAD src0_sel:WORD_1 src1_sel:DWORD
	v_pk_fma_f16 v13, v10, v9, v13
	v_pk_fma_f16 v14, v10, v7, v5
	;; [unrolled: 1-line block ×4, first 2 shown]
	ds_read2_b32 v[9:10], v97 offset1:32
	ds_read_b128 v[5:8], v81 offset:384
	s_waitcnt lgkmcnt(0)
	v_mul_u32_u24_sdwa v15, v5, v91 dst_sel:DWORD dst_unused:UNUSED_PAD src0_sel:WORD_0 src1_sel:DWORD
	v_mul_u32_u24_sdwa v5, v5, v91 dst_sel:DWORD dst_unused:UNUSED_PAD src0_sel:WORD_1 src1_sel:DWORD
	v_mul_u32_u24_sdwa v16, v6, v91 dst_sel:DWORD dst_unused:UNUSED_PAD src0_sel:WORD_0 src1_sel:DWORD
	v_mul_u32_u24_sdwa v6, v6, v91 dst_sel:DWORD dst_unused:UNUSED_PAD src0_sel:WORD_1 src1_sel:DWORD
	v_pk_fma_f16 v13, v9, v15, v13
	v_pk_fma_f16 v5, v9, v5, v14
	v_pk_fma_f16 v11, v9, v16, v11
	v_pk_fma_f16 v6, v9, v6, v12
	v_mul_u32_u24_sdwa v9, v7, v91 dst_sel:DWORD dst_unused:UNUSED_PAD src0_sel:WORD_0 src1_sel:DWORD
	v_mul_u32_u24_sdwa v7, v7, v91 dst_sel:DWORD dst_unused:UNUSED_PAD src0_sel:WORD_1 src1_sel:DWORD
	v_mul_u32_u24_sdwa v12, v8, v91 dst_sel:DWORD dst_unused:UNUSED_PAD src0_sel:WORD_0 src1_sel:DWORD
	v_mul_u32_u24_sdwa v8, v8, v91 dst_sel:DWORD dst_unused:UNUSED_PAD src0_sel:WORD_1 src1_sel:DWORD
	v_pk_fma_f16 v13, v10, v9, v13
	v_pk_fma_f16 v14, v10, v7, v5
	v_pk_fma_f16 v11, v10, v12, v11
	v_pk_fma_f16 v12, v10, v8, v6
	ds_read2_b32 v[9:10], v97 offset0:64 offset1:96
	ds_read_b128 v[5:8], v81 offset:400
	s_waitcnt lgkmcnt(0)
	v_mul_u32_u24_sdwa v15, v5, v91 dst_sel:DWORD dst_unused:UNUSED_PAD src0_sel:WORD_0 src1_sel:DWORD
	v_mul_u32_u24_sdwa v5, v5, v91 dst_sel:DWORD dst_unused:UNUSED_PAD src0_sel:WORD_1 src1_sel:DWORD
	v_mul_u32_u24_sdwa v16, v6, v91 dst_sel:DWORD dst_unused:UNUSED_PAD src0_sel:WORD_0 src1_sel:DWORD
	v_mul_u32_u24_sdwa v6, v6, v91 dst_sel:DWORD dst_unused:UNUSED_PAD src0_sel:WORD_1 src1_sel:DWORD
	v_pk_fma_f16 v13, v9, v15, v13
	v_pk_fma_f16 v5, v9, v5, v14
	v_pk_fma_f16 v11, v9, v16, v11
	v_pk_fma_f16 v6, v9, v6, v12
	v_mul_u32_u24_sdwa v9, v7, v91 dst_sel:DWORD dst_unused:UNUSED_PAD src0_sel:WORD_0 src1_sel:DWORD
	v_mul_u32_u24_sdwa v7, v7, v91 dst_sel:DWORD dst_unused:UNUSED_PAD src0_sel:WORD_1 src1_sel:DWORD
	v_mul_u32_u24_sdwa v12, v8, v91 dst_sel:DWORD dst_unused:UNUSED_PAD src0_sel:WORD_0 src1_sel:DWORD
	v_mul_u32_u24_sdwa v8, v8, v91 dst_sel:DWORD dst_unused:UNUSED_PAD src0_sel:WORD_1 src1_sel:DWORD
	v_pk_fma_f16 v13, v10, v9, v13
	v_pk_fma_f16 v14, v10, v7, v5
	v_pk_fma_f16 v11, v10, v12, v11
	v_pk_fma_f16 v12, v10, v8, v6
	ds_read2_b32 v[9:10], v97 offset0:128 offset1:160
	;; [unrolled: 19-line block ×3, first 2 shown]
	ds_read_b128 v[5:8], v81 offset:432
	s_waitcnt lgkmcnt(0)
	v_mul_u32_u24_sdwa v15, v5, v91 dst_sel:DWORD dst_unused:UNUSED_PAD src0_sel:WORD_0 src1_sel:DWORD
	v_mul_u32_u24_sdwa v5, v5, v91 dst_sel:DWORD dst_unused:UNUSED_PAD src0_sel:WORD_1 src1_sel:DWORD
	v_mul_u32_u24_sdwa v16, v6, v91 dst_sel:DWORD dst_unused:UNUSED_PAD src0_sel:WORD_0 src1_sel:DWORD
	v_mul_u32_u24_sdwa v6, v6, v91 dst_sel:DWORD dst_unused:UNUSED_PAD src0_sel:WORD_1 src1_sel:DWORD
	v_pk_fma_f16 v13, v9, v15, v13
	v_pk_fma_f16 v5, v9, v5, v14
	;; [unrolled: 1-line block ×4, first 2 shown]
	v_mul_u32_u24_sdwa v9, v7, v91 dst_sel:DWORD dst_unused:UNUSED_PAD src0_sel:WORD_0 src1_sel:DWORD
	v_mul_u32_u24_sdwa v7, v7, v91 dst_sel:DWORD dst_unused:UNUSED_PAD src0_sel:WORD_1 src1_sel:DWORD
	v_mul_u32_u24_sdwa v12, v8, v91 dst_sel:DWORD dst_unused:UNUSED_PAD src0_sel:WORD_0 src1_sel:DWORD
	v_mul_u32_u24_sdwa v8, v8, v91 dst_sel:DWORD dst_unused:UNUSED_PAD src0_sel:WORD_1 src1_sel:DWORD
	v_pk_fma_f16 v13, v10, v9, v13
	v_pk_fma_f16 v14, v10, v7, v5
	;; [unrolled: 1-line block ×4, first 2 shown]
	ds_read2_b32 v[9:10], v98 offset1:32
	ds_read_b128 v[5:8], v81 offset:448
	s_waitcnt lgkmcnt(0)
	v_mul_u32_u24_sdwa v15, v5, v91 dst_sel:DWORD dst_unused:UNUSED_PAD src0_sel:WORD_0 src1_sel:DWORD
	v_mul_u32_u24_sdwa v5, v5, v91 dst_sel:DWORD dst_unused:UNUSED_PAD src0_sel:WORD_1 src1_sel:DWORD
	v_mul_u32_u24_sdwa v16, v6, v91 dst_sel:DWORD dst_unused:UNUSED_PAD src0_sel:WORD_0 src1_sel:DWORD
	v_mul_u32_u24_sdwa v6, v6, v91 dst_sel:DWORD dst_unused:UNUSED_PAD src0_sel:WORD_1 src1_sel:DWORD
	v_pk_fma_f16 v13, v9, v15, v13
	v_pk_fma_f16 v5, v9, v5, v14
	v_pk_fma_f16 v11, v9, v16, v11
	v_pk_fma_f16 v6, v9, v6, v12
	v_mul_u32_u24_sdwa v9, v7, v91 dst_sel:DWORD dst_unused:UNUSED_PAD src0_sel:WORD_0 src1_sel:DWORD
	v_mul_u32_u24_sdwa v7, v7, v91 dst_sel:DWORD dst_unused:UNUSED_PAD src0_sel:WORD_1 src1_sel:DWORD
	v_mul_u32_u24_sdwa v12, v8, v91 dst_sel:DWORD dst_unused:UNUSED_PAD src0_sel:WORD_0 src1_sel:DWORD
	v_mul_u32_u24_sdwa v8, v8, v91 dst_sel:DWORD dst_unused:UNUSED_PAD src0_sel:WORD_1 src1_sel:DWORD
	v_pk_fma_f16 v13, v10, v9, v13
	v_pk_fma_f16 v14, v10, v7, v5
	v_pk_fma_f16 v11, v10, v12, v11
	v_pk_fma_f16 v12, v10, v8, v6
	ds_read2_b32 v[9:10], v98 offset0:64 offset1:96
	ds_read_b128 v[5:8], v81 offset:464
	s_waitcnt lgkmcnt(0)
	v_mul_u32_u24_sdwa v15, v5, v91 dst_sel:DWORD dst_unused:UNUSED_PAD src0_sel:WORD_0 src1_sel:DWORD
	v_mul_u32_u24_sdwa v5, v5, v91 dst_sel:DWORD dst_unused:UNUSED_PAD src0_sel:WORD_1 src1_sel:DWORD
	v_mul_u32_u24_sdwa v16, v6, v91 dst_sel:DWORD dst_unused:UNUSED_PAD src0_sel:WORD_0 src1_sel:DWORD
	v_mul_u32_u24_sdwa v6, v6, v91 dst_sel:DWORD dst_unused:UNUSED_PAD src0_sel:WORD_1 src1_sel:DWORD
	v_pk_fma_f16 v13, v9, v15, v13
	v_pk_fma_f16 v5, v9, v5, v14
	v_pk_fma_f16 v11, v9, v16, v11
	v_pk_fma_f16 v6, v9, v6, v12
	v_mul_u32_u24_sdwa v9, v7, v91 dst_sel:DWORD dst_unused:UNUSED_PAD src0_sel:WORD_0 src1_sel:DWORD
	v_mul_u32_u24_sdwa v7, v7, v91 dst_sel:DWORD dst_unused:UNUSED_PAD src0_sel:WORD_1 src1_sel:DWORD
	v_mul_u32_u24_sdwa v12, v8, v91 dst_sel:DWORD dst_unused:UNUSED_PAD src0_sel:WORD_0 src1_sel:DWORD
	v_mul_u32_u24_sdwa v8, v8, v91 dst_sel:DWORD dst_unused:UNUSED_PAD src0_sel:WORD_1 src1_sel:DWORD
	v_pk_fma_f16 v13, v10, v9, v13
	v_pk_fma_f16 v14, v10, v7, v5
	v_pk_fma_f16 v11, v10, v12, v11
	v_pk_fma_f16 v12, v10, v8, v6
	ds_read2_b32 v[9:10], v98 offset0:128 offset1:160
	;; [unrolled: 19-line block ×3, first 2 shown]
	ds_read_b128 v[5:8], v81 offset:496
	s_waitcnt lgkmcnt(0)
	v_mul_u32_u24_sdwa v15, v5, v91 dst_sel:DWORD dst_unused:UNUSED_PAD src0_sel:WORD_0 src1_sel:DWORD
	v_mul_u32_u24_sdwa v5, v5, v91 dst_sel:DWORD dst_unused:UNUSED_PAD src0_sel:WORD_1 src1_sel:DWORD
	v_mul_u32_u24_sdwa v16, v6, v91 dst_sel:DWORD dst_unused:UNUSED_PAD src0_sel:WORD_0 src1_sel:DWORD
	v_mul_u32_u24_sdwa v6, v6, v91 dst_sel:DWORD dst_unused:UNUSED_PAD src0_sel:WORD_1 src1_sel:DWORD
	v_pk_fma_f16 v13, v9, v15, v13
	v_pk_fma_f16 v5, v9, v5, v14
	;; [unrolled: 1-line block ×4, first 2 shown]
	v_mul_u32_u24_sdwa v9, v7, v91 dst_sel:DWORD dst_unused:UNUSED_PAD src0_sel:WORD_0 src1_sel:DWORD
	v_mul_u32_u24_sdwa v7, v7, v91 dst_sel:DWORD dst_unused:UNUSED_PAD src0_sel:WORD_1 src1_sel:DWORD
	v_mul_u32_u24_sdwa v12, v8, v91 dst_sel:DWORD dst_unused:UNUSED_PAD src0_sel:WORD_0 src1_sel:DWORD
	v_mul_u32_u24_sdwa v8, v8, v91 dst_sel:DWORD dst_unused:UNUSED_PAD src0_sel:WORD_1 src1_sel:DWORD
	v_pk_fma_f16 v13, v10, v9, v13
	v_pk_fma_f16 v14, v10, v7, v5
	;; [unrolled: 1-line block ×4, first 2 shown]
	ds_read2_b32 v[9:10], v99 offset1:32
	ds_read_b128 v[5:8], v81 offset:512
	s_waitcnt lgkmcnt(0)
	v_mul_u32_u24_sdwa v15, v5, v91 dst_sel:DWORD dst_unused:UNUSED_PAD src0_sel:WORD_0 src1_sel:DWORD
	v_mul_u32_u24_sdwa v5, v5, v91 dst_sel:DWORD dst_unused:UNUSED_PAD src0_sel:WORD_1 src1_sel:DWORD
	v_mul_u32_u24_sdwa v16, v6, v91 dst_sel:DWORD dst_unused:UNUSED_PAD src0_sel:WORD_0 src1_sel:DWORD
	v_mul_u32_u24_sdwa v6, v6, v91 dst_sel:DWORD dst_unused:UNUSED_PAD src0_sel:WORD_1 src1_sel:DWORD
	v_pk_fma_f16 v13, v9, v15, v13
	v_pk_fma_f16 v5, v9, v5, v14
	v_pk_fma_f16 v11, v9, v16, v11
	v_pk_fma_f16 v6, v9, v6, v12
	v_mul_u32_u24_sdwa v9, v7, v91 dst_sel:DWORD dst_unused:UNUSED_PAD src0_sel:WORD_0 src1_sel:DWORD
	v_mul_u32_u24_sdwa v7, v7, v91 dst_sel:DWORD dst_unused:UNUSED_PAD src0_sel:WORD_1 src1_sel:DWORD
	v_mul_u32_u24_sdwa v12, v8, v91 dst_sel:DWORD dst_unused:UNUSED_PAD src0_sel:WORD_0 src1_sel:DWORD
	v_mul_u32_u24_sdwa v8, v8, v91 dst_sel:DWORD dst_unused:UNUSED_PAD src0_sel:WORD_1 src1_sel:DWORD
	v_pk_fma_f16 v13, v10, v9, v13
	v_pk_fma_f16 v14, v10, v7, v5
	v_pk_fma_f16 v11, v10, v12, v11
	v_pk_fma_f16 v12, v10, v8, v6
	ds_read2_b32 v[9:10], v99 offset0:64 offset1:96
	ds_read_b128 v[5:8], v81 offset:528
	s_waitcnt lgkmcnt(0)
	v_mul_u32_u24_sdwa v15, v5, v91 dst_sel:DWORD dst_unused:UNUSED_PAD src0_sel:WORD_0 src1_sel:DWORD
	v_mul_u32_u24_sdwa v5, v5, v91 dst_sel:DWORD dst_unused:UNUSED_PAD src0_sel:WORD_1 src1_sel:DWORD
	v_mul_u32_u24_sdwa v16, v6, v91 dst_sel:DWORD dst_unused:UNUSED_PAD src0_sel:WORD_0 src1_sel:DWORD
	v_mul_u32_u24_sdwa v6, v6, v91 dst_sel:DWORD dst_unused:UNUSED_PAD src0_sel:WORD_1 src1_sel:DWORD
	v_pk_fma_f16 v13, v9, v15, v13
	v_pk_fma_f16 v5, v9, v5, v14
	v_pk_fma_f16 v11, v9, v16, v11
	v_pk_fma_f16 v6, v9, v6, v12
	v_mul_u32_u24_sdwa v9, v7, v91 dst_sel:DWORD dst_unused:UNUSED_PAD src0_sel:WORD_0 src1_sel:DWORD
	v_mul_u32_u24_sdwa v7, v7, v91 dst_sel:DWORD dst_unused:UNUSED_PAD src0_sel:WORD_1 src1_sel:DWORD
	v_mul_u32_u24_sdwa v12, v8, v91 dst_sel:DWORD dst_unused:UNUSED_PAD src0_sel:WORD_0 src1_sel:DWORD
	v_mul_u32_u24_sdwa v8, v8, v91 dst_sel:DWORD dst_unused:UNUSED_PAD src0_sel:WORD_1 src1_sel:DWORD
	v_pk_fma_f16 v13, v10, v9, v13
	v_pk_fma_f16 v14, v10, v7, v5
	v_pk_fma_f16 v11, v10, v12, v11
	v_pk_fma_f16 v12, v10, v8, v6
	ds_read2_b32 v[9:10], v99 offset0:128 offset1:160
	;; [unrolled: 19-line block ×3, first 2 shown]
	ds_read_b128 v[5:8], v81 offset:560
	s_waitcnt lgkmcnt(0)
	v_mul_u32_u24_sdwa v15, v5, v91 dst_sel:DWORD dst_unused:UNUSED_PAD src0_sel:WORD_0 src1_sel:DWORD
	v_mul_u32_u24_sdwa v5, v5, v91 dst_sel:DWORD dst_unused:UNUSED_PAD src0_sel:WORD_1 src1_sel:DWORD
	v_mul_u32_u24_sdwa v16, v6, v91 dst_sel:DWORD dst_unused:UNUSED_PAD src0_sel:WORD_0 src1_sel:DWORD
	v_mul_u32_u24_sdwa v6, v6, v91 dst_sel:DWORD dst_unused:UNUSED_PAD src0_sel:WORD_1 src1_sel:DWORD
	v_pk_fma_f16 v13, v9, v15, v13
	v_pk_fma_f16 v5, v9, v5, v14
	;; [unrolled: 1-line block ×4, first 2 shown]
	v_mul_u32_u24_sdwa v9, v7, v91 dst_sel:DWORD dst_unused:UNUSED_PAD src0_sel:WORD_0 src1_sel:DWORD
	v_mul_u32_u24_sdwa v7, v7, v91 dst_sel:DWORD dst_unused:UNUSED_PAD src0_sel:WORD_1 src1_sel:DWORD
	v_mul_u32_u24_sdwa v12, v8, v91 dst_sel:DWORD dst_unused:UNUSED_PAD src0_sel:WORD_0 src1_sel:DWORD
	v_mul_u32_u24_sdwa v8, v8, v91 dst_sel:DWORD dst_unused:UNUSED_PAD src0_sel:WORD_1 src1_sel:DWORD
	v_pk_fma_f16 v13, v10, v9, v13
	v_pk_fma_f16 v14, v10, v7, v5
	;; [unrolled: 1-line block ×4, first 2 shown]
	ds_read2_b32 v[9:10], v100 offset1:32
	ds_read_b128 v[5:8], v81 offset:576
	s_waitcnt lgkmcnt(0)
	v_mul_u32_u24_sdwa v15, v5, v91 dst_sel:DWORD dst_unused:UNUSED_PAD src0_sel:WORD_0 src1_sel:DWORD
	v_mul_u32_u24_sdwa v5, v5, v91 dst_sel:DWORD dst_unused:UNUSED_PAD src0_sel:WORD_1 src1_sel:DWORD
	v_mul_u32_u24_sdwa v16, v6, v91 dst_sel:DWORD dst_unused:UNUSED_PAD src0_sel:WORD_0 src1_sel:DWORD
	v_mul_u32_u24_sdwa v6, v6, v91 dst_sel:DWORD dst_unused:UNUSED_PAD src0_sel:WORD_1 src1_sel:DWORD
	v_pk_fma_f16 v13, v9, v15, v13
	v_pk_fma_f16 v5, v9, v5, v14
	v_pk_fma_f16 v11, v9, v16, v11
	v_pk_fma_f16 v6, v9, v6, v12
	v_mul_u32_u24_sdwa v9, v7, v91 dst_sel:DWORD dst_unused:UNUSED_PAD src0_sel:WORD_0 src1_sel:DWORD
	v_mul_u32_u24_sdwa v7, v7, v91 dst_sel:DWORD dst_unused:UNUSED_PAD src0_sel:WORD_1 src1_sel:DWORD
	v_mul_u32_u24_sdwa v12, v8, v91 dst_sel:DWORD dst_unused:UNUSED_PAD src0_sel:WORD_0 src1_sel:DWORD
	v_mul_u32_u24_sdwa v8, v8, v91 dst_sel:DWORD dst_unused:UNUSED_PAD src0_sel:WORD_1 src1_sel:DWORD
	v_pk_fma_f16 v13, v10, v9, v13
	v_pk_fma_f16 v14, v10, v7, v5
	v_pk_fma_f16 v11, v10, v12, v11
	v_pk_fma_f16 v12, v10, v8, v6
	ds_read2_b32 v[9:10], v100 offset0:64 offset1:96
	ds_read_b128 v[5:8], v81 offset:592
	s_waitcnt lgkmcnt(0)
	v_mul_u32_u24_sdwa v15, v5, v91 dst_sel:DWORD dst_unused:UNUSED_PAD src0_sel:WORD_0 src1_sel:DWORD
	v_mul_u32_u24_sdwa v5, v5, v91 dst_sel:DWORD dst_unused:UNUSED_PAD src0_sel:WORD_1 src1_sel:DWORD
	v_mul_u32_u24_sdwa v16, v6, v91 dst_sel:DWORD dst_unused:UNUSED_PAD src0_sel:WORD_0 src1_sel:DWORD
	v_mul_u32_u24_sdwa v6, v6, v91 dst_sel:DWORD dst_unused:UNUSED_PAD src0_sel:WORD_1 src1_sel:DWORD
	v_pk_fma_f16 v13, v9, v15, v13
	v_pk_fma_f16 v5, v9, v5, v14
	v_pk_fma_f16 v11, v9, v16, v11
	v_pk_fma_f16 v6, v9, v6, v12
	v_mul_u32_u24_sdwa v9, v7, v91 dst_sel:DWORD dst_unused:UNUSED_PAD src0_sel:WORD_0 src1_sel:DWORD
	v_mul_u32_u24_sdwa v7, v7, v91 dst_sel:DWORD dst_unused:UNUSED_PAD src0_sel:WORD_1 src1_sel:DWORD
	v_mul_u32_u24_sdwa v12, v8, v91 dst_sel:DWORD dst_unused:UNUSED_PAD src0_sel:WORD_0 src1_sel:DWORD
	v_mul_u32_u24_sdwa v8, v8, v91 dst_sel:DWORD dst_unused:UNUSED_PAD src0_sel:WORD_1 src1_sel:DWORD
	v_pk_fma_f16 v13, v10, v9, v13
	v_pk_fma_f16 v14, v10, v7, v5
	v_pk_fma_f16 v11, v10, v12, v11
	v_pk_fma_f16 v12, v10, v8, v6
	ds_read2_b32 v[9:10], v100 offset0:128 offset1:160
	;; [unrolled: 19-line block ×3, first 2 shown]
	ds_read_b128 v[5:8], v81 offset:624
	s_waitcnt lgkmcnt(0)
	v_mul_u32_u24_sdwa v15, v5, v91 dst_sel:DWORD dst_unused:UNUSED_PAD src0_sel:WORD_0 src1_sel:DWORD
	v_mul_u32_u24_sdwa v5, v5, v91 dst_sel:DWORD dst_unused:UNUSED_PAD src0_sel:WORD_1 src1_sel:DWORD
	v_mul_u32_u24_sdwa v16, v6, v91 dst_sel:DWORD dst_unused:UNUSED_PAD src0_sel:WORD_0 src1_sel:DWORD
	v_mul_u32_u24_sdwa v6, v6, v91 dst_sel:DWORD dst_unused:UNUSED_PAD src0_sel:WORD_1 src1_sel:DWORD
	v_pk_fma_f16 v13, v9, v15, v13
	v_pk_fma_f16 v5, v9, v5, v14
	;; [unrolled: 1-line block ×4, first 2 shown]
	v_mul_u32_u24_sdwa v9, v7, v91 dst_sel:DWORD dst_unused:UNUSED_PAD src0_sel:WORD_0 src1_sel:DWORD
	v_mul_u32_u24_sdwa v7, v7, v91 dst_sel:DWORD dst_unused:UNUSED_PAD src0_sel:WORD_1 src1_sel:DWORD
	v_mul_u32_u24_sdwa v12, v8, v91 dst_sel:DWORD dst_unused:UNUSED_PAD src0_sel:WORD_0 src1_sel:DWORD
	v_mul_u32_u24_sdwa v8, v8, v91 dst_sel:DWORD dst_unused:UNUSED_PAD src0_sel:WORD_1 src1_sel:DWORD
	v_pk_fma_f16 v13, v10, v9, v13
	v_pk_fma_f16 v14, v10, v7, v5
	;; [unrolled: 1-line block ×4, first 2 shown]
	ds_read2_b32 v[9:10], v101 offset1:32
	ds_read_b128 v[5:8], v81 offset:640
	s_waitcnt lgkmcnt(0)
	v_mul_u32_u24_sdwa v15, v5, v91 dst_sel:DWORD dst_unused:UNUSED_PAD src0_sel:WORD_0 src1_sel:DWORD
	v_mul_u32_u24_sdwa v5, v5, v91 dst_sel:DWORD dst_unused:UNUSED_PAD src0_sel:WORD_1 src1_sel:DWORD
	v_mul_u32_u24_sdwa v16, v6, v91 dst_sel:DWORD dst_unused:UNUSED_PAD src0_sel:WORD_0 src1_sel:DWORD
	v_mul_u32_u24_sdwa v6, v6, v91 dst_sel:DWORD dst_unused:UNUSED_PAD src0_sel:WORD_1 src1_sel:DWORD
	v_pk_fma_f16 v13, v9, v15, v13
	v_pk_fma_f16 v5, v9, v5, v14
	v_pk_fma_f16 v11, v9, v16, v11
	v_pk_fma_f16 v6, v9, v6, v12
	v_mul_u32_u24_sdwa v9, v7, v91 dst_sel:DWORD dst_unused:UNUSED_PAD src0_sel:WORD_0 src1_sel:DWORD
	v_mul_u32_u24_sdwa v7, v7, v91 dst_sel:DWORD dst_unused:UNUSED_PAD src0_sel:WORD_1 src1_sel:DWORD
	v_mul_u32_u24_sdwa v12, v8, v91 dst_sel:DWORD dst_unused:UNUSED_PAD src0_sel:WORD_0 src1_sel:DWORD
	v_mul_u32_u24_sdwa v8, v8, v91 dst_sel:DWORD dst_unused:UNUSED_PAD src0_sel:WORD_1 src1_sel:DWORD
	v_pk_fma_f16 v13, v10, v9, v13
	v_pk_fma_f16 v14, v10, v7, v5
	v_pk_fma_f16 v11, v10, v12, v11
	v_pk_fma_f16 v12, v10, v8, v6
	ds_read2_b32 v[9:10], v101 offset0:64 offset1:96
	ds_read_b128 v[5:8], v81 offset:656
	s_waitcnt lgkmcnt(0)
	v_mul_u32_u24_sdwa v15, v5, v91 dst_sel:DWORD dst_unused:UNUSED_PAD src0_sel:WORD_0 src1_sel:DWORD
	v_mul_u32_u24_sdwa v5, v5, v91 dst_sel:DWORD dst_unused:UNUSED_PAD src0_sel:WORD_1 src1_sel:DWORD
	v_mul_u32_u24_sdwa v16, v6, v91 dst_sel:DWORD dst_unused:UNUSED_PAD src0_sel:WORD_0 src1_sel:DWORD
	v_mul_u32_u24_sdwa v6, v6, v91 dst_sel:DWORD dst_unused:UNUSED_PAD src0_sel:WORD_1 src1_sel:DWORD
	v_pk_fma_f16 v13, v9, v15, v13
	v_pk_fma_f16 v5, v9, v5, v14
	v_pk_fma_f16 v11, v9, v16, v11
	v_pk_fma_f16 v6, v9, v6, v12
	v_mul_u32_u24_sdwa v9, v7, v91 dst_sel:DWORD dst_unused:UNUSED_PAD src0_sel:WORD_0 src1_sel:DWORD
	v_mul_u32_u24_sdwa v7, v7, v91 dst_sel:DWORD dst_unused:UNUSED_PAD src0_sel:WORD_1 src1_sel:DWORD
	v_mul_u32_u24_sdwa v12, v8, v91 dst_sel:DWORD dst_unused:UNUSED_PAD src0_sel:WORD_0 src1_sel:DWORD
	v_mul_u32_u24_sdwa v8, v8, v91 dst_sel:DWORD dst_unused:UNUSED_PAD src0_sel:WORD_1 src1_sel:DWORD
	v_pk_fma_f16 v13, v10, v9, v13
	v_pk_fma_f16 v14, v10, v7, v5
	v_pk_fma_f16 v11, v10, v12, v11
	v_pk_fma_f16 v12, v10, v8, v6
	ds_read2_b32 v[9:10], v101 offset0:128 offset1:160
	;; [unrolled: 19-line block ×3, first 2 shown]
	ds_read_b128 v[5:8], v81 offset:688
	s_waitcnt lgkmcnt(0)
	v_mul_u32_u24_sdwa v15, v5, v91 dst_sel:DWORD dst_unused:UNUSED_PAD src0_sel:WORD_0 src1_sel:DWORD
	v_mul_u32_u24_sdwa v5, v5, v91 dst_sel:DWORD dst_unused:UNUSED_PAD src0_sel:WORD_1 src1_sel:DWORD
	v_mul_u32_u24_sdwa v16, v6, v91 dst_sel:DWORD dst_unused:UNUSED_PAD src0_sel:WORD_0 src1_sel:DWORD
	v_mul_u32_u24_sdwa v6, v6, v91 dst_sel:DWORD dst_unused:UNUSED_PAD src0_sel:WORD_1 src1_sel:DWORD
	v_pk_fma_f16 v13, v9, v15, v13
	v_pk_fma_f16 v5, v9, v5, v14
	;; [unrolled: 1-line block ×4, first 2 shown]
	v_mul_u32_u24_sdwa v9, v7, v91 dst_sel:DWORD dst_unused:UNUSED_PAD src0_sel:WORD_0 src1_sel:DWORD
	v_mul_u32_u24_sdwa v7, v7, v91 dst_sel:DWORD dst_unused:UNUSED_PAD src0_sel:WORD_1 src1_sel:DWORD
	v_mul_u32_u24_sdwa v12, v8, v91 dst_sel:DWORD dst_unused:UNUSED_PAD src0_sel:WORD_0 src1_sel:DWORD
	v_mul_u32_u24_sdwa v8, v8, v91 dst_sel:DWORD dst_unused:UNUSED_PAD src0_sel:WORD_1 src1_sel:DWORD
	v_pk_fma_f16 v13, v10, v9, v13
	v_pk_fma_f16 v14, v10, v7, v5
	;; [unrolled: 1-line block ×4, first 2 shown]
	ds_read2_b32 v[9:10], v102 offset1:32
	ds_read_b128 v[5:8], v81 offset:704
	s_waitcnt lgkmcnt(0)
	v_mul_u32_u24_sdwa v15, v5, v91 dst_sel:DWORD dst_unused:UNUSED_PAD src0_sel:WORD_0 src1_sel:DWORD
	v_mul_u32_u24_sdwa v5, v5, v91 dst_sel:DWORD dst_unused:UNUSED_PAD src0_sel:WORD_1 src1_sel:DWORD
	v_mul_u32_u24_sdwa v16, v6, v91 dst_sel:DWORD dst_unused:UNUSED_PAD src0_sel:WORD_0 src1_sel:DWORD
	v_mul_u32_u24_sdwa v6, v6, v91 dst_sel:DWORD dst_unused:UNUSED_PAD src0_sel:WORD_1 src1_sel:DWORD
	v_pk_fma_f16 v13, v9, v15, v13
	v_pk_fma_f16 v5, v9, v5, v14
	v_pk_fma_f16 v11, v9, v16, v11
	v_pk_fma_f16 v6, v9, v6, v12
	v_mul_u32_u24_sdwa v9, v7, v91 dst_sel:DWORD dst_unused:UNUSED_PAD src0_sel:WORD_0 src1_sel:DWORD
	v_mul_u32_u24_sdwa v7, v7, v91 dst_sel:DWORD dst_unused:UNUSED_PAD src0_sel:WORD_1 src1_sel:DWORD
	v_mul_u32_u24_sdwa v12, v8, v91 dst_sel:DWORD dst_unused:UNUSED_PAD src0_sel:WORD_0 src1_sel:DWORD
	v_mul_u32_u24_sdwa v8, v8, v91 dst_sel:DWORD dst_unused:UNUSED_PAD src0_sel:WORD_1 src1_sel:DWORD
	v_pk_fma_f16 v13, v10, v9, v13
	v_pk_fma_f16 v14, v10, v7, v5
	v_pk_fma_f16 v11, v10, v12, v11
	v_pk_fma_f16 v12, v10, v8, v6
	ds_read2_b32 v[9:10], v102 offset0:64 offset1:96
	ds_read_b128 v[5:8], v81 offset:720
	s_waitcnt lgkmcnt(0)
	v_mul_u32_u24_sdwa v15, v5, v91 dst_sel:DWORD dst_unused:UNUSED_PAD src0_sel:WORD_0 src1_sel:DWORD
	v_mul_u32_u24_sdwa v5, v5, v91 dst_sel:DWORD dst_unused:UNUSED_PAD src0_sel:WORD_1 src1_sel:DWORD
	v_mul_u32_u24_sdwa v16, v6, v91 dst_sel:DWORD dst_unused:UNUSED_PAD src0_sel:WORD_0 src1_sel:DWORD
	v_mul_u32_u24_sdwa v6, v6, v91 dst_sel:DWORD dst_unused:UNUSED_PAD src0_sel:WORD_1 src1_sel:DWORD
	v_pk_fma_f16 v13, v9, v15, v13
	v_pk_fma_f16 v5, v9, v5, v14
	v_pk_fma_f16 v11, v9, v16, v11
	v_pk_fma_f16 v6, v9, v6, v12
	v_mul_u32_u24_sdwa v9, v7, v91 dst_sel:DWORD dst_unused:UNUSED_PAD src0_sel:WORD_0 src1_sel:DWORD
	v_mul_u32_u24_sdwa v7, v7, v91 dst_sel:DWORD dst_unused:UNUSED_PAD src0_sel:WORD_1 src1_sel:DWORD
	v_mul_u32_u24_sdwa v12, v8, v91 dst_sel:DWORD dst_unused:UNUSED_PAD src0_sel:WORD_0 src1_sel:DWORD
	v_mul_u32_u24_sdwa v8, v8, v91 dst_sel:DWORD dst_unused:UNUSED_PAD src0_sel:WORD_1 src1_sel:DWORD
	v_pk_fma_f16 v13, v10, v9, v13
	v_pk_fma_f16 v14, v10, v7, v5
	v_pk_fma_f16 v11, v10, v12, v11
	v_pk_fma_f16 v12, v10, v8, v6
	ds_read2_b32 v[9:10], v102 offset0:128 offset1:160
	;; [unrolled: 19-line block ×3, first 2 shown]
	ds_read_b128 v[5:8], v81 offset:752
	s_waitcnt lgkmcnt(0)
	v_mul_u32_u24_sdwa v15, v5, v91 dst_sel:DWORD dst_unused:UNUSED_PAD src0_sel:WORD_0 src1_sel:DWORD
	v_mul_u32_u24_sdwa v5, v5, v91 dst_sel:DWORD dst_unused:UNUSED_PAD src0_sel:WORD_1 src1_sel:DWORD
	v_mul_u32_u24_sdwa v16, v6, v91 dst_sel:DWORD dst_unused:UNUSED_PAD src0_sel:WORD_0 src1_sel:DWORD
	v_mul_u32_u24_sdwa v6, v6, v91 dst_sel:DWORD dst_unused:UNUSED_PAD src0_sel:WORD_1 src1_sel:DWORD
	v_pk_fma_f16 v13, v9, v15, v13
	v_pk_fma_f16 v5, v9, v5, v14
	;; [unrolled: 1-line block ×4, first 2 shown]
	v_mul_u32_u24_sdwa v9, v7, v91 dst_sel:DWORD dst_unused:UNUSED_PAD src0_sel:WORD_0 src1_sel:DWORD
	v_mul_u32_u24_sdwa v7, v7, v91 dst_sel:DWORD dst_unused:UNUSED_PAD src0_sel:WORD_1 src1_sel:DWORD
	v_mul_u32_u24_sdwa v12, v8, v91 dst_sel:DWORD dst_unused:UNUSED_PAD src0_sel:WORD_0 src1_sel:DWORD
	v_mul_u32_u24_sdwa v8, v8, v91 dst_sel:DWORD dst_unused:UNUSED_PAD src0_sel:WORD_1 src1_sel:DWORD
	v_pk_fma_f16 v13, v10, v9, v13
	v_pk_fma_f16 v14, v10, v7, v5
	;; [unrolled: 1-line block ×4, first 2 shown]
	ds_read2_b32 v[9:10], v103 offset1:32
	ds_read_b128 v[5:8], v81 offset:768
	s_waitcnt lgkmcnt(0)
	v_mul_u32_u24_sdwa v15, v5, v91 dst_sel:DWORD dst_unused:UNUSED_PAD src0_sel:WORD_0 src1_sel:DWORD
	v_mul_u32_u24_sdwa v5, v5, v91 dst_sel:DWORD dst_unused:UNUSED_PAD src0_sel:WORD_1 src1_sel:DWORD
	v_mul_u32_u24_sdwa v16, v6, v91 dst_sel:DWORD dst_unused:UNUSED_PAD src0_sel:WORD_0 src1_sel:DWORD
	v_mul_u32_u24_sdwa v6, v6, v91 dst_sel:DWORD dst_unused:UNUSED_PAD src0_sel:WORD_1 src1_sel:DWORD
	v_pk_fma_f16 v13, v9, v15, v13
	v_pk_fma_f16 v5, v9, v5, v14
	v_pk_fma_f16 v11, v9, v16, v11
	v_pk_fma_f16 v6, v9, v6, v12
	v_mul_u32_u24_sdwa v9, v7, v91 dst_sel:DWORD dst_unused:UNUSED_PAD src0_sel:WORD_0 src1_sel:DWORD
	v_mul_u32_u24_sdwa v7, v7, v91 dst_sel:DWORD dst_unused:UNUSED_PAD src0_sel:WORD_1 src1_sel:DWORD
	v_mul_u32_u24_sdwa v12, v8, v91 dst_sel:DWORD dst_unused:UNUSED_PAD src0_sel:WORD_0 src1_sel:DWORD
	v_mul_u32_u24_sdwa v8, v8, v91 dst_sel:DWORD dst_unused:UNUSED_PAD src0_sel:WORD_1 src1_sel:DWORD
	v_pk_fma_f16 v13, v10, v9, v13
	v_pk_fma_f16 v14, v10, v7, v5
	v_pk_fma_f16 v11, v10, v12, v11
	v_pk_fma_f16 v12, v10, v8, v6
	ds_read2_b32 v[9:10], v103 offset0:64 offset1:96
	ds_read_b128 v[5:8], v81 offset:784
	s_waitcnt lgkmcnt(0)
	v_mul_u32_u24_sdwa v15, v5, v91 dst_sel:DWORD dst_unused:UNUSED_PAD src0_sel:WORD_0 src1_sel:DWORD
	v_mul_u32_u24_sdwa v5, v5, v91 dst_sel:DWORD dst_unused:UNUSED_PAD src0_sel:WORD_1 src1_sel:DWORD
	v_mul_u32_u24_sdwa v16, v6, v91 dst_sel:DWORD dst_unused:UNUSED_PAD src0_sel:WORD_0 src1_sel:DWORD
	v_mul_u32_u24_sdwa v6, v6, v91 dst_sel:DWORD dst_unused:UNUSED_PAD src0_sel:WORD_1 src1_sel:DWORD
	v_pk_fma_f16 v13, v9, v15, v13
	v_pk_fma_f16 v5, v9, v5, v14
	v_pk_fma_f16 v11, v9, v16, v11
	v_pk_fma_f16 v6, v9, v6, v12
	v_mul_u32_u24_sdwa v9, v7, v91 dst_sel:DWORD dst_unused:UNUSED_PAD src0_sel:WORD_0 src1_sel:DWORD
	v_mul_u32_u24_sdwa v7, v7, v91 dst_sel:DWORD dst_unused:UNUSED_PAD src0_sel:WORD_1 src1_sel:DWORD
	v_mul_u32_u24_sdwa v12, v8, v91 dst_sel:DWORD dst_unused:UNUSED_PAD src0_sel:WORD_0 src1_sel:DWORD
	v_mul_u32_u24_sdwa v8, v8, v91 dst_sel:DWORD dst_unused:UNUSED_PAD src0_sel:WORD_1 src1_sel:DWORD
	v_pk_fma_f16 v13, v10, v9, v13
	v_pk_fma_f16 v14, v10, v7, v5
	v_pk_fma_f16 v11, v10, v12, v11
	v_pk_fma_f16 v12, v10, v8, v6
	ds_read2_b32 v[9:10], v103 offset0:128 offset1:160
	ds_read_b128 v[5:8], v81 offset:800
	s_waitcnt lgkmcnt(0)
	v_mul_u32_u24_sdwa v15, v5, v91 dst_sel:DWORD dst_unused:UNUSED_PAD src0_sel:WORD_0 src1_sel:DWORD
	v_mul_u32_u24_sdwa v5, v5, v91 dst_sel:DWORD dst_unused:UNUSED_PAD src0_sel:WORD_1 src1_sel:DWORD
	v_mul_u32_u24_sdwa v16, v6, v91 dst_sel:DWORD dst_unused:UNUSED_PAD src0_sel:WORD_0 src1_sel:DWORD
	v_mul_u32_u24_sdwa v6, v6, v91 dst_sel:DWORD dst_unused:UNUSED_PAD src0_sel:WORD_1 src1_sel:DWORD
	v_pk_fma_f16 v13, v9, v15, v13
	v_pk_fma_f16 v5, v9, v5, v14
	v_pk_fma_f16 v11, v9, v16, v11
	v_pk_fma_f16 v6, v9, v6, v12
	v_mul_u32_u24_sdwa v9, v7, v91 dst_sel:DWORD dst_unused:UNUSED_PAD src0_sel:WORD_0 src1_sel:DWORD
	v_mul_u32_u24_sdwa v7, v7, v91 dst_sel:DWORD dst_unused:UNUSED_PAD src0_sel:WORD_1 src1_sel:DWORD
	v_mul_u32_u24_sdwa v12, v8, v91 dst_sel:DWORD dst_unused:UNUSED_PAD src0_sel:WORD_0 src1_sel:DWORD
	v_mul_u32_u24_sdwa v8, v8, v91 dst_sel:DWORD dst_unused:UNUSED_PAD src0_sel:WORD_1 src1_sel:DWORD
	v_pk_fma_f16 v13, v10, v9, v13
	v_pk_fma_f16 v14, v10, v7, v5
	v_pk_fma_f16 v11, v10, v12, v11
	v_pk_fma_f16 v12, v10, v8, v6
	ds_read2_b32 v[9:10], v103 offset0:192 offset1:224
	ds_read_b128 v[5:8], v81 offset:816
	s_waitcnt lgkmcnt(0)
	v_mul_u32_u24_sdwa v15, v5, v91 dst_sel:DWORD dst_unused:UNUSED_PAD src0_sel:WORD_0 src1_sel:DWORD
	v_mul_u32_u24_sdwa v5, v5, v91 dst_sel:DWORD dst_unused:UNUSED_PAD src0_sel:WORD_1 src1_sel:DWORD
	v_mul_u32_u24_sdwa v16, v6, v91 dst_sel:DWORD dst_unused:UNUSED_PAD src0_sel:WORD_0 src1_sel:DWORD
	v_mul_u32_u24_sdwa v6, v6, v91 dst_sel:DWORD dst_unused:UNUSED_PAD src0_sel:WORD_1 src1_sel:DWORD
	v_pk_fma_f16 v13, v9, v15, v13
	v_pk_fma_f16 v5, v9, v5, v14
	;; [unrolled: 1-line block ×4, first 2 shown]
	v_mul_u32_u24_sdwa v9, v7, v91 dst_sel:DWORD dst_unused:UNUSED_PAD src0_sel:WORD_0 src1_sel:DWORD
	v_mul_u32_u24_sdwa v7, v7, v91 dst_sel:DWORD dst_unused:UNUSED_PAD src0_sel:WORD_1 src1_sel:DWORD
	v_mul_u32_u24_sdwa v12, v8, v91 dst_sel:DWORD dst_unused:UNUSED_PAD src0_sel:WORD_0 src1_sel:DWORD
	v_mul_u32_u24_sdwa v8, v8, v91 dst_sel:DWORD dst_unused:UNUSED_PAD src0_sel:WORD_1 src1_sel:DWORD
	v_pk_fma_f16 v13, v10, v9, v13
	v_pk_fma_f16 v14, v10, v7, v5
	;; [unrolled: 1-line block ×4, first 2 shown]
	ds_read2_b32 v[9:10], v104 offset1:32
	ds_read_b128 v[5:8], v81 offset:832
	s_waitcnt lgkmcnt(0)
	v_mul_u32_u24_sdwa v15, v5, v91 dst_sel:DWORD dst_unused:UNUSED_PAD src0_sel:WORD_0 src1_sel:DWORD
	v_mul_u32_u24_sdwa v5, v5, v91 dst_sel:DWORD dst_unused:UNUSED_PAD src0_sel:WORD_1 src1_sel:DWORD
	v_mul_u32_u24_sdwa v16, v6, v91 dst_sel:DWORD dst_unused:UNUSED_PAD src0_sel:WORD_0 src1_sel:DWORD
	v_mul_u32_u24_sdwa v6, v6, v91 dst_sel:DWORD dst_unused:UNUSED_PAD src0_sel:WORD_1 src1_sel:DWORD
	v_pk_fma_f16 v13, v9, v15, v13
	v_pk_fma_f16 v5, v9, v5, v14
	v_pk_fma_f16 v11, v9, v16, v11
	v_pk_fma_f16 v6, v9, v6, v12
	v_mul_u32_u24_sdwa v9, v7, v91 dst_sel:DWORD dst_unused:UNUSED_PAD src0_sel:WORD_0 src1_sel:DWORD
	v_mul_u32_u24_sdwa v7, v7, v91 dst_sel:DWORD dst_unused:UNUSED_PAD src0_sel:WORD_1 src1_sel:DWORD
	v_mul_u32_u24_sdwa v12, v8, v91 dst_sel:DWORD dst_unused:UNUSED_PAD src0_sel:WORD_0 src1_sel:DWORD
	v_mul_u32_u24_sdwa v8, v8, v91 dst_sel:DWORD dst_unused:UNUSED_PAD src0_sel:WORD_1 src1_sel:DWORD
	v_pk_fma_f16 v13, v10, v9, v13
	v_pk_fma_f16 v14, v10, v7, v5
	v_pk_fma_f16 v11, v10, v12, v11
	v_pk_fma_f16 v12, v10, v8, v6
	ds_read2_b32 v[9:10], v104 offset0:64 offset1:96
	ds_read_b128 v[5:8], v81 offset:848
	s_waitcnt lgkmcnt(0)
	v_mul_u32_u24_sdwa v15, v5, v91 dst_sel:DWORD dst_unused:UNUSED_PAD src0_sel:WORD_0 src1_sel:DWORD
	v_mul_u32_u24_sdwa v5, v5, v91 dst_sel:DWORD dst_unused:UNUSED_PAD src0_sel:WORD_1 src1_sel:DWORD
	v_mul_u32_u24_sdwa v16, v6, v91 dst_sel:DWORD dst_unused:UNUSED_PAD src0_sel:WORD_0 src1_sel:DWORD
	v_mul_u32_u24_sdwa v6, v6, v91 dst_sel:DWORD dst_unused:UNUSED_PAD src0_sel:WORD_1 src1_sel:DWORD
	v_pk_fma_f16 v13, v9, v15, v13
	v_pk_fma_f16 v5, v9, v5, v14
	v_pk_fma_f16 v11, v9, v16, v11
	v_pk_fma_f16 v6, v9, v6, v12
	v_mul_u32_u24_sdwa v9, v7, v91 dst_sel:DWORD dst_unused:UNUSED_PAD src0_sel:WORD_0 src1_sel:DWORD
	v_mul_u32_u24_sdwa v7, v7, v91 dst_sel:DWORD dst_unused:UNUSED_PAD src0_sel:WORD_1 src1_sel:DWORD
	v_mul_u32_u24_sdwa v12, v8, v91 dst_sel:DWORD dst_unused:UNUSED_PAD src0_sel:WORD_0 src1_sel:DWORD
	v_mul_u32_u24_sdwa v8, v8, v91 dst_sel:DWORD dst_unused:UNUSED_PAD src0_sel:WORD_1 src1_sel:DWORD
	v_pk_fma_f16 v13, v10, v9, v13
	v_pk_fma_f16 v14, v10, v7, v5
	v_pk_fma_f16 v11, v10, v12, v11
	v_pk_fma_f16 v12, v10, v8, v6
	ds_read2_b32 v[9:10], v104 offset0:128 offset1:160
	;; [unrolled: 19-line block ×3, first 2 shown]
	ds_read_b128 v[5:8], v81 offset:880
	s_waitcnt lgkmcnt(0)
	v_mul_u32_u24_sdwa v15, v5, v91 dst_sel:DWORD dst_unused:UNUSED_PAD src0_sel:WORD_0 src1_sel:DWORD
	v_mul_u32_u24_sdwa v5, v5, v91 dst_sel:DWORD dst_unused:UNUSED_PAD src0_sel:WORD_1 src1_sel:DWORD
	v_mul_u32_u24_sdwa v16, v6, v91 dst_sel:DWORD dst_unused:UNUSED_PAD src0_sel:WORD_0 src1_sel:DWORD
	v_mul_u32_u24_sdwa v6, v6, v91 dst_sel:DWORD dst_unused:UNUSED_PAD src0_sel:WORD_1 src1_sel:DWORD
	v_pk_fma_f16 v13, v9, v15, v13
	v_pk_fma_f16 v5, v9, v5, v14
	;; [unrolled: 1-line block ×4, first 2 shown]
	v_mul_u32_u24_sdwa v9, v7, v91 dst_sel:DWORD dst_unused:UNUSED_PAD src0_sel:WORD_0 src1_sel:DWORD
	v_mul_u32_u24_sdwa v7, v7, v91 dst_sel:DWORD dst_unused:UNUSED_PAD src0_sel:WORD_1 src1_sel:DWORD
	v_mul_u32_u24_sdwa v12, v8, v91 dst_sel:DWORD dst_unused:UNUSED_PAD src0_sel:WORD_0 src1_sel:DWORD
	v_mul_u32_u24_sdwa v8, v8, v91 dst_sel:DWORD dst_unused:UNUSED_PAD src0_sel:WORD_1 src1_sel:DWORD
	v_pk_fma_f16 v13, v10, v9, v13
	v_pk_fma_f16 v14, v10, v7, v5
	;; [unrolled: 1-line block ×4, first 2 shown]
	ds_read2_b32 v[9:10], v105 offset1:32
	ds_read_b128 v[5:8], v81 offset:896
	s_waitcnt lgkmcnt(0)
	v_mul_u32_u24_sdwa v15, v5, v91 dst_sel:DWORD dst_unused:UNUSED_PAD src0_sel:WORD_0 src1_sel:DWORD
	v_mul_u32_u24_sdwa v5, v5, v91 dst_sel:DWORD dst_unused:UNUSED_PAD src0_sel:WORD_1 src1_sel:DWORD
	v_mul_u32_u24_sdwa v16, v6, v91 dst_sel:DWORD dst_unused:UNUSED_PAD src0_sel:WORD_0 src1_sel:DWORD
	v_mul_u32_u24_sdwa v6, v6, v91 dst_sel:DWORD dst_unused:UNUSED_PAD src0_sel:WORD_1 src1_sel:DWORD
	v_pk_fma_f16 v13, v9, v15, v13
	v_pk_fma_f16 v5, v9, v5, v14
	v_pk_fma_f16 v11, v9, v16, v11
	v_pk_fma_f16 v6, v9, v6, v12
	v_mul_u32_u24_sdwa v9, v7, v91 dst_sel:DWORD dst_unused:UNUSED_PAD src0_sel:WORD_0 src1_sel:DWORD
	v_mul_u32_u24_sdwa v7, v7, v91 dst_sel:DWORD dst_unused:UNUSED_PAD src0_sel:WORD_1 src1_sel:DWORD
	v_mul_u32_u24_sdwa v12, v8, v91 dst_sel:DWORD dst_unused:UNUSED_PAD src0_sel:WORD_0 src1_sel:DWORD
	v_mul_u32_u24_sdwa v8, v8, v91 dst_sel:DWORD dst_unused:UNUSED_PAD src0_sel:WORD_1 src1_sel:DWORD
	v_pk_fma_f16 v13, v10, v9, v13
	v_pk_fma_f16 v14, v10, v7, v5
	v_pk_fma_f16 v11, v10, v12, v11
	v_pk_fma_f16 v12, v10, v8, v6
	ds_read2_b32 v[9:10], v105 offset0:64 offset1:96
	ds_read_b128 v[5:8], v81 offset:912
	s_waitcnt lgkmcnt(0)
	v_mul_u32_u24_sdwa v15, v5, v91 dst_sel:DWORD dst_unused:UNUSED_PAD src0_sel:WORD_0 src1_sel:DWORD
	v_mul_u32_u24_sdwa v5, v5, v91 dst_sel:DWORD dst_unused:UNUSED_PAD src0_sel:WORD_1 src1_sel:DWORD
	v_mul_u32_u24_sdwa v16, v6, v91 dst_sel:DWORD dst_unused:UNUSED_PAD src0_sel:WORD_0 src1_sel:DWORD
	v_mul_u32_u24_sdwa v6, v6, v91 dst_sel:DWORD dst_unused:UNUSED_PAD src0_sel:WORD_1 src1_sel:DWORD
	v_pk_fma_f16 v13, v9, v15, v13
	v_pk_fma_f16 v5, v9, v5, v14
	v_pk_fma_f16 v11, v9, v16, v11
	v_pk_fma_f16 v6, v9, v6, v12
	v_mul_u32_u24_sdwa v9, v7, v91 dst_sel:DWORD dst_unused:UNUSED_PAD src0_sel:WORD_0 src1_sel:DWORD
	v_mul_u32_u24_sdwa v7, v7, v91 dst_sel:DWORD dst_unused:UNUSED_PAD src0_sel:WORD_1 src1_sel:DWORD
	v_mul_u32_u24_sdwa v12, v8, v91 dst_sel:DWORD dst_unused:UNUSED_PAD src0_sel:WORD_0 src1_sel:DWORD
	v_mul_u32_u24_sdwa v8, v8, v91 dst_sel:DWORD dst_unused:UNUSED_PAD src0_sel:WORD_1 src1_sel:DWORD
	v_pk_fma_f16 v13, v10, v9, v13
	v_pk_fma_f16 v14, v10, v7, v5
	v_pk_fma_f16 v11, v10, v12, v11
	v_pk_fma_f16 v12, v10, v8, v6
	ds_read2_b32 v[9:10], v105 offset0:128 offset1:160
	;; [unrolled: 19-line block ×3, first 2 shown]
	ds_read_b128 v[5:8], v81 offset:944
	s_waitcnt lgkmcnt(0)
	v_mul_u32_u24_sdwa v15, v5, v91 dst_sel:DWORD dst_unused:UNUSED_PAD src0_sel:WORD_0 src1_sel:DWORD
	v_mul_u32_u24_sdwa v5, v5, v91 dst_sel:DWORD dst_unused:UNUSED_PAD src0_sel:WORD_1 src1_sel:DWORD
	v_mul_u32_u24_sdwa v16, v6, v91 dst_sel:DWORD dst_unused:UNUSED_PAD src0_sel:WORD_0 src1_sel:DWORD
	v_mul_u32_u24_sdwa v6, v6, v91 dst_sel:DWORD dst_unused:UNUSED_PAD src0_sel:WORD_1 src1_sel:DWORD
	v_pk_fma_f16 v13, v9, v15, v13
	v_pk_fma_f16 v5, v9, v5, v14
	;; [unrolled: 1-line block ×4, first 2 shown]
	v_mul_u32_u24_sdwa v9, v7, v91 dst_sel:DWORD dst_unused:UNUSED_PAD src0_sel:WORD_0 src1_sel:DWORD
	v_mul_u32_u24_sdwa v7, v7, v91 dst_sel:DWORD dst_unused:UNUSED_PAD src0_sel:WORD_1 src1_sel:DWORD
	v_mul_u32_u24_sdwa v12, v8, v91 dst_sel:DWORD dst_unused:UNUSED_PAD src0_sel:WORD_0 src1_sel:DWORD
	v_mul_u32_u24_sdwa v8, v8, v91 dst_sel:DWORD dst_unused:UNUSED_PAD src0_sel:WORD_1 src1_sel:DWORD
	v_pk_fma_f16 v13, v10, v9, v13
	v_pk_fma_f16 v14, v10, v7, v5
	;; [unrolled: 1-line block ×4, first 2 shown]
	ds_read2_b32 v[9:10], v106 offset1:32
	ds_read_b128 v[5:8], v81 offset:960
	s_waitcnt lgkmcnt(0)
	v_mul_u32_u24_sdwa v15, v5, v91 dst_sel:DWORD dst_unused:UNUSED_PAD src0_sel:WORD_0 src1_sel:DWORD
	v_mul_u32_u24_sdwa v5, v5, v91 dst_sel:DWORD dst_unused:UNUSED_PAD src0_sel:WORD_1 src1_sel:DWORD
	v_mul_u32_u24_sdwa v16, v6, v91 dst_sel:DWORD dst_unused:UNUSED_PAD src0_sel:WORD_0 src1_sel:DWORD
	v_mul_u32_u24_sdwa v6, v6, v91 dst_sel:DWORD dst_unused:UNUSED_PAD src0_sel:WORD_1 src1_sel:DWORD
	v_pk_fma_f16 v13, v9, v15, v13
	v_pk_fma_f16 v5, v9, v5, v14
	v_pk_fma_f16 v11, v9, v16, v11
	v_pk_fma_f16 v6, v9, v6, v12
	v_mul_u32_u24_sdwa v9, v7, v91 dst_sel:DWORD dst_unused:UNUSED_PAD src0_sel:WORD_0 src1_sel:DWORD
	v_mul_u32_u24_sdwa v7, v7, v91 dst_sel:DWORD dst_unused:UNUSED_PAD src0_sel:WORD_1 src1_sel:DWORD
	v_mul_u32_u24_sdwa v12, v8, v91 dst_sel:DWORD dst_unused:UNUSED_PAD src0_sel:WORD_0 src1_sel:DWORD
	v_mul_u32_u24_sdwa v8, v8, v91 dst_sel:DWORD dst_unused:UNUSED_PAD src0_sel:WORD_1 src1_sel:DWORD
	v_pk_fma_f16 v13, v10, v9, v13
	v_pk_fma_f16 v14, v10, v7, v5
	v_pk_fma_f16 v11, v10, v12, v11
	v_pk_fma_f16 v12, v10, v8, v6
	ds_read2_b32 v[9:10], v106 offset0:64 offset1:96
	ds_read_b128 v[5:8], v81 offset:976
	s_waitcnt lgkmcnt(0)
	v_mul_u32_u24_sdwa v15, v5, v91 dst_sel:DWORD dst_unused:UNUSED_PAD src0_sel:WORD_0 src1_sel:DWORD
	v_mul_u32_u24_sdwa v5, v5, v91 dst_sel:DWORD dst_unused:UNUSED_PAD src0_sel:WORD_1 src1_sel:DWORD
	v_mul_u32_u24_sdwa v16, v6, v91 dst_sel:DWORD dst_unused:UNUSED_PAD src0_sel:WORD_0 src1_sel:DWORD
	v_mul_u32_u24_sdwa v6, v6, v91 dst_sel:DWORD dst_unused:UNUSED_PAD src0_sel:WORD_1 src1_sel:DWORD
	v_pk_fma_f16 v13, v9, v15, v13
	v_pk_fma_f16 v5, v9, v5, v14
	v_pk_fma_f16 v11, v9, v16, v11
	v_pk_fma_f16 v6, v9, v6, v12
	v_mul_u32_u24_sdwa v9, v7, v91 dst_sel:DWORD dst_unused:UNUSED_PAD src0_sel:WORD_0 src1_sel:DWORD
	v_mul_u32_u24_sdwa v12, v7, v91 dst_sel:DWORD dst_unused:UNUSED_PAD src0_sel:WORD_1 src1_sel:DWORD
	v_mul_u32_u24_sdwa v14, v8, v91 dst_sel:DWORD dst_unused:UNUSED_PAD src0_sel:WORD_0 src1_sel:DWORD
	v_mul_u32_u24_sdwa v15, v8, v91 dst_sel:DWORD dst_unused:UNUSED_PAD src0_sel:WORD_1 src1_sel:DWORD
	v_pk_fma_f16 v7, v10, v9, v13
	v_pk_fma_f16 v8, v10, v12, v5
	v_pk_fma_f16 v9, v10, v14, v11
	v_pk_fma_f16 v10, v10, v15, v6
	ds_read2_b32 v[5:6], v106 offset0:128 offset1:160
	;; [unrolled: 19-line block ×3, first 2 shown]
	ds_read_b128 v[7:10], v81 offset:1008
	s_waitcnt lgkmcnt(0)
	s_barrier
	buffer_gl0_inv
	s_load_dword s15, s[0:1], 0x4
	v_mul_u32_u24_sdwa v15, v7, v91 dst_sel:DWORD dst_unused:UNUSED_PAD src0_sel:WORD_0 src1_sel:DWORD
	v_mul_u32_u24_sdwa v7, v7, v91 dst_sel:DWORD dst_unused:UNUSED_PAD src0_sel:WORD_1 src1_sel:DWORD
	v_mul_u32_u24_sdwa v16, v8, v91 dst_sel:DWORD dst_unused:UNUSED_PAD src0_sel:WORD_0 src1_sel:DWORD
	v_mul_u32_u24_sdwa v8, v8, v91 dst_sel:DWORD dst_unused:UNUSED_PAD src0_sel:WORD_1 src1_sel:DWORD
	s_waitcnt lgkmcnt(0)
	s_lshl_b32 s15, s15, 7
	v_pk_fma_f16 v14, v5, v15, v14
	v_pk_fma_f16 v11, v5, v7, v11
	;; [unrolled: 1-line block ×4, first 2 shown]
	v_mul_u32_u24_sdwa v8, v9, v91 dst_sel:DWORD dst_unused:UNUSED_PAD src0_sel:WORD_0 src1_sel:DWORD
	v_mul_u32_u24_sdwa v9, v9, v91 dst_sel:DWORD dst_unused:UNUSED_PAD src0_sel:WORD_1 src1_sel:DWORD
	v_mul_u32_u24_sdwa v13, v10, v91 dst_sel:DWORD dst_unused:UNUSED_PAD src0_sel:WORD_0 src1_sel:DWORD
	v_mul_u32_u24_sdwa v7, v10, v91 dst_sel:DWORD dst_unused:UNUSED_PAD src0_sel:WORD_1 src1_sel:DWORD
	s_add_i32 s6, s15, s6
	v_pk_fma_f16 v109, v6, v8, v14
	v_pk_fma_f16 v108, v6, v9, v11
	v_pk_fma_f16 v107, v6, v13, v12
	v_pk_fma_f16 v49, v6, v7, v5
	s_cmp_ge_i32 s6, s34
	s_cbranch_scc0 .LBB40_9
; %bb.10:
	v_mov_b32_e32 v6, v59
.LBB40_11:
	v_lshlrev_b32_e32 v15, 1, v0
	v_cmp_lt_i32_e32 vcc_lo, v67, v60
	s_cmp_lg_u64 s[16:17], 0
	s_cselect_b32 s0, -1, 0
	s_cmp_eq_u32 s28, 0
	v_cndmask_b32_e32 v5, v6, v67, vcc_lo
	v_cmp_lt_i32_e32 vcc_lo, v65, v60
	s_cselect_b32 s1, -1, 0
	s_and_b32 s0, s1, s0
	v_lshlrev_b32_e32 v5, 2, v5
	v_cndmask_b32_e32 v10, v6, v65, vcc_lo
	v_cmp_lt_i32_e32 vcc_lo, v64, v60
	ds_bpermute_b32 v7, v5, v110
	ds_bpermute_b32 v8, v5, v111
	;; [unrolled: 1-line block ×4, first 2 shown]
	v_lshlrev_b32_e32 v10, 2, v10
	v_cndmask_b32_e32 v14, v6, v64, vcc_lo
	v_cmp_lt_i32_e32 vcc_lo, v63, v60
	v_lshlrev_b32_e32 v14, 2, v14
	s_waitcnt lgkmcnt(3)
	v_add_f32_e32 v7, v110, v7
	s_waitcnt lgkmcnt(2)
	v_add_f32_e32 v8, v111, v8
	s_waitcnt lgkmcnt(1)
	v_add_f32_e32 v9, v112, v9
	s_waitcnt lgkmcnt(0)
	v_add_f32_e32 v5, v73, v5
	ds_bpermute_b32 v11, v10, v7
	ds_bpermute_b32 v12, v10, v8
	;; [unrolled: 1-line block ×4, first 2 shown]
	s_waitcnt lgkmcnt(3)
	v_add_f32_e32 v7, v7, v11
	s_waitcnt lgkmcnt(2)
	v_add_f32_e32 v8, v8, v12
	;; [unrolled: 2-line block ×4, first 2 shown]
	ds_bpermute_b32 v10, v14, v7
	ds_bpermute_b32 v11, v14, v8
	ds_bpermute_b32 v12, v14, v9
	ds_bpermute_b32 v13, v14, v5
	v_cndmask_b32_e32 v14, v6, v63, vcc_lo
	v_cmp_lt_i32_e32 vcc_lo, v61, v60
	v_lshlrev_b32_e32 v14, 2, v14
	v_cndmask_b32_e32 v6, v6, v61, vcc_lo
	s_and_b32 vcc_lo, exec_lo, s0
	v_lshlrev_b32_e32 v6, 2, v6
	s_waitcnt lgkmcnt(3)
	v_add_f32_e32 v7, v7, v10
	s_waitcnt lgkmcnt(2)
	v_add_f32_e32 v8, v8, v11
	;; [unrolled: 2-line block ×4, first 2 shown]
	ds_bpermute_b32 v10, v14, v7
	ds_bpermute_b32 v11, v14, v8
	;; [unrolled: 1-line block ×4, first 2 shown]
	s_waitcnt lgkmcnt(3)
	v_add_f32_e32 v7, v7, v10
	s_waitcnt lgkmcnt(2)
	v_add_f32_e32 v8, v8, v11
	;; [unrolled: 2-line block ×4, first 2 shown]
	ds_bpermute_b32 v5, v6, v7
	ds_bpermute_b32 v11, v6, v8
	;; [unrolled: 1-line block ×4, first 2 shown]
	s_waitcnt lgkmcnt(3)
	v_add_f32_e32 v5, v7, v5
	s_waitcnt lgkmcnt(2)
	v_add_f32_e32 v6, v8, v11
	;; [unrolled: 2-line block ×4, first 2 shown]
	s_cbranch_vccz .LBB40_13
; %bb.12:
	s_ashr_i32 s31, s30, 31
	v_mov_b32_e32 v9, 0
	s_lshl_b64 s[0:1], s[30:31], 2
	v_max_f32_e32 v10, v2, v2
	s_add_u32 s0, s16, s0
	s_addc_u32 s1, s17, s1
	v_max_f32_e32 v16, v3, v3
	global_load_dwordx2 v[13:14], v9, s[0:1]
	v_max_f32_e32 v9, v1, v1
	v_max_f32_e32 v17, v4, v4
	v_mov_b32_e32 v18, 0x10001
	s_waitcnt vmcnt(0)
	v_max_f32_e32 v11, v13, v13
	v_max_f32_e32 v12, v14, v14
	v_max_f32_e32 v9, v9, v11
	v_max_f32_e32 v10, v10, v12
	v_max_f32_e32 v11, v16, v11
	v_max_f32_e32 v12, v17, v12
	v_sub_f32_e32 v16, v1, v9
	v_sub_f32_e32 v19, v2, v10
	;; [unrolled: 1-line block ×4, first 2 shown]
	v_mov_b32_e32 v1, v9
	v_sub_f32_e32 v17, v13, v9
	v_mov_b32_e32 v2, v10
	v_mov_b32_e32 v3, v11
	;; [unrolled: 1-line block ×3, first 2 shown]
	v_mul_f32_e32 v9, 0x3fb8aa3b, v16
	v_sub_f32_e32 v20, v14, v10
	v_mul_f32_e32 v10, 0x3fb8aa3b, v17
	v_sub_f32_e32 v13, v13, v11
	v_mul_f32_e32 v11, 0x3fb8aa3b, v19
	v_fma_f32 v27, 0x3fb8aa3b, v16, -v9
	v_rndne_f32_e32 v28, v9
	v_fma_f32 v29, 0x3fb8aa3b, v17, -v10
	v_rndne_f32_e32 v30, v10
	v_sub_f32_e32 v14, v14, v12
	v_fmac_f32_e32 v27, 0x32a5705f, v16
	v_sub_f32_e32 v9, v9, v28
	v_mul_f32_e32 v12, 0x3fb8aa3b, v20
	v_fma_f32 v31, 0x3fb8aa3b, v19, -v11
	v_rndne_f32_e32 v32, v11
	v_fmac_f32_e32 v29, 0x32a5705f, v17
	v_sub_f32_e32 v10, v10, v30
	v_add_f32_e32 v9, v9, v27
	v_mul_f32_e32 v23, 0x3fb8aa3b, v21
	v_fma_f32 v33, 0x3fb8aa3b, v20, -v12
	v_rndne_f32_e32 v34, v12
	v_fmac_f32_e32 v31, 0x32a5705f, v19
	v_sub_f32_e32 v11, v11, v32
	v_add_f32_e32 v10, v10, v29
	v_exp_f32_e32 v9, v9
	v_mul_f32_e32 v24, 0x3fb8aa3b, v13
	v_fma_f32 v35, 0x3fb8aa3b, v21, -v23
	v_rndne_f32_e32 v36, v23
	v_cvt_i32_f32_e32 v28, v28
	v_fmac_f32_e32 v33, 0x32a5705f, v20
	v_sub_f32_e32 v12, v12, v34
	v_add_f32_e32 v11, v11, v31
	v_exp_f32_e32 v10, v10
	v_mul_f32_e32 v25, 0x3fb8aa3b, v22
	v_fma_f32 v37, 0x3fb8aa3b, v13, -v24
	v_rndne_f32_e32 v38, v24
	v_cvt_i32_f32_e32 v30, v30
	v_fmac_f32_e32 v35, 0x32a5705f, v21
	v_sub_f32_e32 v23, v23, v36
	v_add_f32_e32 v12, v12, v33
	v_exp_f32_e32 v11, v11
	v_ldexp_f32 v9, v9, v28
	v_cmp_ngt_f32_e32 vcc_lo, 0xc2ce8ed0, v16
	v_mul_f32_e32 v26, 0x3fb8aa3b, v14
	v_fma_f32 v39, 0x3fb8aa3b, v22, -v25
	v_rndne_f32_e32 v40, v25
	v_cvt_i32_f32_e32 v32, v32
	v_fmac_f32_e32 v37, 0x32a5705f, v13
	v_sub_f32_e32 v24, v24, v38
	v_add_f32_e32 v23, v23, v35
	v_exp_f32_e32 v12, v12
	v_ldexp_f32 v10, v10, v30
	v_cndmask_b32_e32 v9, 0, v9, vcc_lo
	v_cmp_ngt_f32_e32 vcc_lo, 0xc2ce8ed0, v17
	v_fma_f32 v41, 0x3fb8aa3b, v14, -v26
	v_rndne_f32_e32 v42, v26
	v_cvt_i32_f32_e32 v34, v34
	v_fmac_f32_e32 v39, 0x32a5705f, v22
	v_sub_f32_e32 v25, v25, v40
	v_add_f32_e32 v24, v24, v37
	v_exp_f32_e32 v23, v23
	v_ldexp_f32 v11, v11, v32
	v_cndmask_b32_e32 v10, 0, v10, vcc_lo
	v_cmp_ngt_f32_e32 vcc_lo, 0xc2ce8ed0, v19
	v_cvt_i32_f32_e32 v36, v36
	v_fmac_f32_e32 v41, 0x32a5705f, v14
	v_sub_f32_e32 v26, v26, v42
	v_add_f32_e32 v25, v25, v39
	v_exp_f32_e32 v24, v24
	v_ldexp_f32 v12, v12, v34
	v_cndmask_b32_e32 v11, 0, v11, vcc_lo
	v_cmp_ngt_f32_e32 vcc_lo, 0xc2ce8ed0, v20
	v_cvt_i32_f32_e32 v38, v38
	v_add_f32_e32 v26, v26, v41
	v_exp_f32_e32 v25, v25
	v_ldexp_f32 v23, v23, v36
	v_cndmask_b32_e32 v12, 0, v12, vcc_lo
	v_cmp_ngt_f32_e32 vcc_lo, 0xc2ce8ed0, v21
	v_exp_f32_e32 v26, v26
	v_cvt_i32_f32_e32 v27, v40
	v_ldexp_f32 v24, v24, v38
	v_cvt_i32_f32_e32 v29, v42
	v_cndmask_b32_e32 v23, 0, v23, vcc_lo
	v_cmp_ngt_f32_e32 vcc_lo, 0xc2ce8ed0, v13
	v_ldexp_f32 v25, v25, v27
	v_cndmask_b32_e32 v24, 0, v24, vcc_lo
	v_cmp_ngt_f32_e32 vcc_lo, 0xc2ce8ed0, v22
	v_ldexp_f32 v26, v26, v29
	v_cndmask_b32_e32 v25, 0, v25, vcc_lo
	v_cmp_ngt_f32_e32 vcc_lo, 0xc2ce8ed0, v14
	v_cndmask_b32_e32 v26, 0, v26, vcc_lo
	v_cmp_nlt_f32_e32 vcc_lo, 0x42b17218, v16
	v_cndmask_b32_e32 v16, 0x7f800000, v9, vcc_lo
	v_cmp_nlt_f32_e32 vcc_lo, 0x42b17218, v17
	;; [unrolled: 2-line block ×3, first 2 shown]
	v_fmac_f32_e32 v9, v5, v16
	v_cndmask_b32_e32 v17, 0x7f800000, v11, vcc_lo
	v_cmp_nlt_f32_e32 vcc_lo, 0x42b17218, v20
	v_cvt_f16_f32_e32 v5, v16
	v_cndmask_b32_e32 v10, 0x7f800000, v12, vcc_lo
	v_cmp_nlt_f32_e32 vcc_lo, 0x42b17218, v21
	v_fmac_f32_e32 v10, v6, v17
	v_cndmask_b32_e32 v19, 0x7f800000, v23, vcc_lo
	v_cmp_nlt_f32_e32 vcc_lo, 0x42b17218, v13
	v_cvt_f16_f32_e32 v6, v17
	v_cndmask_b32_e32 v11, 0x7f800000, v24, vcc_lo
	v_cmp_nlt_f32_e32 vcc_lo, 0x42b17218, v22
	v_fmac_f32_e32 v11, v7, v19
	v_cndmask_b32_e32 v13, 0x7f800000, v25, vcc_lo
	v_cmp_nlt_f32_e32 vcc_lo, 0x42b17218, v14
	v_cvt_f16_f32_e32 v7, v19
	v_cvt_f16_f32_e32 v14, v13
	v_cndmask_b32_e32 v12, 0x7f800000, v26, vcc_lo
	v_mul_u32_u24_sdwa v16, v7, v18 dst_sel:DWORD dst_unused:UNUSED_PAD src0_sel:WORD_0 src1_sel:DWORD
	v_mov_b32_e32 v7, v11
	v_mul_u32_u24_sdwa v14, v14, v18 dst_sel:DWORD dst_unused:UNUSED_PAD src0_sel:WORD_0 src1_sel:DWORD
	v_fmac_f32_e32 v12, v8, v13
	v_mul_u32_u24_sdwa v8, v5, v18 dst_sel:DWORD dst_unused:UNUSED_PAD src0_sel:WORD_0 src1_sel:DWORD
	v_mul_u32_u24_sdwa v13, v6, v18 dst_sel:DWORD dst_unused:UNUSED_PAD src0_sel:WORD_0 src1_sel:DWORD
	v_mov_b32_e32 v5, v9
	v_mov_b32_e32 v6, v10
	v_pk_mul_f16 v107, v107, v16
	v_pk_mul_f16 v109, v109, v8
	;; [unrolled: 1-line block ×4, first 2 shown]
	v_mov_b32_e32 v8, v12
	s_mov_b32 s0, exec_lo
	v_cmpx_gt_i32_e64 s2, v58
	s_cbranch_execnz .LBB40_14
	s_branch .LBB40_32
.LBB40_13:
	v_mov_b32_e32 v12, v8
	v_mov_b32_e32 v11, v7
	;; [unrolled: 1-line block ×4, first 2 shown]
	s_mov_b32 s0, exec_lo
	v_cmpx_gt_i32_e64 s2, v58
	s_cbranch_execz .LBB40_32
.LBB40_14:
	s_load_dword s1, s[4:5], 0xd4
	v_mov_b32_e32 v17, 1.0
	s_waitcnt lgkmcnt(0)
	s_cmp_lg_u32 s1, 1
	s_cselect_b32 s5, -1, 0
	s_cmp_eq_u32 s1, 1
	s_cselect_b32 s6, -1, 0
	s_and_b32 vcc_lo, exec_lo, s5
	s_cbranch_vccnz .LBB40_16
; %bb.15:
	v_div_scale_f32 v13, null, v5, v5, 1.0
	v_rcp_f32_e32 v14, v13
	v_fma_f32 v16, -v13, v14, 1.0
	v_fmac_f32_e32 v14, v16, v14
	v_div_scale_f32 v16, vcc_lo, 1.0, v5, 1.0
	v_mul_f32_e32 v17, v16, v14
	v_fma_f32 v18, -v13, v17, v16
	v_fmac_f32_e32 v17, v18, v14
	v_fma_f32 v13, -v13, v17, v16
	v_div_fmas_f32 v13, v13, v14, v17
	v_div_fixup_f32 v17, v13, v5, 1.0
.LBB40_16:
	s_mul_i32 s4, s7, s2
	v_mov_b32_e32 v19, 0
	s_add_i32 s4, s4, s14
	v_cmp_eq_u32_e32 vcc_lo, 0, v0
	v_add_nc_u32_e32 v5, s4, v57
	s_and_b32 s5, vcc_lo, s5
	v_mul_lo_u32 v16, v5, s3
	v_add_nc_u32_e32 v5, s30, v16
	v_mad_u64_u32 v[13:14], null, s1, v5, s[28:29]
	v_cvt_f32_f16_e32 v5, v109
	v_cvt_f32_f16_sdwa v14, v109 dst_sel:DWORD dst_unused:UNUSED_PAD src0_sel:WORD_1
	v_mul_f32_e32 v20, v17, v5
	v_lshl_add_u32 v18, v13, 6, v15
	v_mul_f32_e32 v21, v17, v14
	v_lshlrev_b64 v[18:19], 2, v[18:19]
	v_add_co_u32 v17, s0, s20, v18
	v_add_co_ci_u32_e64 v18, null, s21, v19, s0
	global_store_dwordx2 v[17:18], v[20:21], off
	s_and_saveexec_b32 s0, s5
	s_cbranch_execz .LBB40_18
; %bb.17:
	v_ashrrev_i32_e32 v14, 31, v13
	v_mov_b32_e32 v0, v1
	v_mov_b32_e32 v1, v9
	v_lshlrev_b64 v[13:14], 3, v[13:14]
	v_add_co_u32 v13, vcc_lo, s22, v13
	v_add_co_ci_u32_e64 v14, null, s23, v14, vcc_lo
	global_store_dwordx2 v[13:14], v[0:1], off
.LBB40_18:
	s_or_b32 exec_lo, exec_lo, s0
	v_cndmask_b32_e64 v5, 0, 1, s6
	v_mov_b32_e32 v9, 1.0
	s_andn2_b32 vcc_lo, exec_lo, s6
	s_cbranch_vccnz .LBB40_20
; %bb.19:
	v_div_scale_f32 v0, null, v6, v6, 1.0
	v_rcp_f32_e32 v1, v0
	v_fma_f32 v9, -v0, v1, 1.0
	v_fmac_f32_e32 v1, v9, v1
	v_div_scale_f32 v9, vcc_lo, 1.0, v6, 1.0
	v_mul_f32_e32 v13, v9, v1
	v_fma_f32 v14, -v0, v13, v9
	v_fmac_f32_e32 v13, v14, v1
	v_fma_f32 v0, -v0, v13, v9
	v_div_fmas_f32 v0, v0, v1, v13
	v_div_fixup_f32 v9, v0, v6, 1.0
.LBB40_20:
	s_add_i32 s0, s30, 1
	v_mov_b32_e32 v14, 0
	v_add_nc_u32_e32 v0, s0, v16
	v_cvt_f32_f16_sdwa v6, v108 dst_sel:DWORD dst_unused:UNUSED_PAD src0_sel:WORD_1
	v_mad_u64_u32 v[0:1], null, s1, v0, s[28:29]
	v_cvt_f32_f16_e32 v1, v108
	v_mul_f32_e32 v17, v9, v6
	v_mul_f32_e32 v16, v9, v1
	v_lshl_add_u32 v13, v0, 6, v15
	v_lshlrev_b64 v[13:14], 2, v[13:14]
	v_add_co_u32 v13, vcc_lo, s20, v13
	v_add_co_ci_u32_e64 v14, null, s21, v14, vcc_lo
	global_store_dwordx2 v[13:14], v[16:17], off
	s_and_saveexec_b32 s6, s5
	s_cbranch_execz .LBB40_22
; %bb.21:
	v_ashrrev_i32_e32 v1, 31, v0
	v_mov_b32_e32 v9, v2
	v_lshlrev_b64 v[0:1], 3, v[0:1]
	v_add_co_u32 v0, vcc_lo, s22, v0
	v_add_co_ci_u32_e64 v1, null, s23, v1, vcc_lo
	global_store_dwordx2 v[0:1], v[9:10], off
.LBB40_22:
	s_or_b32 exec_lo, exec_lo, s6
	v_cmp_gt_i32_e32 vcc_lo, s2, v56
	s_and_b32 exec_lo, exec_lo, vcc_lo
	s_cbranch_execz .LBB40_32
; %bb.23:
	v_cmp_ne_u32_e32 vcc_lo, 1, v5
	v_mov_b32_e32 v2, 1.0
	s_cbranch_vccnz .LBB40_25
; %bb.24:
	v_div_scale_f32 v0, null, v7, v7, 1.0
	v_rcp_f32_e32 v1, v0
	v_fma_f32 v2, -v0, v1, 1.0
	v_fmac_f32_e32 v1, v2, v1
	v_div_scale_f32 v2, vcc_lo, 1.0, v7, 1.0
	v_mul_f32_e32 v6, v2, v1
	v_fma_f32 v9, -v0, v6, v2
	v_fmac_f32_e32 v6, v9, v1
	v_fma_f32 v0, -v0, v6, v2
	v_div_fmas_f32 v0, v0, v1, v6
	v_div_fixup_f32 v2, v0, v7, 1.0
.LBB40_25:
	v_add_nc_u32_e32 v0, s4, v55
	v_mov_b32_e32 v7, 0
	v_cvt_f32_f16_sdwa v9, v107 dst_sel:DWORD dst_unused:UNUSED_PAD src0_sel:WORD_1
	v_mad_u64_u32 v[0:1], null, v0, s3, s[30:31]
	v_mad_u64_u32 v[0:1], null, s1, v0, s[28:29]
	v_cvt_f32_f16_e32 v1, v107
	v_mul_f32_e32 v1, v2, v1
	v_lshl_add_u32 v6, v0, 6, v15
	v_mul_f32_e32 v2, v2, v9
	v_lshlrev_b64 v[6:7], 2, v[6:7]
	v_add_co_u32 v6, vcc_lo, s20, v6
	v_add_co_ci_u32_e64 v7, null, s21, v7, vcc_lo
	global_store_dwordx2 v[6:7], v[1:2], off
	s_and_saveexec_b32 s6, s5
	s_cbranch_execz .LBB40_27
; %bb.26:
	v_ashrrev_i32_e32 v1, 31, v0
	v_mov_b32_e32 v10, v3
	v_lshlrev_b64 v[0:1], 3, v[0:1]
	v_add_co_u32 v0, vcc_lo, s22, v0
	v_add_co_ci_u32_e64 v1, null, s23, v1, vcc_lo
	global_store_dwordx2 v[0:1], v[10:11], off
.LBB40_27:
	s_or_b32 exec_lo, exec_lo, s6
	v_cmp_gt_i32_e32 vcc_lo, s2, v54
	s_and_b32 exec_lo, exec_lo, vcc_lo
	s_cbranch_execz .LBB40_32
; %bb.28:
	v_cmp_ne_u32_e32 vcc_lo, 1, v5
	v_mov_b32_e32 v2, 1.0
	s_cbranch_vccnz .LBB40_30
; %bb.29:
	v_div_scale_f32 v0, null, v8, v8, 1.0
	v_rcp_f32_e32 v1, v0
	v_fma_f32 v2, -v0, v1, 1.0
	v_fmac_f32_e32 v1, v2, v1
	v_div_scale_f32 v2, vcc_lo, 1.0, v8, 1.0
	v_mul_f32_e32 v3, v2, v1
	v_fma_f32 v5, -v0, v3, v2
	v_fmac_f32_e32 v3, v5, v1
	v_fma_f32 v0, -v0, v3, v2
	v_div_fmas_f32 v0, v0, v1, v3
	v_div_fixup_f32 v2, v0, v8, 1.0
.LBB40_30:
	v_add_nc_u32_e32 v0, s4, v53
	v_mov_b32_e32 v6, 0
	v_cvt_f32_f16_sdwa v3, v49 dst_sel:DWORD dst_unused:UNUSED_PAD src0_sel:WORD_1
	v_mad_u64_u32 v[0:1], null, v0, s3, s[0:1]
	v_mad_u64_u32 v[0:1], null, s1, v0, s[28:29]
	v_cvt_f32_f16_e32 v1, v49
	v_mul_f32_e32 v1, v2, v1
	v_lshl_add_u32 v5, v0, 6, v15
	v_mul_f32_e32 v2, v2, v3
	v_lshlrev_b64 v[5:6], 2, v[5:6]
	v_add_co_u32 v5, vcc_lo, s20, v5
	v_add_co_ci_u32_e64 v6, null, s21, v6, vcc_lo
	global_store_dwordx2 v[5:6], v[1:2], off
	s_and_b32 exec_lo, exec_lo, s5
	s_cbranch_execz .LBB40_32
; %bb.31:
	v_ashrrev_i32_e32 v1, 31, v0
	v_mov_b32_e32 v11, v4
	v_lshlrev_b64 v[0:1], 3, v[0:1]
	v_add_co_u32 v0, vcc_lo, s22, v0
	v_add_co_ci_u32_e64 v1, null, s23, v1, vcc_lo
	global_store_dwordx2 v[0:1], v[11:12], off
	s_endpgm
.LBB40_32:
	s_endpgm
	.section	.rodata,"a",@progbits
	.p2align	6, 0x0
	.amdhsa_kernel _ZL15flash_attn_tileILi64ELi64ELi8ELi2ELb0EEvPKcS1_S1_S1_S1_PKiPfP15HIP_vector_typeIfLj2EEffffjfiS5_IjLj3EEiiiiiiiiiiiliiliiiiil
		.amdhsa_group_segment_fixed_size 24576
		.amdhsa_private_segment_fixed_size 0
		.amdhsa_kernarg_size 464
		.amdhsa_user_sgpr_count 6
		.amdhsa_user_sgpr_private_segment_buffer 1
		.amdhsa_user_sgpr_dispatch_ptr 0
		.amdhsa_user_sgpr_queue_ptr 0
		.amdhsa_user_sgpr_kernarg_segment_ptr 1
		.amdhsa_user_sgpr_dispatch_id 0
		.amdhsa_user_sgpr_flat_scratch_init 0
		.amdhsa_user_sgpr_private_segment_size 0
		.amdhsa_wavefront_size32 1
		.amdhsa_uses_dynamic_stack 0
		.amdhsa_system_sgpr_private_segment_wavefront_offset 0
		.amdhsa_system_sgpr_workgroup_id_x 1
		.amdhsa_system_sgpr_workgroup_id_y 1
		.amdhsa_system_sgpr_workgroup_id_z 1
		.amdhsa_system_sgpr_workgroup_info 0
		.amdhsa_system_vgpr_workitem_id 1
		.amdhsa_next_free_vgpr 161
		.amdhsa_next_free_sgpr 43
		.amdhsa_reserve_vcc 1
		.amdhsa_reserve_flat_scratch 0
		.amdhsa_float_round_mode_32 0
		.amdhsa_float_round_mode_16_64 0
		.amdhsa_float_denorm_mode_32 3
		.amdhsa_float_denorm_mode_16_64 3
		.amdhsa_dx10_clamp 1
		.amdhsa_ieee_mode 1
		.amdhsa_fp16_overflow 0
		.amdhsa_workgroup_processor_mode 1
		.amdhsa_memory_ordered 1
		.amdhsa_forward_progress 1
		.amdhsa_shared_vgpr_count 0
		.amdhsa_exception_fp_ieee_invalid_op 0
		.amdhsa_exception_fp_denorm_src 0
		.amdhsa_exception_fp_ieee_div_zero 0
		.amdhsa_exception_fp_ieee_overflow 0
		.amdhsa_exception_fp_ieee_underflow 0
		.amdhsa_exception_fp_ieee_inexact 0
		.amdhsa_exception_int_div_zero 0
	.end_amdhsa_kernel
	.section	.text._ZL15flash_attn_tileILi64ELi64ELi8ELi2ELb0EEvPKcS1_S1_S1_S1_PKiPfP15HIP_vector_typeIfLj2EEffffjfiS5_IjLj3EEiiiiiiiiiiiliiliiiiil,"axG",@progbits,_ZL15flash_attn_tileILi64ELi64ELi8ELi2ELb0EEvPKcS1_S1_S1_S1_PKiPfP15HIP_vector_typeIfLj2EEffffjfiS5_IjLj3EEiiiiiiiiiiiliiliiiiil,comdat
.Lfunc_end40:
	.size	_ZL15flash_attn_tileILi64ELi64ELi8ELi2ELb0EEvPKcS1_S1_S1_S1_PKiPfP15HIP_vector_typeIfLj2EEffffjfiS5_IjLj3EEiiiiiiiiiiiliiliiiiil, .Lfunc_end40-_ZL15flash_attn_tileILi64ELi64ELi8ELi2ELb0EEvPKcS1_S1_S1_S1_PKiPfP15HIP_vector_typeIfLj2EEffffjfiS5_IjLj3EEiiiiiiiiiiiliiliiiiil
                                        ; -- End function
	.set _ZL15flash_attn_tileILi64ELi64ELi8ELi2ELb0EEvPKcS1_S1_S1_S1_PKiPfP15HIP_vector_typeIfLj2EEffffjfiS5_IjLj3EEiiiiiiiiiiiliiliiiiil.num_vgpr, 152
	.set _ZL15flash_attn_tileILi64ELi64ELi8ELi2ELb0EEvPKcS1_S1_S1_S1_PKiPfP15HIP_vector_typeIfLj2EEffffjfiS5_IjLj3EEiiiiiiiiiiiliiliiiiil.num_agpr, 0
	.set _ZL15flash_attn_tileILi64ELi64ELi8ELi2ELb0EEvPKcS1_S1_S1_S1_PKiPfP15HIP_vector_typeIfLj2EEffffjfiS5_IjLj3EEiiiiiiiiiiiliiliiiiil.numbered_sgpr, 43
	.set _ZL15flash_attn_tileILi64ELi64ELi8ELi2ELb0EEvPKcS1_S1_S1_S1_PKiPfP15HIP_vector_typeIfLj2EEffffjfiS5_IjLj3EEiiiiiiiiiiiliiliiiiil.num_named_barrier, 0
	.set _ZL15flash_attn_tileILi64ELi64ELi8ELi2ELb0EEvPKcS1_S1_S1_S1_PKiPfP15HIP_vector_typeIfLj2EEffffjfiS5_IjLj3EEiiiiiiiiiiiliiliiiiil.private_seg_size, 0
	.set _ZL15flash_attn_tileILi64ELi64ELi8ELi2ELb0EEvPKcS1_S1_S1_S1_PKiPfP15HIP_vector_typeIfLj2EEffffjfiS5_IjLj3EEiiiiiiiiiiiliiliiiiil.uses_vcc, 1
	.set _ZL15flash_attn_tileILi64ELi64ELi8ELi2ELb0EEvPKcS1_S1_S1_S1_PKiPfP15HIP_vector_typeIfLj2EEffffjfiS5_IjLj3EEiiiiiiiiiiiliiliiiiil.uses_flat_scratch, 0
	.set _ZL15flash_attn_tileILi64ELi64ELi8ELi2ELb0EEvPKcS1_S1_S1_S1_PKiPfP15HIP_vector_typeIfLj2EEffffjfiS5_IjLj3EEiiiiiiiiiiiliiliiiiil.has_dyn_sized_stack, 0
	.set _ZL15flash_attn_tileILi64ELi64ELi8ELi2ELb0EEvPKcS1_S1_S1_S1_PKiPfP15HIP_vector_typeIfLj2EEffffjfiS5_IjLj3EEiiiiiiiiiiiliiliiiiil.has_recursion, 0
	.set _ZL15flash_attn_tileILi64ELi64ELi8ELi2ELb0EEvPKcS1_S1_S1_S1_PKiPfP15HIP_vector_typeIfLj2EEffffjfiS5_IjLj3EEiiiiiiiiiiiliiliiiiil.has_indirect_call, 0
	.section	.AMDGPU.csdata,"",@progbits
; Kernel info:
; codeLenInByte = 29004
; TotalNumSgprs: 45
; NumVgprs: 152
; ScratchSize: 0
; MemoryBound: 0
; FloatMode: 240
; IeeeMode: 1
; LDSByteSize: 24576 bytes/workgroup (compile time only)
; SGPRBlocks: 0
; VGPRBlocks: 20
; NumSGPRsForWavesPerEU: 45
; NumVGPRsForWavesPerEU: 161
; Occupancy: 5
; WaveLimiterHint : 1
; COMPUTE_PGM_RSRC2:SCRATCH_EN: 0
; COMPUTE_PGM_RSRC2:USER_SGPR: 6
; COMPUTE_PGM_RSRC2:TRAP_HANDLER: 0
; COMPUTE_PGM_RSRC2:TGID_X_EN: 1
; COMPUTE_PGM_RSRC2:TGID_Y_EN: 1
; COMPUTE_PGM_RSRC2:TGID_Z_EN: 1
; COMPUTE_PGM_RSRC2:TIDIG_COMP_CNT: 1
	.section	.text._ZL33flash_attn_stream_k_fixup_uniformILi64ELi8ELi2EEvPfPK15HIP_vector_typeIfLj2EEiiiiiiS1_IjLj3EES5_S5_,"axG",@progbits,_ZL33flash_attn_stream_k_fixup_uniformILi64ELi8ELi2EEvPfPK15HIP_vector_typeIfLj2EEiiiiiiS1_IjLj3EES5_S5_,comdat
	.globl	_ZL33flash_attn_stream_k_fixup_uniformILi64ELi8ELi2EEvPfPK15HIP_vector_typeIfLj2EEiiiiiiS1_IjLj3EES5_S5_ ; -- Begin function _ZL33flash_attn_stream_k_fixup_uniformILi64ELi8ELi2EEvPfPK15HIP_vector_typeIfLj2EEiiiiiiS1_IjLj3EES5_S5_
	.p2align	8
	.type	_ZL33flash_attn_stream_k_fixup_uniformILi64ELi8ELi2EEvPfPK15HIP_vector_typeIfLj2EEiiiiiiS1_IjLj3EES5_S5_,@function
_ZL33flash_attn_stream_k_fixup_uniformILi64ELi8ELi2EEvPfPK15HIP_vector_typeIfLj2EEiiiiiiS1_IjLj3EES5_S5_: ; @_ZL33flash_attn_stream_k_fixup_uniformILi64ELi8ELi2EEvPfPK15HIP_vector_typeIfLj2EEiiiiiiS1_IjLj3EES5_S5_
; %bb.0:
	s_clause 0x2
	s_load_dwordx8 s[12:19], s[4:5], 0x1c
	s_load_dwordx4 s[20:23], s[4:5], 0x3c
	s_load_dwordx2 s[10:11], s[4:5], 0x10
	s_waitcnt lgkmcnt(0)
	s_mul_hi_u32 s0, s15, s6
	s_add_i32 s0, s6, s0
	s_lshr_b32 s0, s0, s16
	s_mul_i32 s1, s0, s17
	s_sub_i32 s2, s6, s1
	s_mul_hi_u32 s1, s2, s18
	s_add_i32 s1, s2, s1
	s_lshr_b32 s1, s1, s19
	s_mul_i32 s3, s1, s20
	s_sub_i32 s2, s2, s3
	s_mul_hi_u32 s3, s2, s21
	s_add_i32 s3, s2, s3
	s_lshr_b32 s3, s3, s22
	s_mul_i32 s9, s3, s23
	s_lshl_b32 s15, s3, 1
	s_sub_i32 s9, s2, s9
	s_lshl_b32 s2, s9, 3
	s_add_i32 s2, s2, s7
	s_cmp_lt_i32 s2, s10
	s_cselect_b32 s2, -1, 0
	s_add_i32 s3, s15, s8
	s_cmp_lt_i32 s3, s13
	s_cselect_b32 s3, -1, 0
	s_and_b32 s2, s2, s3
	s_andn2_b32 vcc_lo, exec_lo, s2
	s_cbranch_vccnz .LBB41_6
; %bb.1:
	s_mul_i32 s0, s0, s10
	s_mul_i32 s10, s1, s13
	s_add_i32 s0, s0, s7
	s_mul_i32 s0, s0, s11
	s_add_i32 s13, s0, s8
	s_load_dwordx4 s[0:3], s[4:5], 0x0
	s_add_i32 s4, s13, s10
	s_mul_i32 s5, s11, s9
	s_add_i32 s4, s4, s15
	s_lshl_b32 s5, s5, 9
	s_lshl_b32 s4, s4, 6
	;; [unrolled: 1-line block ×3, first 2 shown]
	s_add_i32 s5, s5, s4
	s_mul_i32 s4, s14, s6
	v_or_b32_e32 v1, s5, v0
	s_add_i32 s11, s4, s14
	v_ashrrev_i32_e32 v2, 31, v1
	v_lshlrev_b64 v[1:2], 2, v[1:2]
	s_waitcnt lgkmcnt(0)
	v_add_co_u32 v1, vcc_lo, s0, v1
	v_add_co_ci_u32_e64 v2, null, s1, v2, vcc_lo
	s_add_i32 s0, s10, s8
	s_lshl_b32 s1, s11, 4
	s_add_i32 s0, s0, s1
	global_load_dword v5, v[1:2], off
	s_add_i32 s0, s0, -16
	s_ashr_i32 s1, s0, 31
	s_lshl_b64 s[0:1], s[0:1], 3
	s_add_u32 s0, s2, s0
	s_addc_u32 s1, s3, s1
	s_add_i32 s5, s11, -2
	s_load_dword s13, s[0:1], 0x4
	s_cmp_lt_i32 s5, s4
	s_cbranch_scc1 .LBB41_4
; %bb.2:
	s_lshl_b32 s16, s12, 6
	s_load_dword s15, s[0:1], 0x0
	s_ashr_i32 s17, s16, 31
	s_waitcnt lgkmcnt(0)
	v_mov_b32_e32 v6, s13
	s_lshl_b64 s[0:1], s[16:17], 2
	s_add_u32 s5, s2, s0
	s_addc_u32 s9, s3, s1
	s_add_i32 s6, s6, 1
	s_lshl_b32 s0, s7, 7
	s_lshl_b32 s1, s8, 6
	s_mul_i32 s6, s14, s6
	s_add_i32 s0, s1, s0
	s_lshl_b32 s1, s6, 10
	s_add_i32 s0, s0, s1
	s_lshl_b32 s1, s6, 4
	v_or_b32_e32 v0, s0, v0
	s_lshl_b32 s0, s12, 4
	s_add_i32 s1, s8, s1
	s_add_i32 s6, s11, -1
	s_add_i32 s0, s1, s0
	v_add_nc_u32_e32 v3, 0xfffff800, v0
	v_mov_b32_e32 v0, s15
	s_add_i32 s0, s0, s10
	s_sub_i32 s0, s0, 32
.LBB41_3:                               ; =>This Inner Loop Header: Depth=1
	v_ashrrev_i32_e32 v4, 31, v3
	s_ashr_i32 s1, s0, 31
	s_lshl_b64 s[10:11], s[0:1], 3
	s_add_u32 s10, s2, s10
	v_lshlrev_b64 v[7:8], 2, v[3:4]
	s_addc_u32 s11, s3, s11
	v_add_nc_u32_e32 v3, 0xfffffc00, v3
	s_add_i32 s6, s6, -1
	s_add_i32 s0, s0, -16
	s_cmp_le_i32 s6, s4
	v_add_co_u32 v7, vcc_lo, s5, v7
	v_add_co_ci_u32_e64 v8, null, s9, v8, vcc_lo
	s_load_dwordx2 s[10:11], s[10:11], 0x0
	global_load_dword v4, v[7:8], off
	v_max_f32_e32 v7, v0, v0
	s_waitcnt lgkmcnt(0)
	v_max_f32_e64 v8, s10, s10
	v_max_f32_e32 v7, v7, v8
	v_sub_f32_e32 v8, s10, v7
	v_sub_f32_e32 v0, v0, v7
	v_mul_f32_e32 v9, 0x3fb8aa3b, v8
	v_mul_f32_e32 v12, 0x3fb8aa3b, v0
	v_cmp_ngt_f32_e32 vcc_lo, 0xc2ce8ed0, v8
	v_fma_f32 v10, 0x3fb8aa3b, v8, -v9
	v_rndne_f32_e32 v11, v9
	v_fma_f32 v13, 0x3fb8aa3b, v0, -v12
	v_rndne_f32_e32 v14, v12
	v_fmac_f32_e32 v10, 0x32a5705f, v8
	v_sub_f32_e32 v9, v9, v11
	v_fmac_f32_e32 v13, 0x32a5705f, v0
	v_cvt_i32_f32_e32 v11, v11
	v_add_f32_e32 v9, v9, v10
	v_sub_f32_e32 v10, v12, v14
	v_exp_f32_e32 v9, v9
	v_add_f32_e32 v10, v10, v13
	v_exp_f32_e32 v10, v10
	v_ldexp_f32 v9, v9, v11
	v_cvt_i32_f32_e32 v11, v14
	v_cndmask_b32_e32 v9, 0, v9, vcc_lo
	v_cmp_nlt_f32_e32 vcc_lo, 0x42b17218, v8
	v_ldexp_f32 v10, v10, v11
	v_mov_b32_e32 v11, v6
	v_cndmask_b32_e32 v9, 0x7f800000, v9, vcc_lo
	v_cmp_ngt_f32_e32 vcc_lo, 0xc2ce8ed0, v0
	v_cndmask_b32_e32 v10, 0, v10, vcc_lo
	v_cmp_le_f32_e32 vcc_lo, 0xc1a00000, v8
	v_cndmask_b32_e32 v8, 0, v9, vcc_lo
	v_cmp_nlt_f32_e32 vcc_lo, 0x42b17218, v0
	s_waitcnt vmcnt(1)
	v_mov_b32_e32 v9, v5
	v_cndmask_b32_e32 v5, 0x7f800000, v10, vcc_lo
	v_mul_f32_e32 v10, s11, v8
	v_cmp_le_f32_e32 vcc_lo, 0xc1a00000, v0
	v_mov_b32_e32 v0, v7
	v_mov_b32_e32 v6, v10
	v_cndmask_b32_e32 v12, 0, v5, vcc_lo
	v_fmac_f32_e32 v6, v11, v12
	s_waitcnt vmcnt(0)
	v_mul_f32_e32 v5, v4, v8
	v_fmac_f32_e32 v5, v9, v12
	s_cbranch_scc0 .LBB41_3
	s_branch .LBB41_5
.LBB41_4:
	s_waitcnt lgkmcnt(0)
	v_mov_b32_e32 v6, s13
.LBB41_5:
	s_waitcnt vmcnt(0)
	v_div_scale_f32 v0, null, v6, v6, v5
	v_rcp_f32_e32 v3, v0
	v_fma_f32 v4, -v0, v3, 1.0
	v_fmac_f32_e32 v3, v4, v3
	v_div_scale_f32 v4, vcc_lo, v5, v6, v5
	v_mul_f32_e32 v7, v4, v3
	v_fma_f32 v8, -v0, v7, v4
	v_fmac_f32_e32 v7, v8, v3
	v_fma_f32 v0, -v0, v7, v4
	v_div_fmas_f32 v0, v0, v3, v7
	v_div_fixup_f32 v0, v0, v6, v5
	global_store_dword v[1:2], v0, off
.LBB41_6:
	s_endpgm
	.section	.rodata,"a",@progbits
	.p2align	6, 0x0
	.amdhsa_kernel _ZL33flash_attn_stream_k_fixup_uniformILi64ELi8ELi2EEvPfPK15HIP_vector_typeIfLj2EEiiiiiiS1_IjLj3EES5_S5_
		.amdhsa_group_segment_fixed_size 0
		.amdhsa_private_segment_fixed_size 0
		.amdhsa_kernarg_size 76
		.amdhsa_user_sgpr_count 6
		.amdhsa_user_sgpr_private_segment_buffer 1
		.amdhsa_user_sgpr_dispatch_ptr 0
		.amdhsa_user_sgpr_queue_ptr 0
		.amdhsa_user_sgpr_kernarg_segment_ptr 1
		.amdhsa_user_sgpr_dispatch_id 0
		.amdhsa_user_sgpr_flat_scratch_init 0
		.amdhsa_user_sgpr_private_segment_size 0
		.amdhsa_wavefront_size32 1
		.amdhsa_uses_dynamic_stack 0
		.amdhsa_system_sgpr_private_segment_wavefront_offset 0
		.amdhsa_system_sgpr_workgroup_id_x 1
		.amdhsa_system_sgpr_workgroup_id_y 1
		.amdhsa_system_sgpr_workgroup_id_z 1
		.amdhsa_system_sgpr_workgroup_info 0
		.amdhsa_system_vgpr_workitem_id 0
		.amdhsa_next_free_vgpr 15
		.amdhsa_next_free_sgpr 24
		.amdhsa_reserve_vcc 1
		.amdhsa_reserve_flat_scratch 0
		.amdhsa_float_round_mode_32 0
		.amdhsa_float_round_mode_16_64 0
		.amdhsa_float_denorm_mode_32 3
		.amdhsa_float_denorm_mode_16_64 3
		.amdhsa_dx10_clamp 1
		.amdhsa_ieee_mode 1
		.amdhsa_fp16_overflow 0
		.amdhsa_workgroup_processor_mode 1
		.amdhsa_memory_ordered 1
		.amdhsa_forward_progress 1
		.amdhsa_shared_vgpr_count 0
		.amdhsa_exception_fp_ieee_invalid_op 0
		.amdhsa_exception_fp_denorm_src 0
		.amdhsa_exception_fp_ieee_div_zero 0
		.amdhsa_exception_fp_ieee_overflow 0
		.amdhsa_exception_fp_ieee_underflow 0
		.amdhsa_exception_fp_ieee_inexact 0
		.amdhsa_exception_int_div_zero 0
	.end_amdhsa_kernel
	.section	.text._ZL33flash_attn_stream_k_fixup_uniformILi64ELi8ELi2EEvPfPK15HIP_vector_typeIfLj2EEiiiiiiS1_IjLj3EES5_S5_,"axG",@progbits,_ZL33flash_attn_stream_k_fixup_uniformILi64ELi8ELi2EEvPfPK15HIP_vector_typeIfLj2EEiiiiiiS1_IjLj3EES5_S5_,comdat
.Lfunc_end41:
	.size	_ZL33flash_attn_stream_k_fixup_uniformILi64ELi8ELi2EEvPfPK15HIP_vector_typeIfLj2EEiiiiiiS1_IjLj3EES5_S5_, .Lfunc_end41-_ZL33flash_attn_stream_k_fixup_uniformILi64ELi8ELi2EEvPfPK15HIP_vector_typeIfLj2EEiiiiiiS1_IjLj3EES5_S5_
                                        ; -- End function
	.set _ZL33flash_attn_stream_k_fixup_uniformILi64ELi8ELi2EEvPfPK15HIP_vector_typeIfLj2EEiiiiiiS1_IjLj3EES5_S5_.num_vgpr, 15
	.set _ZL33flash_attn_stream_k_fixup_uniformILi64ELi8ELi2EEvPfPK15HIP_vector_typeIfLj2EEiiiiiiS1_IjLj3EES5_S5_.num_agpr, 0
	.set _ZL33flash_attn_stream_k_fixup_uniformILi64ELi8ELi2EEvPfPK15HIP_vector_typeIfLj2EEiiiiiiS1_IjLj3EES5_S5_.numbered_sgpr, 24
	.set _ZL33flash_attn_stream_k_fixup_uniformILi64ELi8ELi2EEvPfPK15HIP_vector_typeIfLj2EEiiiiiiS1_IjLj3EES5_S5_.num_named_barrier, 0
	.set _ZL33flash_attn_stream_k_fixup_uniformILi64ELi8ELi2EEvPfPK15HIP_vector_typeIfLj2EEiiiiiiS1_IjLj3EES5_S5_.private_seg_size, 0
	.set _ZL33flash_attn_stream_k_fixup_uniformILi64ELi8ELi2EEvPfPK15HIP_vector_typeIfLj2EEiiiiiiS1_IjLj3EES5_S5_.uses_vcc, 1
	.set _ZL33flash_attn_stream_k_fixup_uniformILi64ELi8ELi2EEvPfPK15HIP_vector_typeIfLj2EEiiiiiiS1_IjLj3EES5_S5_.uses_flat_scratch, 0
	.set _ZL33flash_attn_stream_k_fixup_uniformILi64ELi8ELi2EEvPfPK15HIP_vector_typeIfLj2EEiiiiiiS1_IjLj3EES5_S5_.has_dyn_sized_stack, 0
	.set _ZL33flash_attn_stream_k_fixup_uniformILi64ELi8ELi2EEvPfPK15HIP_vector_typeIfLj2EEiiiiiiS1_IjLj3EES5_S5_.has_recursion, 0
	.set _ZL33flash_attn_stream_k_fixup_uniformILi64ELi8ELi2EEvPfPK15HIP_vector_typeIfLj2EEiiiiiiS1_IjLj3EES5_S5_.has_indirect_call, 0
	.section	.AMDGPU.csdata,"",@progbits
; Kernel info:
; codeLenInByte = 848
; TotalNumSgprs: 26
; NumVgprs: 15
; ScratchSize: 0
; MemoryBound: 0
; FloatMode: 240
; IeeeMode: 1
; LDSByteSize: 0 bytes/workgroup (compile time only)
; SGPRBlocks: 0
; VGPRBlocks: 1
; NumSGPRsForWavesPerEU: 26
; NumVGPRsForWavesPerEU: 15
; Occupancy: 16
; WaveLimiterHint : 0
; COMPUTE_PGM_RSRC2:SCRATCH_EN: 0
; COMPUTE_PGM_RSRC2:USER_SGPR: 6
; COMPUTE_PGM_RSRC2:TRAP_HANDLER: 0
; COMPUTE_PGM_RSRC2:TGID_X_EN: 1
; COMPUTE_PGM_RSRC2:TGID_Y_EN: 1
; COMPUTE_PGM_RSRC2:TGID_Z_EN: 1
; COMPUTE_PGM_RSRC2:TIDIG_COMP_CNT: 0
	.section	.text._ZL33flash_attn_stream_k_fixup_generalILi64ELi8ELi2EEvPfPK15HIP_vector_typeIfLj2EEiiiiS1_IjLj3EES5_S5_S5_,"axG",@progbits,_ZL33flash_attn_stream_k_fixup_generalILi64ELi8ELi2EEvPfPK15HIP_vector_typeIfLj2EEiiiiS1_IjLj3EES5_S5_S5_,comdat
	.globl	_ZL33flash_attn_stream_k_fixup_generalILi64ELi8ELi2EEvPfPK15HIP_vector_typeIfLj2EEiiiiS1_IjLj3EES5_S5_S5_ ; -- Begin function _ZL33flash_attn_stream_k_fixup_generalILi64ELi8ELi2EEvPfPK15HIP_vector_typeIfLj2EEiiiiS1_IjLj3EES5_S5_S5_
	.p2align	8
	.type	_ZL33flash_attn_stream_k_fixup_generalILi64ELi8ELi2EEvPfPK15HIP_vector_typeIfLj2EEiiiiS1_IjLj3EES5_S5_S5_,@function
_ZL33flash_attn_stream_k_fixup_generalILi64ELi8ELi2EEvPfPK15HIP_vector_typeIfLj2EEiiiiS1_IjLj3EES5_S5_S5_: ; @_ZL33flash_attn_stream_k_fixup_generalILi64ELi8ELi2EEvPfPK15HIP_vector_typeIfLj2EEiiiiS1_IjLj3EES5_S5_S5_
; %bb.0:
	s_clause 0x1
	s_load_dwordx4 s[0:3], s[4:5], 0x10
	s_load_dword s9, s[4:5], 0x50
	s_mov_b32 s16, 0
	s_waitcnt lgkmcnt(0)
	s_mul_hi_i32 s17, s3, s6
	s_mul_i32 s18, s3, s6
	s_cmp_lg_u64 s[16:17], 0
	s_cbranch_scc0 .LBB42_21
; %bb.1:
	s_add_u32 s10, s9, 0
	s_addc_u32 s11, 0, 0
	s_xor_b64 s[10:11], s[10:11], 0
	v_cvt_f32_u32_e32 v1, s10
	v_cvt_f32_u32_e32 v2, s11
	s_sub_u32 s14, 0, s10
	s_subb_u32 s15, 0, s11
	v_fmamk_f32 v1, v2, 0x4f800000, v1
	v_rcp_f32_e32 v1, v1
	v_mul_f32_e32 v1, 0x5f7ffffc, v1
	v_mul_f32_e32 v2, 0x2f800000, v1
	v_trunc_f32_e32 v2, v2
	v_fmamk_f32 v1, v2, 0xcf800000, v1
	v_cvt_u32_f32_e32 v2, v2
	v_cvt_u32_f32_e32 v1, v1
	v_readfirstlane_b32 s12, v2
	v_readfirstlane_b32 s13, v1
	s_mul_i32 s19, s14, s12
	s_mul_hi_u32 s21, s14, s13
	s_mul_i32 s20, s15, s13
	s_add_i32 s19, s21, s19
	s_mul_i32 s22, s14, s13
	s_add_i32 s19, s19, s20
	s_mul_hi_u32 s21, s13, s22
	s_mul_i32 s24, s13, s19
	s_mul_hi_u32 s23, s12, s22
	s_mul_i32 s20, s12, s22
	s_mul_hi_u32 s22, s13, s19
	s_add_u32 s21, s21, s24
	s_addc_u32 s22, 0, s22
	s_mul_hi_u32 s25, s12, s19
	s_add_u32 s20, s21, s20
	s_mul_i32 s19, s12, s19
	s_addc_u32 s20, s22, s23
	s_addc_u32 s21, s25, 0
	s_add_u32 s19, s20, s19
	s_addc_u32 s20, 0, s21
	s_add_u32 s13, s13, s19
	s_cselect_b32 s19, -1, 0
	s_mul_hi_u32 s21, s14, s13
	s_cmp_lg_u32 s19, 0
	s_mul_i32 s19, s14, s13
	s_addc_u32 s12, s12, s20
	s_mul_i32 s15, s15, s13
	s_mul_i32 s14, s14, s12
	s_mul_hi_u32 s20, s13, s19
	s_add_i32 s14, s21, s14
	s_mul_hi_u32 s21, s12, s19
	s_add_i32 s14, s14, s15
	s_mul_i32 s15, s12, s19
	s_mul_i32 s23, s13, s14
	s_mul_hi_u32 s22, s13, s14
	s_add_u32 s20, s20, s23
	s_addc_u32 s22, 0, s22
	s_mul_hi_u32 s19, s12, s14
	s_add_u32 s15, s20, s15
	s_mul_i32 s14, s12, s14
	s_addc_u32 s15, s22, s21
	s_addc_u32 s19, s19, 0
	s_add_u32 s14, s15, s14
	s_addc_u32 s15, 0, s19
	s_add_u32 s19, s13, s14
	s_cselect_b32 s13, -1, 0
	s_cmp_lg_u32 s13, 0
	s_addc_u32 s20, s12, s15
	s_ashr_i32 s12, s17, 31
	s_add_u32 s14, s18, s12
	s_mov_b32 s13, s12
	s_addc_u32 s15, s17, s12
	s_xor_b64 s[14:15], s[14:15], s[12:13]
	s_mul_i32 s21, s14, s20
	s_mul_hi_u32 s22, s14, s19
	s_mul_hi_u32 s17, s14, s20
	;; [unrolled: 1-line block ×3, first 2 shown]
	s_mul_i32 s19, s15, s19
	s_add_u32 s21, s22, s21
	s_addc_u32 s17, 0, s17
	s_mul_hi_u32 s23, s15, s20
	s_add_u32 s19, s21, s19
	s_mul_i32 s20, s15, s20
	s_addc_u32 s17, s17, s24
	s_addc_u32 s19, s23, 0
	s_add_u32 s17, s17, s20
	s_addc_u32 s19, 0, s19
	s_mul_hi_u32 s20, s10, s17
	s_mul_i32 s21, s10, s19
	s_mul_i32 s22, s11, s17
	s_add_i32 s20, s20, s21
	s_mul_i32 s21, s10, s17
	s_add_i32 s20, s20, s22
	s_sub_i32 s22, s15, s20
	s_sub_u32 s14, s14, s21
	s_cselect_b32 s21, -1, 0
	s_cmp_lg_u32 s21, 0
	s_subb_u32 s22, s22, s11
	s_sub_u32 s23, s14, s10
	s_cselect_b32 s24, -1, 0
	s_cmp_lg_u32 s24, 0
	s_subb_u32 s22, s22, 0
	s_cmp_ge_u32 s22, s11
	s_cselect_b32 s24, -1, 0
	s_cmp_ge_u32 s23, s10
	s_cselect_b32 s23, -1, 0
	s_cmp_eq_u32 s22, s11
	s_cselect_b32 s22, s23, s24
	s_add_u32 s23, s17, 1
	s_addc_u32 s24, s19, 0
	s_add_u32 s25, s17, 2
	s_addc_u32 s26, s19, 0
	s_cmp_lg_u32 s22, 0
	s_cselect_b32 s22, s25, s23
	s_cselect_b32 s23, s26, s24
	s_cmp_lg_u32 s21, 0
	s_subb_u32 s15, s15, s20
	s_cmp_ge_u32 s15, s11
	s_cselect_b32 s20, -1, 0
	s_cmp_ge_u32 s14, s10
	s_cselect_b32 s10, -1, 0
	s_cmp_eq_u32 s15, s11
	s_cselect_b32 s10, s10, s20
	s_cmp_lg_u32 s10, 0
	s_cselect_b32 s11, s23, s19
	s_cselect_b32 s10, s22, s17
	s_xor_b64 s[12:13], s[12:13], 0
	s_xor_b64 s[10:11], s[10:11], s[12:13]
	s_sub_u32 s10, s10, s12
	s_load_dwordx4 s[12:15], s[4:5], 0x44
	s_andn2_b32 vcc_lo, exec_lo, s16
	s_cbranch_vccnz .LBB42_3
.LBB42_2:
	v_cvt_f32_u32_e32 v1, s9
	s_sub_i32 s11, 0, s9
	v_rcp_iflag_f32_e32 v1, v1
	v_mul_f32_e32 v1, 0x4f7ffffe, v1
	v_cvt_u32_f32_e32 v1, v1
	v_readfirstlane_b32 s10, v1
	s_mul_i32 s11, s11, s10
	s_mul_hi_u32 s11, s10, s11
	s_add_i32 s10, s10, s11
	s_mul_hi_u32 s10, s18, s10
	s_mul_i32 s11, s10, s9
	s_waitcnt lgkmcnt(0)
	s_add_i32 s15, s10, 1
	s_sub_i32 s11, s18, s11
	s_sub_i32 s16, s11, s9
	s_cmp_ge_u32 s11, s9
	s_cselect_b32 s10, s15, s10
	s_cselect_b32 s11, s16, s11
	s_add_i32 s15, s10, 1
	s_cmp_ge_u32 s11, s9
	s_cselect_b32 s10, s15, s10
.LBB42_3:
	s_add_i32 s11, s6, 1
	s_mov_b32 s16, 0
	s_mul_hi_i32 s17, s3, s11
	s_mul_i32 s11, s3, s11
	s_cmp_lg_u64 s[16:17], 0
	s_cbranch_scc0 .LBB42_22
; %bb.4:
	s_add_u32 s18, s9, 0
	s_addc_u32 s19, 0, 0
	s_xor_b64 s[18:19], s[18:19], 0
	v_cvt_f32_u32_e32 v1, s18
	v_cvt_f32_u32_e32 v2, s19
	s_sub_u32 s21, 0, s18
	s_subb_u32 s22, 0, s19
	v_fmamk_f32 v1, v2, 0x4f800000, v1
	v_rcp_f32_e32 v1, v1
	v_mul_f32_e32 v1, 0x5f7ffffc, v1
	v_mul_f32_e32 v2, 0x2f800000, v1
	v_trunc_f32_e32 v2, v2
	v_fmamk_f32 v1, v2, 0xcf800000, v1
	v_cvt_u32_f32_e32 v2, v2
	v_cvt_u32_f32_e32 v1, v1
	s_waitcnt lgkmcnt(0)
	v_readfirstlane_b32 s15, v2
	v_readfirstlane_b32 s20, v1
	s_mul_i32 s23, s21, s15
	s_mul_hi_u32 s25, s21, s20
	s_mul_i32 s24, s22, s20
	s_add_i32 s23, s25, s23
	s_mul_i32 s26, s21, s20
	s_add_i32 s23, s23, s24
	s_mul_hi_u32 s25, s20, s26
	s_mul_i32 s28, s20, s23
	s_mul_hi_u32 s27, s15, s26
	s_mul_i32 s24, s15, s26
	s_mul_hi_u32 s26, s20, s23
	s_add_u32 s25, s25, s28
	s_addc_u32 s26, 0, s26
	s_mul_hi_u32 s29, s15, s23
	s_add_u32 s24, s25, s24
	s_mul_i32 s23, s15, s23
	s_addc_u32 s24, s26, s27
	s_addc_u32 s25, s29, 0
	s_add_u32 s23, s24, s23
	s_addc_u32 s24, 0, s25
	s_add_u32 s20, s20, s23
	s_cselect_b32 s23, -1, 0
	s_mul_hi_u32 s25, s21, s20
	s_cmp_lg_u32 s23, 0
	s_mul_i32 s23, s21, s20
	s_addc_u32 s15, s15, s24
	s_mul_i32 s22, s22, s20
	s_mul_i32 s21, s21, s15
	s_mul_hi_u32 s24, s20, s23
	s_add_i32 s21, s25, s21
	s_mul_hi_u32 s25, s15, s23
	s_add_i32 s21, s21, s22
	s_mul_i32 s22, s15, s23
	s_mul_i32 s27, s20, s21
	s_mul_hi_u32 s26, s20, s21
	s_add_u32 s24, s24, s27
	s_addc_u32 s26, 0, s26
	s_mul_hi_u32 s23, s15, s21
	s_add_u32 s22, s24, s22
	s_mul_i32 s21, s15, s21
	s_addc_u32 s22, s26, s25
	s_addc_u32 s23, s23, 0
	s_add_u32 s21, s22, s21
	s_addc_u32 s22, 0, s23
	s_add_u32 s24, s20, s21
	s_cselect_b32 s20, -1, 0
	s_cmp_lg_u32 s20, 0
	s_addc_u32 s15, s15, s22
	s_ashr_i32 s20, s17, 31
	s_add_u32 s22, s11, s20
	s_mov_b32 s21, s20
	s_addc_u32 s23, s17, s20
	s_xor_b64 s[22:23], s[22:23], s[20:21]
	s_mul_i32 s25, s22, s15
	s_mul_hi_u32 s26, s22, s24
	s_mul_hi_u32 s17, s22, s15
	;; [unrolled: 1-line block ×3, first 2 shown]
	s_mul_i32 s24, s23, s24
	s_add_u32 s25, s26, s25
	s_addc_u32 s17, 0, s17
	s_mul_hi_u32 s27, s23, s15
	s_add_u32 s24, s25, s24
	s_mul_i32 s15, s23, s15
	s_addc_u32 s17, s17, s28
	s_addc_u32 s24, s27, 0
	s_add_u32 s15, s17, s15
	s_addc_u32 s17, 0, s24
	s_mul_hi_u32 s24, s18, s15
	s_mul_i32 s25, s18, s17
	s_mul_i32 s26, s19, s15
	s_add_i32 s24, s24, s25
	s_mul_i32 s25, s18, s15
	s_add_i32 s24, s24, s26
	s_sub_i32 s26, s23, s24
	s_sub_u32 s22, s22, s25
	s_cselect_b32 s25, -1, 0
	s_cmp_lg_u32 s25, 0
	s_subb_u32 s26, s26, s19
	s_sub_u32 s27, s22, s18
	s_cselect_b32 s28, -1, 0
	s_cmp_lg_u32 s28, 0
	s_subb_u32 s26, s26, 0
	s_cmp_ge_u32 s26, s19
	s_cselect_b32 s28, -1, 0
	s_cmp_ge_u32 s27, s18
	s_cselect_b32 s27, -1, 0
	s_cmp_eq_u32 s26, s19
	s_cselect_b32 s26, s27, s28
	s_add_u32 s27, s15, 1
	s_addc_u32 s28, s17, 0
	s_add_u32 s29, s15, 2
	s_addc_u32 s30, s17, 0
	s_cmp_lg_u32 s26, 0
	s_cselect_b32 s26, s29, s27
	s_cselect_b32 s27, s30, s28
	s_cmp_lg_u32 s25, 0
	s_subb_u32 s23, s23, s24
	s_cmp_ge_u32 s23, s19
	s_cselect_b32 s24, -1, 0
	s_cmp_ge_u32 s22, s18
	s_cselect_b32 s18, -1, 0
	s_cmp_eq_u32 s23, s19
	s_cselect_b32 s18, s18, s24
	s_cmp_lg_u32 s18, 0
	s_cselect_b32 s19, s27, s17
	s_cselect_b32 s18, s26, s15
	s_xor_b64 s[20:21], s[20:21], 0
	s_xor_b64 s[18:19], s[18:19], s[20:21]
	s_sub_u32 s18, s18, s20
	s_andn2_b32 vcc_lo, exec_lo, s16
	s_cbranch_vccnz .LBB42_6
.LBB42_5:
	v_cvt_f32_u32_e32 v1, s9
	s_sub_i32 s16, 0, s9
	v_rcp_iflag_f32_e32 v1, v1
	v_mul_f32_e32 v1, 0x4f7ffffe, v1
	v_cvt_u32_f32_e32 v1, v1
	s_waitcnt lgkmcnt(0)
	v_readfirstlane_b32 s15, v1
	s_mul_i32 s16, s16, s15
	s_mul_hi_u32 s16, s15, s16
	s_add_i32 s15, s15, s16
	s_mul_hi_u32 s15, s11, s15
	s_mul_i32 s16, s15, s9
	s_sub_i32 s11, s11, s16
	s_add_i32 s16, s15, 1
	s_sub_i32 s17, s11, s9
	s_cmp_ge_u32 s11, s9
	s_cselect_b32 s15, s16, s15
	s_cselect_b32 s11, s17, s11
	s_add_i32 s16, s15, 1
	s_cmp_ge_u32 s11, s9
	s_cselect_b32 s18, s16, s15
.LBB42_6:
	s_cmp_eq_u32 s10, s18
	s_waitcnt lgkmcnt(0)
	s_mul_hi_u32 s11, s10, s12
	s_cselect_b32 s15, -1, 0
	s_add_i32 s11, s11, s10
	s_lshr_b32 s11, s11, s13
	s_mul_i32 s16, s11, s14
	s_cmp_eq_u32 s16, s10
	s_mul_hi_u32 s16, s18, s12
	s_cselect_b32 s17, -1, 0
	s_add_i32 s16, s16, s18
	s_lshr_b32 s16, s16, s13
	s_cmp_eq_u32 s11, s16
	s_mul_i32 s16, s16, s14
	s_cselect_b32 s19, -1, 0
	s_cmp_lg_u32 s16, s18
	s_cselect_b32 s16, -1, 0
	s_or_b32 s15, s15, s17
	s_and_b32 s16, s19, s16
	s_or_b32 s15, s15, s16
	s_and_b32 vcc_lo, exec_lo, s15
	s_cbranch_vccnz .LBB42_24
; %bb.7:
	s_clause 0x1
	s_load_dwordx8 s[20:27], s[4:5], 0x20
	s_load_dword s16, s[4:5], 0x40
	s_waitcnt lgkmcnt(0)
	s_mul_hi_u32 s15, s10, s20
	s_add_i32 s15, s15, s10
	s_lshr_b32 s15, s15, s21
	s_mul_i32 s17, s15, s22
	s_sub_i32 s17, s10, s17
	s_mul_hi_u32 s18, s17, s23
	s_add_i32 s18, s17, s18
	s_lshr_b32 s22, s18, s24
	s_mul_i32 s18, s22, s25
	s_sub_i32 s17, s17, s18
	s_mul_hi_u32 s18, s17, s26
	s_add_i32 s18, s17, s18
	s_lshr_b32 s18, s18, s27
	s_mul_i32 s16, s18, s16
	s_lshl_b32 s24, s18, 1
	s_sub_i32 s16, s17, s16
	s_mul_hi_u32 s17, s16, s12
	s_add_i32 s16, s16, s17
	s_lshr_b32 s23, s16, s13
	s_lshl_b32 s16, s23, 3
	s_add_i32 s16, s16, s7
	s_cmp_lt_i32 s16, s0
	s_cselect_b32 s16, -1, 0
	s_add_i32 s17, s24, s8
	s_cmp_lt_i32 s17, s2
	s_cselect_b32 s17, -1, 0
	s_and_b32 s16, s16, s17
	s_andn2_b32 vcc_lo, exec_lo, s16
	s_cbranch_vccnz .LBB42_24
; %bb.8:
	s_load_dwordx4 s[16:19], s[4:5], 0x0
	s_mov_b32 s4, 0
	s_lshl_b32 s20, s9, 6
	s_mov_b32 s21, s4
	s_lshl_b32 s5, s7, 1
	s_lshl_b64 s[20:21], s[20:21], 2
	s_mul_i32 s0, s15, s0
	s_add_i32 s15, s5, s8
	s_mul_i32 s22, s22, s2
	v_cvt_f32_u32_e32 v4, s9
	v_rcp_iflag_f32_e32 v4, v4
	s_waitcnt lgkmcnt(0)
	s_add_u32 s20, s18, s20
	s_addc_u32 s21, s19, s21
	s_add_i32 s0, s0, s7
	s_mul_i32 s0, s0, s1
	s_mul_i32 s1, s1, s23
	s_add_i32 s0, s0, s8
	s_lshl_b32 s1, s1, 9
	s_add_i32 s0, s0, s22
	v_mul_f32_e32 v4, 0x4f7ffffe, v4
	s_add_i32 s0, s0, s24
	s_lshl_b32 s0, s0, 6
	s_add_i32 s1, s1, s0
	s_lshl_b32 s0, s6, 4
	v_or_b32_e32 v1, s1, v0
	s_add_i32 s0, s15, s0
	v_lshl_or_b32 v0, s15, 6, v0
	s_ashr_i32 s1, s0, 31
	v_cvt_u32_f32_e32 v4, v4
	v_ashrrev_i32_e32 v2, 31, v1
	s_lshl_b64 s[0:1], s[0:1], 3
	s_add_u32 s0, s18, s0
	s_addc_u32 s1, s19, s1
	v_lshlrev_b64 v[1:2], 2, v[1:2]
	s_load_dwordx2 s[0:1], s[0:1], 0x0
	s_add_i32 s8, s6, -1
	s_sub_i32 s2, 0, s9
	v_add_co_u32 v1, vcc_lo, s16, v1
	v_add_co_ci_u32_e64 v2, null, s17, v2, vcc_lo
	global_load_dword v3, v[1:2], off
	s_waitcnt lgkmcnt(0)
	v_mov_b32_e32 v5, s1
	v_mov_b32_e32 v6, s0
.LBB42_9:                               ; =>This Inner Loop Header: Depth=1
	s_mul_hi_i32 s5, s8, s3
	s_mul_i32 s6, s8, s3
	s_cmp_lg_u64 s[4:5], 0
	s_mov_b32 s7, -1
                                        ; implicit-def: $sgpr0_sgpr1
	s_cbranch_scc0 .LBB42_11
; %bb.10:                               ;   in Loop: Header=BB42_9 Depth=1
	s_add_u32 s0, s9, 0
	s_addc_u32 s1, 0, 0
	s_xor_b64 s[0:1], s[0:1], 0
	v_cvt_f32_u32_e32 v7, s0
	v_cvt_f32_u32_e32 v8, s1
	s_sub_u32 s17, 0, s0
	s_subb_u32 s22, 0, s1
	v_fmac_f32_e32 v7, 0x4f800000, v8
	v_rcp_f32_e32 v7, v7
	v_mul_f32_e32 v7, 0x5f7ffffc, v7
	v_mul_f32_e32 v8, 0x2f800000, v7
	v_trunc_f32_e32 v8, v8
	v_fmac_f32_e32 v7, 0xcf800000, v8
	v_cvt_u32_f32_e32 v8, v8
	v_cvt_u32_f32_e32 v7, v7
	v_readfirstlane_b32 s7, v8
	v_readfirstlane_b32 s16, v7
	s_mul_i32 s23, s17, s7
	s_mul_hi_u32 s25, s17, s16
	s_mul_i32 s24, s22, s16
	s_add_i32 s23, s25, s23
	s_mul_i32 s26, s17, s16
	s_add_i32 s23, s23, s24
	s_mul_hi_u32 s25, s16, s26
	s_mul_i32 s28, s16, s23
	s_mul_hi_u32 s27, s7, s26
	s_mul_i32 s24, s7, s26
	s_mul_hi_u32 s26, s16, s23
	s_add_u32 s25, s25, s28
	s_addc_u32 s26, 0, s26
	s_mul_hi_u32 s29, s7, s23
	s_add_u32 s24, s25, s24
	s_mul_i32 s23, s7, s23
	s_addc_u32 s24, s26, s27
	s_addc_u32 s25, s29, 0
	s_add_u32 s23, s24, s23
	s_addc_u32 s24, 0, s25
	s_add_u32 s16, s16, s23
	s_cselect_b32 s23, -1, 0
	s_mul_hi_u32 s25, s17, s16
	s_cmp_lg_u32 s23, 0
	s_mul_i32 s23, s17, s16
	s_addc_u32 s7, s7, s24
	s_mul_i32 s22, s22, s16
	s_mul_i32 s17, s17, s7
	s_mul_hi_u32 s24, s16, s23
	s_add_i32 s17, s25, s17
	s_mul_hi_u32 s25, s7, s23
	s_add_i32 s17, s17, s22
	s_mul_i32 s22, s7, s23
	s_mul_i32 s27, s16, s17
	s_mul_hi_u32 s26, s16, s17
	s_add_u32 s24, s24, s27
	s_addc_u32 s26, 0, s26
	s_mul_hi_u32 s23, s7, s17
	s_add_u32 s22, s24, s22
	s_mul_i32 s17, s7, s17
	s_addc_u32 s22, s26, s25
	s_addc_u32 s23, s23, 0
	s_add_u32 s17, s22, s17
	s_addc_u32 s22, 0, s23
	s_add_u32 s24, s16, s17
	s_cselect_b32 s16, -1, 0
	s_cmp_lg_u32 s16, 0
	s_addc_u32 s7, s7, s22
	s_ashr_i32 s16, s5, 31
	s_add_u32 s22, s6, s16
	s_mov_b32 s17, s16
	s_addc_u32 s23, s5, s16
	s_xor_b64 s[22:23], s[22:23], s[16:17]
	s_mul_i32 s25, s22, s7
	s_mul_hi_u32 s26, s22, s24
	s_mul_hi_u32 s5, s22, s7
	;; [unrolled: 1-line block ×3, first 2 shown]
	s_mul_i32 s24, s23, s24
	s_add_u32 s25, s26, s25
	s_addc_u32 s5, 0, s5
	s_mul_hi_u32 s27, s23, s7
	s_add_u32 s24, s25, s24
	s_mul_i32 s7, s23, s7
	s_addc_u32 s5, s5, s28
	s_addc_u32 s24, s27, 0
	s_add_u32 s5, s5, s7
	s_addc_u32 s7, 0, s24
	s_mul_hi_u32 s24, s0, s5
	s_mul_i32 s25, s0, s7
	s_mul_i32 s26, s1, s5
	s_add_i32 s24, s24, s25
	s_mul_i32 s25, s0, s5
	s_add_i32 s24, s24, s26
	s_sub_i32 s26, s23, s24
	s_sub_u32 s22, s22, s25
	s_cselect_b32 s25, -1, 0
	s_cmp_lg_u32 s25, 0
	s_subb_u32 s26, s26, s1
	s_sub_u32 s27, s22, s0
	s_cselect_b32 s28, -1, 0
	s_cmp_lg_u32 s28, 0
	s_subb_u32 s26, s26, 0
	s_cmp_ge_u32 s26, s1
	s_cselect_b32 s28, -1, 0
	s_cmp_ge_u32 s27, s0
	s_cselect_b32 s27, -1, 0
	s_cmp_eq_u32 s26, s1
	s_cselect_b32 s26, s27, s28
	s_add_u32 s27, s5, 1
	s_addc_u32 s28, s7, 0
	s_add_u32 s29, s5, 2
	s_addc_u32 s30, s7, 0
	s_cmp_lg_u32 s26, 0
	s_cselect_b32 s26, s29, s27
	s_cselect_b32 s27, s30, s28
	s_cmp_lg_u32 s25, 0
	s_subb_u32 s23, s23, s24
	s_cmp_ge_u32 s23, s1
	s_cselect_b32 s24, -1, 0
	s_cmp_ge_u32 s22, s0
	s_cselect_b32 s0, -1, 0
	s_cmp_eq_u32 s23, s1
	s_cselect_b32 s0, s0, s24
	s_cmp_lg_u32 s0, 0
	s_cselect_b32 s1, s27, s7
	s_cselect_b32 s0, s26, s5
	s_xor_b64 s[16:17], s[16:17], 0
	s_mov_b32 s7, 0
	s_xor_b64 s[0:1], s[0:1], s[16:17]
	s_sub_u32 s0, s0, s16
.LBB42_11:                              ;   in Loop: Header=BB42_9 Depth=1
	s_andn2_b32 vcc_lo, exec_lo, s7
	s_cbranch_vccnz .LBB42_13
; %bb.12:                               ;   in Loop: Header=BB42_9 Depth=1
	v_readfirstlane_b32 s0, v4
	s_mul_i32 s1, s2, s0
	s_mul_hi_u32 s1, s0, s1
	s_add_i32 s0, s0, s1
	s_mul_hi_u32 s0, s6, s0
	s_mul_i32 s1, s0, s9
	s_add_i32 s5, s0, 1
	s_sub_i32 s1, s6, s1
	s_sub_i32 s6, s1, s9
	s_cmp_ge_u32 s1, s9
	s_cselect_b32 s0, s5, s0
	s_cselect_b32 s1, s6, s1
	s_add_i32 s5, s0, 1
	s_cmp_ge_u32 s1, s9
	s_cselect_b32 s0, s5, s0
.LBB42_13:                              ;   in Loop: Header=BB42_9 Depth=1
	s_cmp_lg_u32 s10, s0
	s_mov_b32 s6, -1
                                        ; implicit-def: $sgpr5
                                        ; implicit-def: $vgpr8
                                        ; implicit-def: $vgpr7
                                        ; implicit-def: $vgpr9
                                        ; implicit-def: $sgpr1
                                        ; implicit-def: $sgpr16
	s_cbranch_scc0 .LBB42_18
; %bb.14:                               ;   in Loop: Header=BB42_9 Depth=1
	s_add_i32 s1, s8, s9
	s_mov_b32 s7, s4
	s_lshl_b32 s1, s1, 4
	s_mov_b32 s16, s10
	s_add_i32 s6, s1, s15
	s_mul_hi_u32 s1, s0, s12
	s_lshl_b64 s[6:7], s[6:7], 3
	s_add_u32 s6, s18, s6
	s_addc_u32 s7, s19, s7
	s_add_i32 s1, s1, s0
	s_lshr_b32 s1, s1, s13
	s_mul_i32 s5, s1, s14
	s_cmp_eq_u32 s5, s0
	s_cselect_b32 s5, -1, 0
	s_cmp_lt_u32 s1, s11
	s_cselect_b32 s1, -1, 0
	s_or_b32 s1, s1, s5
	s_mov_b32 s5, -1
	s_and_b32 vcc_lo, exec_lo, s1
	s_mov_b32 s1, s8
	s_cbranch_vccnz .LBB42_16
; %bb.15:                               ;   in Loop: Header=BB42_9 Depth=1
	s_add_i32 s1, s8, -1
	s_mov_b32 s5, 0
	s_mov_b32 s16, s0
.LBB42_16:                              ;   in Loop: Header=BB42_9 Depth=1
	v_lshl_add_u32 v7, s8, 10, v0
	s_load_dwordx2 s[6:7], s[6:7], 0x0
	v_ashrrev_i32_e32 v8, 31, v7
	v_lshlrev_b64 v[7:8], 2, v[7:8]
	v_add_co_u32 v7, vcc_lo, s20, v7
	v_add_co_ci_u32_e64 v8, null, s21, v8, vcc_lo
	s_waitcnt lgkmcnt(0)
	v_max_f32_e64 v9, s6, s6
	global_load_dword v8, v[7:8], off
	v_max_f32_e32 v7, v6, v6
	v_max_f32_e32 v7, v7, v9
	v_sub_f32_e32 v9, s6, v7
	v_sub_f32_e32 v10, v6, v7
	v_mul_f32_e32 v11, 0x3fb8aa3b, v9
	v_mul_f32_e32 v12, 0x3fb8aa3b, v10
	v_cmp_ngt_f32_e32 vcc_lo, 0xc2ce8ed0, v9
	v_fma_f32 v13, 0x3fb8aa3b, v9, -v11
	v_rndne_f32_e32 v14, v11
	v_fma_f32 v15, 0x3fb8aa3b, v10, -v12
	v_rndne_f32_e32 v16, v12
	v_fmac_f32_e32 v13, 0x32a5705f, v9
	v_sub_f32_e32 v11, v11, v14
	v_fmac_f32_e32 v15, 0x32a5705f, v10
	v_sub_f32_e32 v12, v12, v16
	v_add_f32_e32 v11, v11, v13
	v_cvt_i32_f32_e32 v13, v14
	v_add_f32_e32 v12, v12, v15
	v_cvt_i32_f32_e32 v14, v16
	v_exp_f32_e32 v11, v11
	v_exp_f32_e32 v12, v12
	v_ldexp_f32 v11, v11, v13
	v_ldexp_f32 v12, v12, v14
	v_cndmask_b32_e32 v11, 0, v11, vcc_lo
	v_cmp_ngt_f32_e32 vcc_lo, 0xc2ce8ed0, v10
	v_cndmask_b32_e32 v12, 0, v12, vcc_lo
	v_cmp_nlt_f32_e32 vcc_lo, 0x42b17218, v9
	v_cndmask_b32_e32 v11, 0x7f800000, v11, vcc_lo
	v_cmp_nlt_f32_e32 vcc_lo, 0x42b17218, v10
	v_cndmask_b32_e32 v12, 0x7f800000, v12, vcc_lo
	v_cmp_le_f32_e32 vcc_lo, 0xc1a00000, v9
	v_cndmask_b32_e32 v9, 0, v11, vcc_lo
	v_cmp_le_f32_e32 vcc_lo, 0xc1a00000, v10
	v_cndmask_b32_e32 v10, 0, v12, vcc_lo
	s_waitcnt vmcnt(0)
	v_mul_f32_e32 v8, v8, v9
	v_mul_f32_e32 v9, s7, v9
	v_fmac_f32_e32 v8, v3, v10
	v_fmac_f32_e32 v9, v5, v10
	s_cbranch_execz .LBB42_19
.LBB42_17:                              ;   in Loop: Header=BB42_9 Depth=1
	s_andn2_b32 vcc_lo, exec_lo, s5
	s_cbranch_vccnz .LBB42_20
	s_branch .LBB42_23
.LBB42_18:                              ;   in Loop: Header=BB42_9 Depth=1
	s_andn2_b32 vcc_lo, exec_lo, s6
	s_cbranch_vccnz .LBB42_17
.LBB42_19:                              ;   in Loop: Header=BB42_9 Depth=1
	v_mov_b32_e32 v9, v5
	v_mov_b32_e32 v7, v6
	s_waitcnt vmcnt(0)
	v_mov_b32_e32 v8, v3
	s_add_i32 s1, s8, -1
	s_mov_b32 s16, s10
	s_cbranch_execz .LBB42_23
.LBB42_20:                              ;   in Loop: Header=BB42_9 Depth=1
	v_mov_b32_e32 v5, v9
	v_mov_b32_e32 v6, v7
	s_waitcnt vmcnt(0)
	v_mov_b32_e32 v3, v8
	s_mov_b32 s10, s16
	s_mov_b32 s8, s1
	s_branch .LBB42_9
.LBB42_21:
                                        ; implicit-def: $sgpr10_sgpr11
	s_load_dwordx4 s[12:15], s[4:5], 0x44
	s_branch .LBB42_2
.LBB42_22:
                                        ; implicit-def: $sgpr18_sgpr19
	s_branch .LBB42_5
.LBB42_23:
	v_div_scale_f32 v0, null, v9, v9, v8
	s_waitcnt vmcnt(0)
	v_rcp_f32_e32 v3, v0
	v_fma_f32 v4, -v0, v3, 1.0
	v_fmac_f32_e32 v3, v4, v3
	v_div_scale_f32 v4, vcc_lo, v8, v9, v8
	v_mul_f32_e32 v5, v4, v3
	v_fma_f32 v6, -v0, v5, v4
	v_fmac_f32_e32 v5, v6, v3
	v_fma_f32 v0, -v0, v5, v4
	v_div_fmas_f32 v0, v0, v3, v5
	v_div_fixup_f32 v0, v0, v9, v8
	global_store_dword v[1:2], v0, off
.LBB42_24:
	s_endpgm
	.section	.rodata,"a",@progbits
	.p2align	6, 0x0
	.amdhsa_kernel _ZL33flash_attn_stream_k_fixup_generalILi64ELi8ELi2EEvPfPK15HIP_vector_typeIfLj2EEiiiiS1_IjLj3EES5_S5_S5_
		.amdhsa_group_segment_fixed_size 0
		.amdhsa_private_segment_fixed_size 0
		.amdhsa_kernarg_size 336
		.amdhsa_user_sgpr_count 6
		.amdhsa_user_sgpr_private_segment_buffer 1
		.amdhsa_user_sgpr_dispatch_ptr 0
		.amdhsa_user_sgpr_queue_ptr 0
		.amdhsa_user_sgpr_kernarg_segment_ptr 1
		.amdhsa_user_sgpr_dispatch_id 0
		.amdhsa_user_sgpr_flat_scratch_init 0
		.amdhsa_user_sgpr_private_segment_size 0
		.amdhsa_wavefront_size32 1
		.amdhsa_uses_dynamic_stack 0
		.amdhsa_system_sgpr_private_segment_wavefront_offset 0
		.amdhsa_system_sgpr_workgroup_id_x 1
		.amdhsa_system_sgpr_workgroup_id_y 1
		.amdhsa_system_sgpr_workgroup_id_z 1
		.amdhsa_system_sgpr_workgroup_info 0
		.amdhsa_system_vgpr_workitem_id 0
		.amdhsa_next_free_vgpr 17
		.amdhsa_next_free_sgpr 31
		.amdhsa_reserve_vcc 1
		.amdhsa_reserve_flat_scratch 0
		.amdhsa_float_round_mode_32 0
		.amdhsa_float_round_mode_16_64 0
		.amdhsa_float_denorm_mode_32 3
		.amdhsa_float_denorm_mode_16_64 3
		.amdhsa_dx10_clamp 1
		.amdhsa_ieee_mode 1
		.amdhsa_fp16_overflow 0
		.amdhsa_workgroup_processor_mode 1
		.amdhsa_memory_ordered 1
		.amdhsa_forward_progress 1
		.amdhsa_shared_vgpr_count 0
		.amdhsa_exception_fp_ieee_invalid_op 0
		.amdhsa_exception_fp_denorm_src 0
		.amdhsa_exception_fp_ieee_div_zero 0
		.amdhsa_exception_fp_ieee_overflow 0
		.amdhsa_exception_fp_ieee_underflow 0
		.amdhsa_exception_fp_ieee_inexact 0
		.amdhsa_exception_int_div_zero 0
	.end_amdhsa_kernel
	.section	.text._ZL33flash_attn_stream_k_fixup_generalILi64ELi8ELi2EEvPfPK15HIP_vector_typeIfLj2EEiiiiS1_IjLj3EES5_S5_S5_,"axG",@progbits,_ZL33flash_attn_stream_k_fixup_generalILi64ELi8ELi2EEvPfPK15HIP_vector_typeIfLj2EEiiiiS1_IjLj3EES5_S5_S5_,comdat
.Lfunc_end42:
	.size	_ZL33flash_attn_stream_k_fixup_generalILi64ELi8ELi2EEvPfPK15HIP_vector_typeIfLj2EEiiiiS1_IjLj3EES5_S5_S5_, .Lfunc_end42-_ZL33flash_attn_stream_k_fixup_generalILi64ELi8ELi2EEvPfPK15HIP_vector_typeIfLj2EEiiiiS1_IjLj3EES5_S5_S5_
                                        ; -- End function
	.set _ZL33flash_attn_stream_k_fixup_generalILi64ELi8ELi2EEvPfPK15HIP_vector_typeIfLj2EEiiiiS1_IjLj3EES5_S5_S5_.num_vgpr, 17
	.set _ZL33flash_attn_stream_k_fixup_generalILi64ELi8ELi2EEvPfPK15HIP_vector_typeIfLj2EEiiiiS1_IjLj3EES5_S5_S5_.num_agpr, 0
	.set _ZL33flash_attn_stream_k_fixup_generalILi64ELi8ELi2EEvPfPK15HIP_vector_typeIfLj2EEiiiiS1_IjLj3EES5_S5_S5_.numbered_sgpr, 31
	.set _ZL33flash_attn_stream_k_fixup_generalILi64ELi8ELi2EEvPfPK15HIP_vector_typeIfLj2EEiiiiS1_IjLj3EES5_S5_S5_.num_named_barrier, 0
	.set _ZL33flash_attn_stream_k_fixup_generalILi64ELi8ELi2EEvPfPK15HIP_vector_typeIfLj2EEiiiiS1_IjLj3EES5_S5_S5_.private_seg_size, 0
	.set _ZL33flash_attn_stream_k_fixup_generalILi64ELi8ELi2EEvPfPK15HIP_vector_typeIfLj2EEiiiiS1_IjLj3EES5_S5_S5_.uses_vcc, 1
	.set _ZL33flash_attn_stream_k_fixup_generalILi64ELi8ELi2EEvPfPK15HIP_vector_typeIfLj2EEiiiiS1_IjLj3EES5_S5_S5_.uses_flat_scratch, 0
	.set _ZL33flash_attn_stream_k_fixup_generalILi64ELi8ELi2EEvPfPK15HIP_vector_typeIfLj2EEiiiiS1_IjLj3EES5_S5_S5_.has_dyn_sized_stack, 0
	.set _ZL33flash_attn_stream_k_fixup_generalILi64ELi8ELi2EEvPfPK15HIP_vector_typeIfLj2EEiiiiS1_IjLj3EES5_S5_S5_.has_recursion, 0
	.set _ZL33flash_attn_stream_k_fixup_generalILi64ELi8ELi2EEvPfPK15HIP_vector_typeIfLj2EEiiiiS1_IjLj3EES5_S5_S5_.has_indirect_call, 0
	.section	.AMDGPU.csdata,"",@progbits
; Kernel info:
; codeLenInByte = 2944
; TotalNumSgprs: 33
; NumVgprs: 17
; ScratchSize: 0
; MemoryBound: 0
; FloatMode: 240
; IeeeMode: 1
; LDSByteSize: 0 bytes/workgroup (compile time only)
; SGPRBlocks: 0
; VGPRBlocks: 2
; NumSGPRsForWavesPerEU: 33
; NumVGPRsForWavesPerEU: 17
; Occupancy: 16
; WaveLimiterHint : 0
; COMPUTE_PGM_RSRC2:SCRATCH_EN: 0
; COMPUTE_PGM_RSRC2:USER_SGPR: 6
; COMPUTE_PGM_RSRC2:TRAP_HANDLER: 0
; COMPUTE_PGM_RSRC2:TGID_X_EN: 1
; COMPUTE_PGM_RSRC2:TGID_Y_EN: 1
; COMPUTE_PGM_RSRC2:TGID_Z_EN: 1
; COMPUTE_PGM_RSRC2:TIDIG_COMP_CNT: 0
	.section	.text._ZL15flash_attn_tileILi64ELi64ELi4ELi2ELb0EEvPKcS1_S1_S1_S1_PKiPfP15HIP_vector_typeIfLj2EEffffjfiS5_IjLj3EEiiiiiiiiiiiliiliiiiil,"axG",@progbits,_ZL15flash_attn_tileILi64ELi64ELi4ELi2ELb0EEvPKcS1_S1_S1_S1_PKiPfP15HIP_vector_typeIfLj2EEffffjfiS5_IjLj3EEiiiiiiiiiiiliiliiiiil,comdat
	.globl	_ZL15flash_attn_tileILi64ELi64ELi4ELi2ELb0EEvPKcS1_S1_S1_S1_PKiPfP15HIP_vector_typeIfLj2EEffffjfiS5_IjLj3EEiiiiiiiiiiiliiliiiiil ; -- Begin function _ZL15flash_attn_tileILi64ELi64ELi4ELi2ELb0EEvPKcS1_S1_S1_S1_PKiPfP15HIP_vector_typeIfLj2EEffffjfiS5_IjLj3EEiiiiiiiiiiiliiliiiiil
	.p2align	8
	.type	_ZL15flash_attn_tileILi64ELi64ELi4ELi2ELb0EEvPKcS1_S1_S1_S1_PKiPfP15HIP_vector_typeIfLj2EEffffjfiS5_IjLj3EEiiiiiiiiiiiliiliiiiil,@function
_ZL15flash_attn_tileILi64ELi64ELi4ELi2ELb0EEvPKcS1_S1_S1_S1_PKiPfP15HIP_vector_typeIfLj2EEffffjfiS5_IjLj3EEiiiiiiiiiiiliiliiiiil: ; @_ZL15flash_attn_tileILi64ELi64ELi4ELi2ELb0EEvPKcS1_S1_S1_S1_PKiPfP15HIP_vector_typeIfLj2EEffffjfiS5_IjLj3EEiiiiiiiiiiiliiliiiiil
; %bb.0:
	s_clause 0x1
	s_load_dwordx4 s[24:27], s[4:5], 0x5c
	s_load_dwordx2 s[34:35], s[4:5], 0x80
	s_mov_b32 s28, s7
	s_mov_b64 s[36:37], 0
	s_waitcnt lgkmcnt(0)
	s_lshr_b32 s0, s27, 31
	s_add_i32 s0, s27, s0
	s_ashr_i32 s0, s0, 1
	v_cvt_f32_u32_e32 v2, s0
	s_sub_i32 s2, 0, s0
	v_rcp_iflag_f32_e32 v2, v2
	v_mul_f32_e32 v2, 0x4f7ffffe, v2
	v_cvt_u32_f32_e32 v2, v2
	v_readfirstlane_b32 s1, v2
	s_mul_i32 s2, s2, s1
	s_mul_hi_u32 s2, s1, s2
	s_add_i32 s1, s1, s2
	s_mul_hi_u32 s1, s8, s1
	s_mul_i32 s2, s1, s0
	s_add_i32 s3, s1, 1
	s_sub_i32 s2, s8, s2
	s_sub_i32 s7, s2, s0
	s_cmp_ge_u32 s2, s0
	s_cselect_b32 s1, s3, s1
	s_cselect_b32 s2, s7, s2
	s_add_i32 s3, s1, 1
	s_cmp_ge_u32 s2, s0
	s_cselect_b32 s29, s3, s1
	s_abs_i32 s0, s35
	s_lshl_b32 s3, s8, 1
	v_cvt_f32_u32_e32 v2, s0
	s_sub_i32 s2, 0, s0
	s_abs_i32 s8, s27
	s_mul_i32 s7, s29, s27
	v_rcp_iflag_f32_e32 v2, v2
	s_sub_i32 s30, s3, s7
	v_mul_f32_e32 v2, 0x4f7ffffe, v2
	v_cvt_u32_f32_e32 v2, v2
	v_readfirstlane_b32 s1, v2
	s_mul_i32 s2, s2, s1
	s_mul_hi_u32 s2, s1, s2
	s_add_i32 s1, s1, s2
	s_xor_b32 s2, s27, s35
	s_mul_hi_u32 s1, s8, s1
	s_ashr_i32 s2, s2, 31
	s_mul_i32 s3, s1, s0
	s_add_i32 s7, s1, 1
	s_sub_i32 s3, s8, s3
	s_sub_i32 s8, s3, s0
	s_cmp_ge_u32 s3, s0
	s_cselect_b32 s1, s7, s1
	s_cselect_b32 s3, s8, s3
	s_add_i32 s7, s1, 1
	s_cmp_ge_u32 s3, s0
	s_clause 0x1
	s_load_dwordx16 s[8:23], s[4:5], 0x0
	s_load_dwordx2 s[38:39], s[4:5], 0xb8
	s_cselect_b32 s0, s7, s1
	s_xor_b32 s0, s0, s2
	s_sub_i32 s31, s0, s2
	s_abs_i32 s7, s31
	v_cvt_f32_u32_e32 v2, s7
	v_rcp_iflag_f32_e32 v2, v2
	s_waitcnt lgkmcnt(0)
	s_cmp_eq_u64 s[14:15], 0
	v_mul_f32_e32 v2, 0x4f7ffffe, v2
	v_cvt_u32_f32_e32 v2, v2
	v_readfirstlane_b32 s33, v2
	s_cbranch_scc1 .LBB43_2
; %bb.1:
	s_abs_i32 s2, s38
	s_abs_i32 s3, s29
	v_cvt_f32_u32_e32 v2, s2
	s_sub_i32 s1, 0, s2
	v_rcp_iflag_f32_e32 v2, v2
	v_mul_f32_e32 v2, 0x4f7ffffe, v2
	v_cvt_u32_f32_e32 v2, v2
	v_readfirstlane_b32 s0, v2
	s_mul_i32 s1, s1, s0
	s_mul_hi_u32 s1, s0, s1
	s_add_i32 s0, s0, s1
	s_mul_hi_u32 s35, s3, s0
	s_load_dwordx2 s[0:1], s[4:5], 0xc8
	s_mul_i32 s35, s35, s2
	s_sub_i32 s3, s3, s35
	s_ashr_i32 s35, s29, 31
	s_sub_i32 s36, s3, s2
	s_cmp_ge_u32 s3, s2
	s_cselect_b32 s3, s36, s3
	s_sub_i32 s36, s3, s2
	s_cmp_ge_u32 s3, s2
	s_cselect_b32 s2, s36, s3
	s_xor_b32 s2, s2, s35
	s_sub_i32 s2, s2, s35
	s_ashr_i32 s3, s2, 31
	s_waitcnt lgkmcnt(0)
	s_mul_hi_u32 s35, s0, s2
	s_mul_i32 s3, s0, s3
	s_mul_i32 s1, s1, s2
	s_add_i32 s3, s35, s3
	s_mul_i32 s0, s0, s2
	s_add_i32 s3, s3, s1
	s_add_u32 s36, s14, s0
	s_addc_u32 s37, s15, s3
.LBB43_2:
	v_lshl_add_u32 v33, s6, 2, v1
	s_load_dwordx4 s[0:3], s[4:5], 0x70
	v_lshl_add_u32 v69, v1, 8, 0x5000
	v_mul_hi_u32 v2, s24, v33
	v_lshl_add_u32 v7, v0, 2, v69
	v_add_nc_u32_e32 v2, v33, v2
	v_lshrrev_b32_e32 v2, s25, v2
	s_waitcnt lgkmcnt(0)
	s_mul_i32 s3, s29, s2
	s_mul_i32 s14, s30, s1
	v_mul_lo_u32 v2, v2, s26
	s_ashr_i32 s15, s3, 31
	s_add_u32 s3, s8, s3
	s_addc_u32 s8, s9, s15
	s_ashr_i32 s9, s14, 31
	s_add_u32 s14, s3, s14
	s_mov_b32 s2, s0
	s_addc_u32 s15, s8, s9
	v_sub_nc_u32_e32 v2, v33, v2
	s_ashr_i32 s3, s0, 31
	s_lshr_b64 s[8:9], s[2:3], 2
	s_lshr_b32 s0, s3, 2
	v_mad_u64_u32 v[3:4], null, s8, v2, 0
	v_mad_u64_u32 v[4:5], null, s0, v2, v[4:5]
	v_lshlrev_b32_e32 v5, 3, v0
	s_ashr_i32 s0, s1, 31
	s_and_b32 s1, s1, -4
	s_cmp_eq_u64 s[18:19], 0
	v_lshlrev_b64 v[3:4], 2, v[3:4]
	v_add_co_u32 v3, vcc_lo, s14, v3
	v_add_co_ci_u32_e64 v4, null, s15, v4, vcc_lo
	v_add_co_u32 v3, vcc_lo, v3, v5
	v_add_co_ci_u32_e64 v4, null, 0, v4, vcc_lo
	v_add_co_u32 v5, vcc_lo, v3, s1
	v_add_co_ci_u32_e64 v6, null, s0, v4, vcc_lo
	s_load_dword s0, s[4:5], 0x40
	s_clause 0x1
	global_load_dwordx2 v[3:4], v[3:4], off
	global_load_dwordx2 v[5:6], v[5:6], off
	s_waitcnt vmcnt(1) lgkmcnt(0)
	v_fma_mixlo_f16 v4, s0, v4, 0
	s_waitcnt vmcnt(0)
	v_fma_mixlo_f16 v6, s0, v6, 0
	v_fma_mixlo_f16 v3, s0, v3, 0
	;; [unrolled: 1-line block ×3, first 2 shown]
	v_lshlrev_b32_e32 v4, 16, v4
	v_lshlrev_b32_e32 v6, 16, v6
	v_or_b32_sdwa v3, v4, v3 dst_sel:DWORD dst_unused:UNUSED_PAD src0_sel:DWORD src1_sel:WORD_0
	v_or_b32_sdwa v4, v6, v5 dst_sel:DWORD dst_unused:UNUSED_PAD src0_sel:DWORD src1_sel:WORD_0
	ds_write2_b32 v7, v3, v4 offset1:32
	s_waitcnt lgkmcnt(0)
	s_barrier
	buffer_gl0_inv
	s_cbranch_scc1 .LBB43_4
; %bb.3:
	s_load_dword s0, s[4:5], 0xd0
	s_mov_b32 s1, 0
	s_waitcnt lgkmcnt(0)
	s_mul_i32 s0, s0, s29
	s_add_i32 s0, s0, s6
	s_lshl_b64 s[0:1], s[0:1], 2
	s_add_u32 s0, s18, s0
	s_addc_u32 s1, s19, s1
	s_load_dword s34, s[0:1], 0x0
.LBB43_4:
	v_mbcnt_lo_u32_b32 v70, -1, 0
	s_lshl_b32 s9, s28, 7
	s_waitcnt lgkmcnt(0)
	s_cmp_lt_i32 s9, s34
	s_cbranch_scc1 .LBB43_7
; %bb.5:
	v_mbcnt_lo_u32_b32 v3, -1, 0
	v_mov_b32_e32 v72, 32
	v_xor_b32_e32 v82, 16, v3
	v_xor_b32_e32 v77, 8, v3
	;; [unrolled: 1-line block ×5, first 2 shown]
	s_cbranch_execz .LBB43_8
; %bb.6:
	v_mov_b32_e32 v117, 0
	v_mov_b32_e32 v115, 0
	;; [unrolled: 1-line block ×6, first 2 shown]
	s_branch .LBB43_11
.LBB43_7:
                                        ; implicit-def: $vgpr3
                                        ; implicit-def: $vgpr72
                                        ; implicit-def: $vgpr82
                                        ; implicit-def: $vgpr77
                                        ; implicit-def: $vgpr76
                                        ; implicit-def: $vgpr75
                                        ; implicit-def: $vgpr74
.LBB43_8:
	s_clause 0x1
	s_load_dwordx4 s[0:3], s[4:5], 0x98
	s_load_dwordx2 s[18:19], s[4:5], 0x8c
	s_sub_i32 s6, 0, s7
	s_ashr_i32 s38, s29, 31
	s_mul_i32 s6, s6, s33
	s_abs_i32 s8, s30
	s_mul_hi_u32 s6, s33, s6
	s_ashr_i32 s35, s30, 31
	s_add_i32 s33, s33, s6
	s_ashr_i32 s31, s31, 31
	s_mul_hi_u32 s33, s8, s33
	s_load_dwordx2 s[24:25], s[4:5], 0xa8
	s_ashr_i32 s6, s39, 1
	s_mul_i32 s39, s33, s7
	v_lshrrev_b32_e32 v3, 3, v0
	v_lshlrev_b32_e32 v71, 2, v0
	v_mad_u64_u32 v[34:35], null, v2, s6, v[0:1]
	v_lshl_add_u32 v88, v1, 9, 0x4800
	v_lshl_add_u32 v4, v1, 2, v3
	s_waitcnt lgkmcnt(0)
	s_ashr_i32 s14, s2, 2
	s_ashr_i32 s15, s18, 2
	s_mul_hi_u32 s2, s0, s29
	s_mul_i32 s18, s0, s38
	s_mul_i32 s1, s1, s29
	s_add_i32 s2, s2, s18
	s_mul_i32 s0, s0, s29
	s_add_i32 s2, s2, s1
	s_add_u32 s0, s10, s0
	s_addc_u32 s1, s11, s2
	s_sub_i32 s8, s8, s39
	s_xor_b32 s2, s35, s31
	s_add_i32 s10, s33, 1
	s_sub_i32 s11, s8, s7
	s_cmp_ge_u32 s8, s7
	v_mul_lo_u32 v3, s15, v4
	s_cselect_b32 s10, s10, s33
	s_cselect_b32 s8, s11, s8
	s_add_i32 s11, s10, 1
	s_cmp_ge_u32 s8, s7
	s_mul_hi_u32 s8, s24, s29
	s_cselect_b32 s7, s11, s10
	s_mul_i32 s10, s24, s38
	s_xor_b32 s7, s7, s2
	v_mul_lo_u32 v11, s14, v4
	s_sub_i32 s2, s7, s2
	s_mul_i32 s7, s25, s29
	s_mul_i32 s11, s2, s19
	;; [unrolled: 1-line block ×3, first 2 shown]
	s_ashr_i32 s19, s11, 31
	s_add_u32 s18, s0, s11
	s_addc_u32 s19, s1, s19
	s_add_i32 s0, s8, s10
	s_mul_i32 s2, s2, s3
	s_add_i32 s0, s0, s7
	s_add_u32 s1, s12, s24
	s_addc_u32 s0, s13, s0
	s_ashr_i32 s3, s2, 31
	s_add_u32 s12, s1, s2
	s_addc_u32 s13, s0, s3
	s_lshl_b32 s0, s15, 4
	s_lshl_b32 s1, s14, 4
	v_add_nc_u32_e32 v5, s0, v3
	v_add_nc_u32_e32 v15, s1, v11
	v_and_b32_e32 v37, 28, v71
	v_ashrrev_i32_e32 v12, 31, v11
	v_mov_b32_e32 v116, 0
	v_add_nc_u32_e32 v7, s0, v5
	v_add_nc_u32_e32 v19, s1, v15
	v_lshlrev_b32_e32 v6, 2, v37
	v_ashrrev_i32_e32 v16, 31, v15
	v_lshlrev_b32_e32 v96, 2, v37
	v_add_nc_u32_e32 v9, s0, v7
	v_add_nc_u32_e32 v23, s1, v19
	v_mad_u32_u24 v73, 0x90, v4, v6
	v_lshl_or_b32 v79, v4, 7, v6
	v_ashrrev_i32_e32 v4, 31, v3
	v_add_nc_u32_e32 v13, s0, v9
	v_add_nc_u32_e32 v27, s1, v23
	v_ashrrev_i32_e32 v6, 31, v5
	v_ashrrev_i32_e32 v8, 31, v7
	v_ashrrev_i32_e32 v10, 31, v9
	v_add_nc_u32_e32 v17, s0, v13
	v_add_nc_u32_e32 v1, s1, v27
	v_ashrrev_i32_e32 v14, 31, v13
	v_ashrrev_i32_e32 v20, 31, v19
	;; [unrolled: 5-line block ×4, first 2 shown]
	v_lshlrev_b64 v[35:36], 2, v[3:4]
	v_ashrrev_i32_e32 v26, 31, v25
	v_ashrrev_i32_e32 v32, 31, v31
	v_lshlrev_b64 v[37:38], 2, v[5:6]
	v_lshlrev_b64 v[39:40], 2, v[7:8]
	;; [unrolled: 1-line block ×15, first 2 shown]
	v_mul_u32_u24_e32 v78, 0x90, v0
	v_add_nc_u32_e32 v80, 0x900, v73
	v_add_nc_u32_e32 v81, 0x1200, v73
	;; [unrolled: 1-line block ×14, first 2 shown]
	v_mov_b32_e32 v67, 0xfeffffff
	v_mov_b32_e32 v72, 32
	v_xor_b32_e32 v82, 16, v70
	v_xor_b32_e32 v77, 8, v70
	v_xor_b32_e32 v76, 4, v70
	v_xor_b32_e32 v75, 2, v70
	v_xor_b32_e32 v74, 1, v70
	v_add_nc_u32_e32 v97, v88, v71
	v_mov_b32_e32 v98, 0x10001
	v_add_nc_u32_e32 v99, 0x400, v71
	v_add_nc_u32_e32 v100, 0x800, v71
	;; [unrolled: 1-line block ×15, first 2 shown]
	v_mov_b32_e32 v117, 0
	v_mov_b32_e32 v68, 0xfeffffff
	;; [unrolled: 1-line block ×4, first 2 shown]
	s_add_u32 s10, s4, 0xd0
	s_addc_u32 s11, s5, 0
.LBB43_9:                               ; =>This Inner Loop Header: Depth=1
	s_mul_hi_i32 s1, s9, s15
	s_mul_i32 s0, s9, s15
	v_mov_b32_e32 v118, 0
	s_lshl_b64 s[0:1], s[0:1], 2
	v_mov_b32_e32 v119, 0
	s_add_u32 s8, s18, s0
	s_addc_u32 s24, s19, s1
	v_add_co_u32 v1, vcc_lo, s8, v37
	v_add_co_u32 v2, s0, s8, v39
	v_add_co_u32 v3, s1, s8, v41
	;; [unrolled: 1-line block ×7, first 2 shown]
	v_add_co_ci_u32_e64 v11, null, s24, v36, s8
	v_add_co_ci_u32_e64 v12, null, s24, v38, vcc_lo
	v_add_co_ci_u32_e64 v14, null, s24, v40, s0
	v_add_co_ci_u32_e64 v15, null, s24, v42, s1
	v_add_co_u32 v5, vcc_lo, v1, v96
	v_add_co_u32 v1, s8, v10, v96
	v_add_co_ci_u32_e64 v16, null, s24, v44, s2
	v_add_co_ci_u32_e64 v19, null, s24, v46, s3
	;; [unrolled: 1-line block ×4, first 2 shown]
	v_add_co_u32 v9, s0, v2, v96
	v_add_co_ci_u32_e64 v2, null, 0, v11, s8
	v_add_co_u32 v13, s1, v3, v96
	v_add_co_u32 v21, s3, v6, v96
	v_add_co_ci_u32_e64 v6, null, 0, v12, vcc_lo
	v_add_co_u32 v17, s2, v4, v96
	v_add_co_u32 v25, s6, v7, v96
	;; [unrolled: 1-line block ×3, first 2 shown]
	v_add_co_ci_u32_e64 v10, null, 0, v14, s0
	v_add_co_ci_u32_e64 v14, null, 0, v15, s1
	;; [unrolled: 1-line block ×6, first 2 shown]
	s_clause 0x7
	global_load_dwordx4 v[1:4], v[1:2], off
	global_load_dwordx4 v[5:8], v[5:6], off
	;; [unrolled: 1-line block ×8, first 2 shown]
	v_mov_b32_e32 v120, 0
	v_mov_b32_e32 v121, 0
	v_mov_b32_e32 v124, 0
	v_mov_b32_e32 v122, 0
	v_mov_b32_e32 v125, 0
	v_mov_b32_e32 v123, 0
	v_add_nc_u32_e32 v126, s9, v34
	s_mul_hi_i32 s1, s9, s14
	s_mul_i32 s0, s9, s14
	s_waitcnt vmcnt(7)
	ds_write_b128 v73, v[1:4]
	s_waitcnt vmcnt(6)
	ds_write_b128 v80, v[5:8]
	;; [unrolled: 2-line block ×8, first 2 shown]
	s_waitcnt lgkmcnt(0)
	s_barrier
	buffer_gl0_inv
	ds_read_b128 v[1:4], v78
	ds_read_b128 v[5:8], v69
	ds_read_b128 v[9:12], v69 offset:128
	ds_read_b128 v[13:16], v78 offset:4608
	;; [unrolled: 1-line block ×4, first 2 shown]
	s_waitcnt lgkmcnt(4)
	;;#ASMSTART
	v_dot2_f32_f16 v118, v1, v5, v118
	;;#ASMEND
	;;#ASMSTART
	v_dot2_f32_f16 v118, v2, v6, v118
	;;#ASMEND
	;;#ASMSTART
	v_dot2_f32_f16 v118, v3, v7, v118
	;;#ASMEND
	;;#ASMSTART
	v_dot2_f32_f16 v118, v4, v8, v118
	;;#ASMEND
	s_waitcnt lgkmcnt(3)
	;;#ASMSTART
	v_dot2_f32_f16 v119, v1, v9, v119
	;;#ASMEND
	;;#ASMSTART
	v_dot2_f32_f16 v119, v2, v10, v119
	;;#ASMEND
	;;#ASMSTART
	v_dot2_f32_f16 v119, v3, v11, v119
	;;#ASMEND
	;;#ASMSTART
	v_dot2_f32_f16 v119, v4, v12, v119
	;;#ASMEND
	;; [unrolled: 13-line block ×3, first 2 shown]
	;;#ASMSTART
	v_dot2_f32_f16 v121, v13, v9, v121
	;;#ASMEND
	;;#ASMSTART
	v_dot2_f32_f16 v121, v14, v10, v121
	;;#ASMEND
	;;#ASMSTART
	v_dot2_f32_f16 v121, v15, v11, v121
	;;#ASMEND
	;;#ASMSTART
	v_dot2_f32_f16 v121, v16, v12, v121
	;;#ASMEND
	s_waitcnt lgkmcnt(1)
	;;#ASMSTART
	v_dot2_f32_f16 v124, v17, v5, v124
	;;#ASMEND
	;;#ASMSTART
	v_dot2_f32_f16 v124, v18, v6, v124
	;;#ASMEND
	;; [unrolled: 3-line block ×8, first 2 shown]
	s_waitcnt lgkmcnt(0)
	;;#ASMSTART
	v_dot2_f32_f16 v125, v21, v5, v125
	;;#ASMEND
	;;#ASMSTART
	v_dot2_f32_f16 v125, v22, v6, v125
	;;#ASMEND
	;; [unrolled: 3-line block ×8, first 2 shown]
	ds_read_b128 v[1:4], v78 offset:16
	ds_read_b128 v[5:8], v69 offset:16
	;; [unrolled: 1-line block ×6, first 2 shown]
	s_waitcnt lgkmcnt(4)
	;;#ASMSTART
	v_dot2_f32_f16 v118, v1, v5, v118
	;;#ASMEND
	;;#ASMSTART
	v_dot2_f32_f16 v118, v2, v6, v118
	;;#ASMEND
	;;#ASMSTART
	v_dot2_f32_f16 v118, v3, v7, v118
	;;#ASMEND
	;;#ASMSTART
	v_dot2_f32_f16 v118, v4, v8, v118
	;;#ASMEND
	s_waitcnt lgkmcnt(3)
	;;#ASMSTART
	v_dot2_f32_f16 v119, v1, v9, v119
	;;#ASMEND
	;;#ASMSTART
	v_dot2_f32_f16 v119, v2, v10, v119
	;;#ASMEND
	;;#ASMSTART
	v_dot2_f32_f16 v119, v3, v11, v119
	;;#ASMEND
	;;#ASMSTART
	v_dot2_f32_f16 v119, v4, v12, v119
	;;#ASMEND
	s_waitcnt lgkmcnt(2)
	;;#ASMSTART
	v_dot2_f32_f16 v120, v13, v5, v120
	;;#ASMEND
	;;#ASMSTART
	v_dot2_f32_f16 v120, v14, v6, v120
	;;#ASMEND
	;;#ASMSTART
	v_dot2_f32_f16 v120, v15, v7, v120
	;;#ASMEND
	;;#ASMSTART
	v_dot2_f32_f16 v120, v16, v8, v120
	;;#ASMEND
	;;#ASMSTART
	v_dot2_f32_f16 v121, v13, v9, v121
	;;#ASMEND
	;;#ASMSTART
	v_dot2_f32_f16 v121, v14, v10, v121
	;;#ASMEND
	;; [unrolled: 3-line block ×4, first 2 shown]
	s_waitcnt lgkmcnt(1)
	;;#ASMSTART
	v_dot2_f32_f16 v124, v17, v5, v124
	;;#ASMEND
	;;#ASMSTART
	v_dot2_f32_f16 v124, v18, v6, v124
	;;#ASMEND
	;;#ASMSTART
	v_dot2_f32_f16 v124, v19, v7, v124
	;;#ASMEND
	;;#ASMSTART
	v_dot2_f32_f16 v124, v20, v8, v124
	;;#ASMEND
	;;#ASMSTART
	v_dot2_f32_f16 v122, v17, v9, v122
	;;#ASMEND
	;;#ASMSTART
	v_dot2_f32_f16 v122, v18, v10, v122
	;;#ASMEND
	;;#ASMSTART
	v_dot2_f32_f16 v122, v19, v11, v122
	;;#ASMEND
	;;#ASMSTART
	v_dot2_f32_f16 v122, v20, v12, v122
	;;#ASMEND
	s_waitcnt lgkmcnt(0)
	;;#ASMSTART
	v_dot2_f32_f16 v125, v21, v5, v125
	;;#ASMEND
	;;#ASMSTART
	v_dot2_f32_f16 v125, v22, v6, v125
	;;#ASMEND
	;; [unrolled: 3-line block ×8, first 2 shown]
	ds_read_b128 v[1:4], v78 offset:32
	ds_read_b128 v[5:8], v69 offset:32
	;; [unrolled: 1-line block ×6, first 2 shown]
	s_waitcnt lgkmcnt(4)
	;;#ASMSTART
	v_dot2_f32_f16 v118, v1, v5, v118
	;;#ASMEND
	;;#ASMSTART
	v_dot2_f32_f16 v118, v2, v6, v118
	;;#ASMEND
	;;#ASMSTART
	v_dot2_f32_f16 v118, v3, v7, v118
	;;#ASMEND
	;;#ASMSTART
	v_dot2_f32_f16 v118, v4, v8, v118
	;;#ASMEND
	s_waitcnt lgkmcnt(3)
	;;#ASMSTART
	v_dot2_f32_f16 v119, v1, v9, v119
	;;#ASMEND
	;;#ASMSTART
	v_dot2_f32_f16 v119, v2, v10, v119
	;;#ASMEND
	;;#ASMSTART
	v_dot2_f32_f16 v119, v3, v11, v119
	;;#ASMEND
	;;#ASMSTART
	v_dot2_f32_f16 v119, v4, v12, v119
	;;#ASMEND
	;; [unrolled: 13-line block ×3, first 2 shown]
	;;#ASMSTART
	v_dot2_f32_f16 v121, v13, v9, v121
	;;#ASMEND
	;;#ASMSTART
	v_dot2_f32_f16 v121, v14, v10, v121
	;;#ASMEND
	;; [unrolled: 3-line block ×4, first 2 shown]
	s_waitcnt lgkmcnt(1)
	;;#ASMSTART
	v_dot2_f32_f16 v124, v17, v5, v124
	;;#ASMEND
	;;#ASMSTART
	v_dot2_f32_f16 v124, v18, v6, v124
	;;#ASMEND
	;; [unrolled: 3-line block ×8, first 2 shown]
	s_waitcnt lgkmcnt(0)
	;;#ASMSTART
	v_dot2_f32_f16 v125, v21, v5, v125
	;;#ASMEND
	;;#ASMSTART
	v_dot2_f32_f16 v125, v22, v6, v125
	;;#ASMEND
	;; [unrolled: 3-line block ×8, first 2 shown]
	ds_read_b128 v[1:4], v78 offset:48
	ds_read_b128 v[5:8], v69 offset:48
	;; [unrolled: 1-line block ×6, first 2 shown]
	s_waitcnt lgkmcnt(4)
	;;#ASMSTART
	v_dot2_f32_f16 v118, v1, v5, v118
	;;#ASMEND
	;;#ASMSTART
	v_dot2_f32_f16 v118, v2, v6, v118
	;;#ASMEND
	;;#ASMSTART
	v_dot2_f32_f16 v118, v3, v7, v118
	;;#ASMEND
	;;#ASMSTART
	v_dot2_f32_f16 v118, v4, v8, v118
	;;#ASMEND
	s_waitcnt lgkmcnt(3)
	;;#ASMSTART
	v_dot2_f32_f16 v119, v1, v9, v119
	;;#ASMEND
	;;#ASMSTART
	v_dot2_f32_f16 v119, v2, v10, v119
	;;#ASMEND
	;;#ASMSTART
	v_dot2_f32_f16 v119, v3, v11, v119
	;;#ASMEND
	;;#ASMSTART
	v_dot2_f32_f16 v119, v4, v12, v119
	;;#ASMEND
	;; [unrolled: 13-line block ×3, first 2 shown]
	;;#ASMSTART
	v_dot2_f32_f16 v121, v13, v9, v121
	;;#ASMEND
	;;#ASMSTART
	v_dot2_f32_f16 v121, v14, v10, v121
	;;#ASMEND
	;; [unrolled: 3-line block ×4, first 2 shown]
	s_waitcnt lgkmcnt(1)
	;;#ASMSTART
	v_dot2_f32_f16 v124, v17, v5, v124
	;;#ASMEND
	;;#ASMSTART
	v_dot2_f32_f16 v124, v18, v6, v124
	;;#ASMEND
	;; [unrolled: 3-line block ×8, first 2 shown]
	s_waitcnt lgkmcnt(0)
	;;#ASMSTART
	v_dot2_f32_f16 v125, v21, v5, v125
	;;#ASMEND
	;;#ASMSTART
	v_dot2_f32_f16 v125, v22, v6, v125
	;;#ASMEND
	;; [unrolled: 3-line block ×8, first 2 shown]
	ds_read_b128 v[1:4], v78 offset:64
	ds_read_b128 v[5:8], v69 offset:64
	;; [unrolled: 1-line block ×6, first 2 shown]
	s_waitcnt lgkmcnt(4)
	;;#ASMSTART
	v_dot2_f32_f16 v118, v1, v5, v118
	;;#ASMEND
	;;#ASMSTART
	v_dot2_f32_f16 v118, v2, v6, v118
	;;#ASMEND
	;;#ASMSTART
	v_dot2_f32_f16 v118, v3, v7, v118
	;;#ASMEND
	;;#ASMSTART
	v_dot2_f32_f16 v118, v4, v8, v118
	;;#ASMEND
	s_waitcnt lgkmcnt(3)
	;;#ASMSTART
	v_dot2_f32_f16 v119, v1, v9, v119
	;;#ASMEND
	;;#ASMSTART
	v_dot2_f32_f16 v119, v2, v10, v119
	;;#ASMEND
	;;#ASMSTART
	v_dot2_f32_f16 v119, v3, v11, v119
	;;#ASMEND
	;;#ASMSTART
	v_dot2_f32_f16 v119, v4, v12, v119
	;;#ASMEND
	;; [unrolled: 13-line block ×3, first 2 shown]
	;;#ASMSTART
	v_dot2_f32_f16 v121, v13, v9, v121
	;;#ASMEND
	;;#ASMSTART
	v_dot2_f32_f16 v121, v14, v10, v121
	;;#ASMEND
	;; [unrolled: 3-line block ×4, first 2 shown]
	s_waitcnt lgkmcnt(1)
	;;#ASMSTART
	v_dot2_f32_f16 v124, v17, v5, v124
	;;#ASMEND
	;;#ASMSTART
	v_dot2_f32_f16 v124, v18, v6, v124
	;;#ASMEND
	;; [unrolled: 3-line block ×8, first 2 shown]
	s_waitcnt lgkmcnt(0)
	;;#ASMSTART
	v_dot2_f32_f16 v125, v21, v5, v125
	;;#ASMEND
	;;#ASMSTART
	v_dot2_f32_f16 v125, v22, v6, v125
	;;#ASMEND
	;; [unrolled: 3-line block ×8, first 2 shown]
	ds_read_b128 v[1:4], v78 offset:80
	ds_read_b128 v[5:8], v69 offset:80
	;; [unrolled: 1-line block ×6, first 2 shown]
	s_waitcnt lgkmcnt(4)
	;;#ASMSTART
	v_dot2_f32_f16 v118, v1, v5, v118
	;;#ASMEND
	;;#ASMSTART
	v_dot2_f32_f16 v118, v2, v6, v118
	;;#ASMEND
	;;#ASMSTART
	v_dot2_f32_f16 v118, v3, v7, v118
	;;#ASMEND
	;;#ASMSTART
	v_dot2_f32_f16 v118, v4, v8, v118
	;;#ASMEND
	s_waitcnt lgkmcnt(3)
	;;#ASMSTART
	v_dot2_f32_f16 v119, v1, v9, v119
	;;#ASMEND
	;;#ASMSTART
	v_dot2_f32_f16 v119, v2, v10, v119
	;;#ASMEND
	;;#ASMSTART
	v_dot2_f32_f16 v119, v3, v11, v119
	;;#ASMEND
	;;#ASMSTART
	v_dot2_f32_f16 v119, v4, v12, v119
	;;#ASMEND
	s_waitcnt lgkmcnt(2)
	;;#ASMSTART
	v_dot2_f32_f16 v120, v13, v5, v120
	;;#ASMEND
	;;#ASMSTART
	v_dot2_f32_f16 v120, v14, v6, v120
	;;#ASMEND
	;;#ASMSTART
	v_dot2_f32_f16 v120, v15, v7, v120
	;;#ASMEND
	;;#ASMSTART
	v_dot2_f32_f16 v120, v16, v8, v120
	;;#ASMEND
	;;#ASMSTART
	v_dot2_f32_f16 v121, v13, v9, v121
	;;#ASMEND
	;;#ASMSTART
	v_dot2_f32_f16 v121, v14, v10, v121
	;;#ASMEND
	;; [unrolled: 3-line block ×4, first 2 shown]
	s_waitcnt lgkmcnt(1)
	;;#ASMSTART
	v_dot2_f32_f16 v124, v17, v5, v124
	;;#ASMEND
	;;#ASMSTART
	v_dot2_f32_f16 v124, v18, v6, v124
	;;#ASMEND
	;; [unrolled: 3-line block ×8, first 2 shown]
	s_waitcnt lgkmcnt(0)
	;;#ASMSTART
	v_dot2_f32_f16 v125, v21, v5, v125
	;;#ASMEND
	;;#ASMSTART
	v_dot2_f32_f16 v125, v22, v6, v125
	;;#ASMEND
	;; [unrolled: 3-line block ×8, first 2 shown]
	ds_read_b128 v[1:4], v78 offset:96
	ds_read_b128 v[5:8], v69 offset:96
	;; [unrolled: 1-line block ×6, first 2 shown]
	s_waitcnt lgkmcnt(4)
	;;#ASMSTART
	v_dot2_f32_f16 v118, v1, v5, v118
	;;#ASMEND
	;;#ASMSTART
	v_dot2_f32_f16 v118, v2, v6, v118
	;;#ASMEND
	;;#ASMSTART
	v_dot2_f32_f16 v118, v3, v7, v118
	;;#ASMEND
	;;#ASMSTART
	v_dot2_f32_f16 v118, v4, v8, v118
	;;#ASMEND
	s_waitcnt lgkmcnt(3)
	;;#ASMSTART
	v_dot2_f32_f16 v119, v1, v9, v119
	;;#ASMEND
	;;#ASMSTART
	v_dot2_f32_f16 v119, v2, v10, v119
	;;#ASMEND
	;;#ASMSTART
	v_dot2_f32_f16 v119, v3, v11, v119
	;;#ASMEND
	;;#ASMSTART
	v_dot2_f32_f16 v119, v4, v12, v119
	;;#ASMEND
	;; [unrolled: 13-line block ×3, first 2 shown]
	;;#ASMSTART
	v_dot2_f32_f16 v121, v13, v9, v121
	;;#ASMEND
	;;#ASMSTART
	v_dot2_f32_f16 v121, v14, v10, v121
	;;#ASMEND
	;; [unrolled: 3-line block ×4, first 2 shown]
	s_waitcnt lgkmcnt(1)
	;;#ASMSTART
	v_dot2_f32_f16 v124, v17, v5, v124
	;;#ASMEND
	;;#ASMSTART
	v_dot2_f32_f16 v124, v18, v6, v124
	;;#ASMEND
	;; [unrolled: 3-line block ×8, first 2 shown]
	s_waitcnt lgkmcnt(0)
	;;#ASMSTART
	v_dot2_f32_f16 v125, v21, v5, v125
	;;#ASMEND
	;;#ASMSTART
	v_dot2_f32_f16 v125, v22, v6, v125
	;;#ASMEND
	;; [unrolled: 3-line block ×8, first 2 shown]
	ds_read_b128 v[1:4], v78 offset:112
	ds_read_b128 v[5:8], v69 offset:112
	;; [unrolled: 1-line block ×6, first 2 shown]
	s_waitcnt lgkmcnt(4)
	;;#ASMSTART
	v_dot2_f32_f16 v118, v1, v5, v118
	;;#ASMEND
	;;#ASMSTART
	v_dot2_f32_f16 v118, v2, v6, v118
	;;#ASMEND
	;; [unrolled: 3-line block ×4, first 2 shown]
	s_waitcnt lgkmcnt(3)
	;;#ASMSTART
	v_dot2_f32_f16 v119, v1, v9, v119
	;;#ASMEND
	;;#ASMSTART
	v_dot2_f32_f16 v119, v2, v10, v119
	;;#ASMEND
	;; [unrolled: 3-line block ×3, first 2 shown]
	v_ashrrev_i32_e32 v127, 31, v126
	;;#ASMSTART
	v_dot2_f32_f16 v119, v4, v12, v119
	;;#ASMEND
	s_waitcnt lgkmcnt(2)
	;;#ASMSTART
	v_dot2_f32_f16 v120, v13, v5, v120
	;;#ASMEND
	;;#ASMSTART
	v_dot2_f32_f16 v120, v14, v6, v120
	;;#ASMEND
	;; [unrolled: 3-line block ×6, first 2 shown]
	v_lshlrev_b64 v[126:127], 1, v[126:127]
	;;#ASMSTART
	v_dot2_f32_f16 v121, v15, v11, v121
	;;#ASMEND
	;;#ASMSTART
	v_dot2_f32_f16 v121, v16, v12, v121
	;;#ASMEND
	s_waitcnt lgkmcnt(1)
	;;#ASMSTART
	v_dot2_f32_f16 v124, v17, v5, v124
	;;#ASMEND
	;;#ASMSTART
	v_dot2_f32_f16 v124, v18, v6, v124
	;;#ASMEND
	;; [unrolled: 3-line block ×6, first 2 shown]
	v_add_co_u32 v126, vcc_lo, s36, v126
	;;#ASMSTART
	v_dot2_f32_f16 v122, v19, v11, v122
	;;#ASMEND
	;;#ASMSTART
	v_dot2_f32_f16 v122, v20, v12, v122
	;;#ASMEND
	s_waitcnt lgkmcnt(0)
	;;#ASMSTART
	v_dot2_f32_f16 v125, v21, v5, v125
	;;#ASMEND
	v_add_co_ci_u32_e64 v127, null, s37, v127, vcc_lo
	;;#ASMSTART
	v_dot2_f32_f16 v125, v22, v6, v125
	;;#ASMEND
	;;#ASMSTART
	v_dot2_f32_f16 v125, v23, v7, v125
	;;#ASMEND
	;; [unrolled: 3-line block ×7, first 2 shown]
	s_clause 0x3
	global_load_ushort v138, v[126:127], off
	global_load_ushort v139, v[126:127], off offset:64
	global_load_ushort v140, v[126:127], off offset:128
	;; [unrolled: 1-line block ×3, first 2 shown]
	v_cmp_gt_i32_e32 vcc_lo, 32, v82
	s_lshl_b64 s[0:1], s[0:1], 2
	v_mov_b32_e32 v2, v67
	s_add_u32 s8, s12, s0
	s_addc_u32 s24, s13, s1
	v_cndmask_b32_e32 v3, v70, v82, vcc_lo
	v_cmp_gt_i32_e32 vcc_lo, 32, v77
	v_add_co_u32 v8, s2, s8, v59
	v_add_co_u32 v10, s3, s8, v61
	v_cndmask_b32_e32 v4, v70, v77, vcc_lo
	v_cmp_gt_i32_e32 vcc_lo, 32, v76
	v_lshlrev_b32_e32 v142, 2, v3
	v_add_co_u32 v11, s6, s8, v63
	v_lshlrev_b32_e32 v143, 2, v4
	v_cndmask_b32_e32 v5, v70, v76, vcc_lo
	v_cmp_gt_i32_e32 vcc_lo, 32, v75
	v_add_co_u32 v4, s0, s8, v55
	v_add_co_u32 v12, s7, s8, v65
	v_cndmask_b32_e32 v6, v70, v75, vcc_lo
	v_cmp_gt_i32_e32 vcc_lo, 32, v74
	v_add_co_ci_u32_e64 v16, null, s24, v56, s0
	v_add_co_ci_u32_e64 v20, null, s24, v64, s6
	v_cndmask_b32_e32 v7, v70, v74, vcc_lo
	v_lshlrev_b32_e32 v145, 2, v6
	v_add_co_u32 v3, vcc_lo, s8, v53
	v_add_co_u32 v6, s1, s8, v57
	v_add_co_u32 v13, s8, s8, v51
	v_add_co_ci_u32_e64 v14, null, s24, v52, s8
	v_add_co_ci_u32_e64 v15, null, s24, v54, vcc_lo
	v_add_co_ci_u32_e64 v17, null, s24, v58, s1
	v_add_co_u32 v67, s6, v11, v96
	v_add_co_u32 v11, s8, v13, v96
	v_add_co_ci_u32_e64 v18, null, s24, v60, s2
	v_add_co_ci_u32_e64 v21, null, s24, v66, s7
	v_add_co_u32 v3, vcc_lo, v3, v96
	v_lshlrev_b32_e32 v144, 2, v5
	v_add_co_ci_u32_e64 v19, null, s24, v62, s3
	v_add_co_u32 v5, s0, v4, v96
	v_add_co_u32 v134, s7, v12, v96
	v_add_co_ci_u32_e64 v12, null, 0, v14, s8
	v_lshlrev_b32_e32 v146, 2, v7
	v_add_co_u32 v7, s1, v6, v96
	v_add_co_ci_u32_e64 v4, null, 0, v15, vcc_lo
	v_add_co_u32 v9, s2, v8, v96
	v_add_co_ci_u32_e64 v6, null, 0, v16, s0
	v_add_co_u32 v31, s3, v10, v96
	v_add_co_ci_u32_e64 v8, null, 0, v17, s1
	v_add_co_ci_u32_e64 v10, null, 0, v18, s2
	;; [unrolled: 1-line block ×3, first 2 shown]
	v_mov_b32_e32 v1, v68
	v_add_co_ci_u32_e64 v32, null, 0, v19, s3
	v_add_co_ci_u32_e64 v68, null, 0, v20, s6
	s_waitcnt vmcnt(0)
	s_barrier
	buffer_gl0_inv
	s_clause 0x7
	global_load_dwordx4 v[11:14], v[11:12], off
	global_load_dwordx4 v[15:18], v[3:4], off
	;; [unrolled: 1-line block ×8, first 2 shown]
	v_cvt_f32_f16_e32 v3, v138
	v_cvt_f32_f16_e32 v4, v139
	;; [unrolled: 1-line block ×4, first 2 shown]
	v_add_f32_e32 v7, v118, v3
	v_add_f32_e32 v8, v120, v4
	;; [unrolled: 1-line block ×16, first 2 shown]
	v_max3_f32 v31, v2, v31, v32
	v_max3_f32 v32, v1, v118, v119
	;; [unrolled: 1-line block ×4, first 2 shown]
	ds_bpermute_b32 v67, v142, v31
	ds_bpermute_b32 v68, v142, v32
	s_waitcnt lgkmcnt(1)
	v_max_f32_e32 v67, v67, v67
	s_waitcnt lgkmcnt(0)
	v_max_f32_e32 v68, v68, v68
	v_max_f32_e32 v31, v31, v67
	v_max_f32_e32 v32, v32, v68
	ds_bpermute_b32 v67, v143, v31
	ds_bpermute_b32 v68, v143, v32
	s_waitcnt lgkmcnt(1)
	v_max_f32_e32 v67, v67, v67
	s_waitcnt lgkmcnt(0)
	v_max_f32_e32 v68, v68, v68
	v_max_f32_e32 v31, v31, v67
	v_max_f32_e32 v32, v32, v68
	;; [unrolled: 8-line block ×5, first 2 shown]
	v_sub_f32_e32 v7, v7, v67
	v_sub_f32_e32 v8, v8, v67
	;; [unrolled: 1-line block ×8, first 2 shown]
	v_mul_f32_e32 v31, 0x3fb8aa3b, v7
	v_mul_f32_e32 v32, 0x3fb8aa3b, v8
	v_mul_f32_e32 v118, 0x3fb8aa3b, v9
	v_mul_f32_e32 v119, 0x3fb8aa3b, v10
	v_mul_f32_e32 v121, 0x3fb8aa3b, v3
	v_mul_f32_e32 v122, 0x3fb8aa3b, v4
	v_mul_f32_e32 v123, 0x3fb8aa3b, v5
	v_mul_f32_e32 v124, 0x3fb8aa3b, v6
	v_fma_f32 v138, 0x3fb8aa3b, v7, -v31
	v_rndne_f32_e32 v139, v31
	v_fma_f32 v140, 0x3fb8aa3b, v8, -v32
	v_rndne_f32_e32 v141, v32
	;; [unrolled: 2-line block ×8, first 2 shown]
	v_fmac_f32_e32 v138, 0x32a5705f, v7
	v_sub_f32_e32 v31, v31, v139
	v_fmac_f32_e32 v140, 0x32a5705f, v8
	v_sub_f32_e32 v32, v32, v141
	;; [unrolled: 2-line block ×8, first 2 shown]
	v_add_f32_e32 v31, v31, v138
	v_add_f32_e32 v32, v32, v140
	;; [unrolled: 1-line block ×8, first 2 shown]
	v_exp_f32_e32 v31, v31
	v_exp_f32_e32 v32, v32
	;; [unrolled: 1-line block ×8, first 2 shown]
	v_sub_f32_e32 v2, v2, v67
	v_sub_f32_e32 v1, v1, v68
	v_cvt_i32_f32_e32 v139, v139
	v_cvt_i32_f32_e32 v141, v141
	;; [unrolled: 1-line block ×8, first 2 shown]
	v_mul_f32_e32 v120, 0x3fb8aa3b, v2
	v_mul_f32_e32 v125, 0x3fb8aa3b, v1
	v_ldexp_f32 v31, v31, v139
	v_ldexp_f32 v32, v32, v141
	v_cmp_ngt_f32_e32 vcc_lo, 0xc2ce8ed0, v8
	v_ldexp_f32 v118, v118, v143
	v_cmp_ngt_f32_e64 s0, 0xc2ce8ed0, v9
	v_ldexp_f32 v119, v119, v145
	v_cmp_ngt_f32_e64 s1, 0xc2ce8ed0, v10
	;; [unrolled: 2-line block ×4, first 2 shown]
	v_cmp_ngt_f32_e64 s8, 0xc2ce8ed0, v7
	v_ldexp_f32 v123, v123, v153
	v_cmp_ngt_f32_e64 s6, 0xc2ce8ed0, v5
	v_ldexp_f32 v124, v124, v155
	v_cmp_ngt_f32_e64 s7, 0xc2ce8ed0, v6
	v_fma_f32 v146, 0x3fb8aa3b, v2, -v120
	v_rndne_f32_e32 v147, v120
	v_fma_f32 v156, 0x3fb8aa3b, v1, -v125
	v_rndne_f32_e32 v157, v125
	v_cndmask_b32_e64 v31, 0, v31, s8
	v_cndmask_b32_e32 v32, 0, v32, vcc_lo
	v_cmp_nlt_f32_e32 vcc_lo, 0x42b17218, v8
	v_cndmask_b32_e64 v8, 0, v118, s0
	v_cmp_nlt_f32_e64 s0, 0x42b17218, v9
	v_cndmask_b32_e64 v118, 0, v119, s1
	v_cndmask_b32_e64 v119, 0, v121, s2
	v_cmp_nlt_f32_e64 s2, 0x42b17218, v3
	v_cndmask_b32_e64 v3, 0, v122, s3
	v_cmp_nlt_f32_e64 s3, 0x42b17218, v4
	v_cmp_nlt_f32_e64 s8, 0x42b17218, v7
	;; [unrolled: 1-line block ×3, first 2 shown]
	v_cndmask_b32_e64 v121, 0, v123, s6
	v_cmp_nlt_f32_e64 s6, 0x42b17218, v5
	v_cndmask_b32_e64 v122, 0, v124, s7
	v_cmp_nlt_f32_e64 s7, 0x42b17218, v6
	v_fmac_f32_e32 v146, 0x32a5705f, v2
	v_sub_f32_e32 v120, v120, v147
	v_fmac_f32_e32 v156, 0x32a5705f, v1
	v_sub_f32_e32 v125, v125, v157
	v_cndmask_b32_e64 v9, 0x7f800000, v31, s8
	v_cndmask_b32_e32 v10, 0x7f800000, v32, vcc_lo
	v_cndmask_b32_e64 v6, 0x7f800000, v8, s0
	v_cndmask_b32_e64 v7, 0x7f800000, v119, s2
	v_cndmask_b32_e64 v8, 0x7f800000, v3, s3
	v_cndmask_b32_e64 v4, 0x7f800000, v118, s1
	v_cndmask_b32_e64 v5, 0x7f800000, v121, s6
	v_cndmask_b32_e64 v3, 0x7f800000, v122, s7
	v_add_f32_e32 v120, v120, v146
	v_add_f32_e32 v125, v125, v156
	v_cvt_f16_f32_e32 v31, v9
	v_cvt_f16_f32_e32 v32, v10
	;; [unrolled: 1-line block ×8, first 2 shown]
	v_exp_f32_e32 v120, v120
	v_exp_f32_e32 v125, v125
	v_pack_b32_f16 v31, v31, v121
	v_pack_b32_f16 v32, v32, v122
	;; [unrolled: 1-line block ×4, first 2 shown]
	v_cvt_i32_f32_e32 v147, v147
	v_cvt_i32_f32_e32 v157, v157
	ds_write2_b32 v97, v31, v32 offset1:32
	ds_write2_b32 v97, v118, v119 offset0:64 offset1:96
	s_waitcnt vmcnt(7)
	ds_write_b128 v79, v[11:14]
	s_waitcnt vmcnt(6)
	ds_write_b128 v89, v[15:18]
	;; [unrolled: 2-line block ×8, first 2 shown]
	s_waitcnt lgkmcnt(0)
	s_barrier
	buffer_gl0_inv
	ds_read_b128 v[11:14], v88
	v_ldexp_f32 v120, v120, v147
	v_ldexp_f32 v125, v125, v157
	v_cmp_ngt_f32_e32 vcc_lo, 0xc2ce8ed0, v1
	v_cmp_ngt_f32_e64 s0, 0xc2ce8ed0, v2
	ds_read2_b32 v[19:20], v71 offset1:32
	v_cndmask_b32_e32 v16, 0, v125, vcc_lo
	v_cndmask_b32_e64 v15, 0, v120, s0
	v_cmp_nlt_f32_e32 vcc_lo, 0x42b17218, v1
	v_cmp_nlt_f32_e64 s0, 0x42b17218, v2
	v_cndmask_b32_e32 v1, 0x7f800000, v16, vcc_lo
	v_cndmask_b32_e64 v2, 0x7f800000, v15, s0
	ds_read2_b32 v[21:22], v71 offset0:64 offset1:96
	ds_read_b128 v[15:18], v88 offset:16
	v_cvt_f16_f32_e32 v24, v1
	v_cvt_f16_f32_e32 v23, v2
	s_waitcnt lgkmcnt(3)
	v_mul_u32_u24_sdwa v25, v11, v98 dst_sel:DWORD dst_unused:UNUSED_PAD src0_sel:WORD_0 src1_sel:DWORD
	v_mul_u32_u24_sdwa v11, v11, v98 dst_sel:DWORD dst_unused:UNUSED_PAD src0_sel:WORD_1 src1_sel:DWORD
	v_mul_u32_u24_sdwa v28, v14, v98 dst_sel:DWORD dst_unused:UNUSED_PAD src0_sel:WORD_1 src1_sel:DWORD
	v_mul_u32_u24_sdwa v27, v24, v98 dst_sel:DWORD dst_unused:UNUSED_PAD src0_sel:WORD_0 src1_sel:DWORD
	v_mul_u32_u24_sdwa v26, v23, v98 dst_sel:DWORD dst_unused:UNUSED_PAD src0_sel:WORD_0 src1_sel:DWORD
	s_waitcnt lgkmcnt(2)
	v_pk_mul_f16 v25, v19, v25
	v_pk_mul_f16 v11, v19, v11
	ds_read2_b32 v[23:24], v71 offset0:128 offset1:160
	v_mul_u32_u24_sdwa v19, v12, v98 dst_sel:DWORD dst_unused:UNUSED_PAD src0_sel:WORD_0 src1_sel:DWORD
	v_mul_u32_u24_sdwa v12, v12, v98 dst_sel:DWORD dst_unused:UNUSED_PAD src0_sel:WORD_1 src1_sel:DWORD
	v_pk_fma_f16 v25, v117, v26, v25
	v_pk_fma_f16 v11, v116, v27, v11
	v_mul_u32_u24_sdwa v26, v13, v98 dst_sel:DWORD dst_unused:UNUSED_PAD src0_sel:WORD_0 src1_sel:DWORD
	v_mul_u32_u24_sdwa v13, v13, v98 dst_sel:DWORD dst_unused:UNUSED_PAD src0_sel:WORD_1 src1_sel:DWORD
	v_mul_u32_u24_sdwa v27, v14, v98 dst_sel:DWORD dst_unused:UNUSED_PAD src0_sel:WORD_0 src1_sel:DWORD
	v_pk_fma_f16 v25, v20, v19, v25
	v_pk_fma_f16 v11, v20, v12, v11
	ds_read2_b32 v[19:20], v71 offset0:192 offset1:224
	s_waitcnt lgkmcnt(3)
	v_pk_fma_f16 v25, v21, v26, v25
	v_pk_fma_f16 v21, v21, v13, v11
	ds_read_b128 v[11:14], v88 offset:32
	s_waitcnt lgkmcnt(3)
	v_mul_u32_u24_sdwa v26, v15, v98 dst_sel:DWORD dst_unused:UNUSED_PAD src0_sel:WORD_0 src1_sel:DWORD
	v_mul_u32_u24_sdwa v15, v15, v98 dst_sel:DWORD dst_unused:UNUSED_PAD src0_sel:WORD_1 src1_sel:DWORD
	v_pk_fma_f16 v25, v22, v27, v25
	v_pk_fma_f16 v27, v22, v28, v21
	ds_read2_b32 v[21:22], v99 offset1:32
	v_mul_u32_u24_sdwa v28, v16, v98 dst_sel:DWORD dst_unused:UNUSED_PAD src0_sel:WORD_0 src1_sel:DWORD
	v_mul_u32_u24_sdwa v16, v16, v98 dst_sel:DWORD dst_unused:UNUSED_PAD src0_sel:WORD_1 src1_sel:DWORD
	s_waitcnt lgkmcnt(3)
	v_pk_fma_f16 v25, v23, v26, v25
	v_pk_fma_f16 v15, v23, v15, v27
	v_mul_u32_u24_sdwa v26, v17, v98 dst_sel:DWORD dst_unused:UNUSED_PAD src0_sel:WORD_0 src1_sel:DWORD
	v_mul_u32_u24_sdwa v17, v17, v98 dst_sel:DWORD dst_unused:UNUSED_PAD src0_sel:WORD_1 src1_sel:DWORD
	v_mul_u32_u24_sdwa v27, v18, v98 dst_sel:DWORD dst_unused:UNUSED_PAD src0_sel:WORD_0 src1_sel:DWORD
	v_pk_fma_f16 v25, v24, v28, v25
	v_pk_fma_f16 v15, v24, v16, v15
	ds_read2_b32 v[23:24], v99 offset0:64 offset1:96
	v_mul_u32_u24_sdwa v28, v18, v98 dst_sel:DWORD dst_unused:UNUSED_PAD src0_sel:WORD_1 src1_sel:DWORD
	s_waitcnt lgkmcnt(3)
	v_pk_fma_f16 v25, v19, v26, v25
	v_pk_fma_f16 v19, v19, v17, v15
	ds_read_b128 v[15:18], v88 offset:48
	s_waitcnt lgkmcnt(3)
	v_mul_u32_u24_sdwa v26, v11, v98 dst_sel:DWORD dst_unused:UNUSED_PAD src0_sel:WORD_0 src1_sel:DWORD
	v_mul_u32_u24_sdwa v11, v11, v98 dst_sel:DWORD dst_unused:UNUSED_PAD src0_sel:WORD_1 src1_sel:DWORD
	v_pk_fma_f16 v25, v20, v27, v25
	v_pk_fma_f16 v27, v20, v28, v19
	ds_read2_b32 v[19:20], v99 offset0:128 offset1:160
	v_mul_u32_u24_sdwa v28, v12, v98 dst_sel:DWORD dst_unused:UNUSED_PAD src0_sel:WORD_0 src1_sel:DWORD
	v_mul_u32_u24_sdwa v12, v12, v98 dst_sel:DWORD dst_unused:UNUSED_PAD src0_sel:WORD_1 src1_sel:DWORD
	s_waitcnt lgkmcnt(3)
	v_pk_fma_f16 v25, v21, v26, v25
	v_pk_fma_f16 v11, v21, v11, v27
	v_mul_u32_u24_sdwa v26, v13, v98 dst_sel:DWORD dst_unused:UNUSED_PAD src0_sel:WORD_0 src1_sel:DWORD
	v_mul_u32_u24_sdwa v13, v13, v98 dst_sel:DWORD dst_unused:UNUSED_PAD src0_sel:WORD_1 src1_sel:DWORD
	v_mul_u32_u24_sdwa v27, v14, v98 dst_sel:DWORD dst_unused:UNUSED_PAD src0_sel:WORD_0 src1_sel:DWORD
	v_pk_fma_f16 v25, v22, v28, v25
	v_pk_fma_f16 v11, v22, v12, v11
	ds_read2_b32 v[21:22], v99 offset0:192 offset1:224
	v_mul_u32_u24_sdwa v28, v14, v98 dst_sel:DWORD dst_unused:UNUSED_PAD src0_sel:WORD_1 src1_sel:DWORD
	s_waitcnt lgkmcnt(3)
	v_pk_fma_f16 v25, v23, v26, v25
	v_pk_fma_f16 v23, v23, v13, v11
	ds_read_b128 v[11:14], v88 offset:64
	s_waitcnt lgkmcnt(3)
	v_mul_u32_u24_sdwa v26, v15, v98 dst_sel:DWORD dst_unused:UNUSED_PAD src0_sel:WORD_0 src1_sel:DWORD
	v_mul_u32_u24_sdwa v15, v15, v98 dst_sel:DWORD dst_unused:UNUSED_PAD src0_sel:WORD_1 src1_sel:DWORD
	v_pk_fma_f16 v25, v24, v27, v25
	v_pk_fma_f16 v27, v24, v28, v23
	ds_read2_b32 v[23:24], v100 offset1:32
	v_mul_u32_u24_sdwa v28, v16, v98 dst_sel:DWORD dst_unused:UNUSED_PAD src0_sel:WORD_0 src1_sel:DWORD
	v_mul_u32_u24_sdwa v16, v16, v98 dst_sel:DWORD dst_unused:UNUSED_PAD src0_sel:WORD_1 src1_sel:DWORD
	s_waitcnt lgkmcnt(3)
	v_pk_fma_f16 v25, v19, v26, v25
	v_pk_fma_f16 v15, v19, v15, v27
	v_mul_u32_u24_sdwa v26, v17, v98 dst_sel:DWORD dst_unused:UNUSED_PAD src0_sel:WORD_0 src1_sel:DWORD
	v_mul_u32_u24_sdwa v17, v17, v98 dst_sel:DWORD dst_unused:UNUSED_PAD src0_sel:WORD_1 src1_sel:DWORD
	v_mul_u32_u24_sdwa v27, v18, v98 dst_sel:DWORD dst_unused:UNUSED_PAD src0_sel:WORD_0 src1_sel:DWORD
	v_pk_fma_f16 v25, v20, v28, v25
	v_pk_fma_f16 v15, v20, v16, v15
	ds_read2_b32 v[19:20], v100 offset0:64 offset1:96
	v_mul_u32_u24_sdwa v28, v18, v98 dst_sel:DWORD dst_unused:UNUSED_PAD src0_sel:WORD_1 src1_sel:DWORD
	s_waitcnt lgkmcnt(3)
	v_pk_fma_f16 v25, v21, v26, v25
	v_pk_fma_f16 v21, v21, v17, v15
	ds_read_b128 v[15:18], v88 offset:80
	s_waitcnt lgkmcnt(3)
	v_mul_u32_u24_sdwa v26, v11, v98 dst_sel:DWORD dst_unused:UNUSED_PAD src0_sel:WORD_0 src1_sel:DWORD
	v_mul_u32_u24_sdwa v11, v11, v98 dst_sel:DWORD dst_unused:UNUSED_PAD src0_sel:WORD_1 src1_sel:DWORD
	v_pk_fma_f16 v25, v22, v27, v25
	v_pk_fma_f16 v27, v22, v28, v21
	ds_read2_b32 v[21:22], v100 offset0:128 offset1:160
	v_mul_u32_u24_sdwa v28, v12, v98 dst_sel:DWORD dst_unused:UNUSED_PAD src0_sel:WORD_0 src1_sel:DWORD
	v_mul_u32_u24_sdwa v12, v12, v98 dst_sel:DWORD dst_unused:UNUSED_PAD src0_sel:WORD_1 src1_sel:DWORD
	s_waitcnt lgkmcnt(3)
	v_pk_fma_f16 v25, v23, v26, v25
	v_pk_fma_f16 v11, v23, v11, v27
	v_mul_u32_u24_sdwa v26, v13, v98 dst_sel:DWORD dst_unused:UNUSED_PAD src0_sel:WORD_0 src1_sel:DWORD
	v_mul_u32_u24_sdwa v13, v13, v98 dst_sel:DWORD dst_unused:UNUSED_PAD src0_sel:WORD_1 src1_sel:DWORD
	v_mul_u32_u24_sdwa v27, v14, v98 dst_sel:DWORD dst_unused:UNUSED_PAD src0_sel:WORD_0 src1_sel:DWORD
	v_pk_fma_f16 v25, v24, v28, v25
	v_pk_fma_f16 v11, v24, v12, v11
	ds_read2_b32 v[23:24], v100 offset0:192 offset1:224
	v_mul_u32_u24_sdwa v28, v14, v98 dst_sel:DWORD dst_unused:UNUSED_PAD src0_sel:WORD_1 src1_sel:DWORD
	;; [unrolled: 44-line block ×10, first 2 shown]
	v_mov_b32_e32 v11, v114
	s_waitcnt lgkmcnt(3)
	v_pk_fma_f16 v30, v23, v21, v20
	v_pk_fma_f16 v12, v23, v13, v12
	ds_read_b128 v[19:22], v88 offset:352
	s_waitcnt lgkmcnt(3)
	v_mul_u32_u24_sdwa v13, v15, v98 dst_sel:DWORD dst_unused:UNUSED_PAD src0_sel:WORD_0 src1_sel:DWORD
	v_mul_u32_u24_sdwa v15, v15, v98 dst_sel:DWORD dst_unused:UNUSED_PAD src0_sel:WORD_1 src1_sel:DWORD
	v_pk_fma_f16 v29, v24, v29, v30
	v_pk_fma_f16 v12, v24, v14, v12
	ds_read2_b32 v[23:24], v109 offset1:32
	v_mul_u32_u24_sdwa v14, v16, v98 dst_sel:DWORD dst_unused:UNUSED_PAD src0_sel:WORD_0 src1_sel:DWORD
	v_mul_u32_u24_sdwa v16, v16, v98 dst_sel:DWORD dst_unused:UNUSED_PAD src0_sel:WORD_1 src1_sel:DWORD
	s_waitcnt lgkmcnt(3)
	v_pk_fma_f16 v13, v25, v13, v29
	v_pk_fma_f16 v12, v25, v15, v12
	v_mul_u32_u24_sdwa v15, v17, v98 dst_sel:DWORD dst_unused:UNUSED_PAD src0_sel:WORD_0 src1_sel:DWORD
	v_mul_u32_u24_sdwa v17, v17, v98 dst_sel:DWORD dst_unused:UNUSED_PAD src0_sel:WORD_1 src1_sel:DWORD
	v_mov_b32_e32 v29, v115
	v_pk_fma_f16 v13, v26, v14, v13
	v_pk_fma_f16 v12, v26, v16, v12
	ds_read2_b32 v[25:26], v109 offset0:64 offset1:96
	v_mul_u32_u24_sdwa v16, v18, v98 dst_sel:DWORD dst_unused:UNUSED_PAD src0_sel:WORD_0 src1_sel:DWORD
	v_mul_u32_u24_sdwa v18, v18, v98 dst_sel:DWORD dst_unused:UNUSED_PAD src0_sel:WORD_1 src1_sel:DWORD
	s_waitcnt lgkmcnt(3)
	v_pk_fma_f16 v30, v27, v15, v13
	v_pk_fma_f16 v17, v27, v17, v12
	ds_read_b128 v[12:15], v88 offset:368
	s_waitcnt lgkmcnt(3)
	v_mul_u32_u24_sdwa v31, v19, v98 dst_sel:DWORD dst_unused:UNUSED_PAD src0_sel:WORD_0 src1_sel:DWORD
	v_mul_u32_u24_sdwa v19, v19, v98 dst_sel:DWORD dst_unused:UNUSED_PAD src0_sel:WORD_1 src1_sel:DWORD
	v_pk_fma_f16 v16, v28, v16, v30
	v_pk_fma_f16 v17, v28, v18, v17
	ds_read2_b32 v[27:28], v109 offset0:128 offset1:160
	v_mul_u32_u24_sdwa v18, v20, v98 dst_sel:DWORD dst_unused:UNUSED_PAD src0_sel:WORD_0 src1_sel:DWORD
	v_mul_u32_u24_sdwa v20, v20, v98 dst_sel:DWORD dst_unused:UNUSED_PAD src0_sel:WORD_1 src1_sel:DWORD
	s_waitcnt lgkmcnt(3)
	v_pk_fma_f16 v16, v23, v31, v16
	v_pk_fma_f16 v17, v23, v19, v17
	v_add_f32_e32 v30, v9, v10
	v_mul_u32_u24_sdwa v9, v21, v98 dst_sel:DWORD dst_unused:UNUSED_PAD src0_sel:WORD_0 src1_sel:DWORD
	v_mul_u32_u24_sdwa v10, v21, v98 dst_sel:DWORD dst_unused:UNUSED_PAD src0_sel:WORD_1 src1_sel:DWORD
	v_pk_fma_f16 v16, v24, v18, v16
	v_pk_fma_f16 v17, v24, v20, v17
	ds_read2_b32 v[20:21], v109 offset0:192 offset1:224
	v_mul_u32_u24_sdwa v23, v22, v98 dst_sel:DWORD dst_unused:UNUSED_PAD src0_sel:WORD_0 src1_sel:DWORD
	v_mul_u32_u24_sdwa v22, v22, v98 dst_sel:DWORD dst_unused:UNUSED_PAD src0_sel:WORD_1 src1_sel:DWORD
	s_waitcnt lgkmcnt(3)
	v_pk_fma_f16 v9, v25, v9, v16
	v_pk_fma_f16 v10, v25, v10, v17
	ds_read_b128 v[16:19], v88 offset:384
	s_waitcnt lgkmcnt(3)
	v_mul_u32_u24_sdwa v24, v12, v98 dst_sel:DWORD dst_unused:UNUSED_PAD src0_sel:WORD_0 src1_sel:DWORD
	v_mul_u32_u24_sdwa v12, v12, v98 dst_sel:DWORD dst_unused:UNUSED_PAD src0_sel:WORD_1 src1_sel:DWORD
	v_pk_fma_f16 v9, v26, v23, v9
	v_pk_fma_f16 v10, v26, v22, v10
	ds_read2_b32 v[22:23], v110 offset1:32
	v_mul_u32_u24_sdwa v25, v13, v98 dst_sel:DWORD dst_unused:UNUSED_PAD src0_sel:WORD_0 src1_sel:DWORD
	v_mul_u32_u24_sdwa v13, v13, v98 dst_sel:DWORD dst_unused:UNUSED_PAD src0_sel:WORD_1 src1_sel:DWORD
	s_waitcnt lgkmcnt(3)
	v_pk_fma_f16 v9, v27, v24, v9
	v_pk_fma_f16 v10, v27, v12, v10
	v_add_f32_e32 v26, v7, v8
	v_mul_u32_u24_sdwa v7, v14, v98 dst_sel:DWORD dst_unused:UNUSED_PAD src0_sel:WORD_0 src1_sel:DWORD
	v_mul_u32_u24_sdwa v8, v14, v98 dst_sel:DWORD dst_unused:UNUSED_PAD src0_sel:WORD_1 src1_sel:DWORD
	v_pk_fma_f16 v9, v28, v25, v9
	v_pk_fma_f16 v10, v28, v13, v10
	ds_read2_b32 v[24:25], v110 offset0:64 offset1:96
	v_mul_u32_u24_sdwa v12, v15, v98 dst_sel:DWORD dst_unused:UNUSED_PAD src0_sel:WORD_0 src1_sel:DWORD
	v_mul_u32_u24_sdwa v13, v15, v98 dst_sel:DWORD dst_unused:UNUSED_PAD src0_sel:WORD_1 src1_sel:DWORD
	s_waitcnt lgkmcnt(3)
	v_pk_fma_f16 v14, v20, v7, v9
	v_pk_fma_f16 v15, v20, v8, v10
	ds_read_b128 v[7:10], v88 offset:400
	s_waitcnt lgkmcnt(3)
	v_mul_u32_u24_sdwa v27, v16, v98 dst_sel:DWORD dst_unused:UNUSED_PAD src0_sel:WORD_0 src1_sel:DWORD
	v_mul_u32_u24_sdwa v16, v16, v98 dst_sel:DWORD dst_unused:UNUSED_PAD src0_sel:WORD_1 src1_sel:DWORD
	v_pk_fma_f16 v12, v21, v12, v14
	v_pk_fma_f16 v13, v21, v13, v15
	ds_read2_b32 v[20:21], v110 offset0:128 offset1:160
	v_mul_u32_u24_sdwa v14, v17, v98 dst_sel:DWORD dst_unused:UNUSED_PAD src0_sel:WORD_0 src1_sel:DWORD
	v_mul_u32_u24_sdwa v15, v17, v98 dst_sel:DWORD dst_unused:UNUSED_PAD src0_sel:WORD_1 src1_sel:DWORD
	s_waitcnt lgkmcnt(3)
	v_pk_fma_f16 v12, v22, v27, v12
	v_pk_fma_f16 v13, v22, v16, v13
	v_add_f32_e32 v22, v6, v30
	v_mul_u32_u24_sdwa v6, v18, v98 dst_sel:DWORD dst_unused:UNUSED_PAD src0_sel:WORD_0 src1_sel:DWORD
	v_mul_u32_u24_sdwa v18, v18, v98 dst_sel:DWORD dst_unused:UNUSED_PAD src0_sel:WORD_1 src1_sel:DWORD
	v_pk_fma_f16 v12, v23, v14, v12
	v_pk_fma_f16 v13, v23, v15, v13
	ds_read2_b32 v[16:17], v110 offset0:192 offset1:224
	v_mul_u32_u24_sdwa v23, v19, v98 dst_sel:DWORD dst_unused:UNUSED_PAD src0_sel:WORD_0 src1_sel:DWORD
	v_mul_u32_u24_sdwa v19, v19, v98 dst_sel:DWORD dst_unused:UNUSED_PAD src0_sel:WORD_1 src1_sel:DWORD
	s_waitcnt lgkmcnt(3)
	v_pk_fma_f16 v6, v24, v6, v12
	v_pk_fma_f16 v18, v24, v18, v13
	ds_read_b128 v[12:15], v88 offset:416
	s_waitcnt lgkmcnt(3)
	v_mul_u32_u24_sdwa v24, v7, v98 dst_sel:DWORD dst_unused:UNUSED_PAD src0_sel:WORD_0 src1_sel:DWORD
	v_mul_u32_u24_sdwa v7, v7, v98 dst_sel:DWORD dst_unused:UNUSED_PAD src0_sel:WORD_1 src1_sel:DWORD
	v_pk_fma_f16 v6, v25, v23, v6
	v_pk_fma_f16 v23, v25, v19, v18
	ds_read2_b32 v[18:19], v111 offset1:32
	v_mul_u32_u24_sdwa v25, v8, v98 dst_sel:DWORD dst_unused:UNUSED_PAD src0_sel:WORD_0 src1_sel:DWORD
	v_mul_u32_u24_sdwa v8, v8, v98 dst_sel:DWORD dst_unused:UNUSED_PAD src0_sel:WORD_1 src1_sel:DWORD
	s_waitcnt lgkmcnt(3)
	v_pk_fma_f16 v6, v20, v24, v6
	v_pk_fma_f16 v7, v20, v7, v23
	v_add_f32_e32 v23, v5, v26
	v_mul_u32_u24_sdwa v5, v9, v98 dst_sel:DWORD dst_unused:UNUSED_PAD src0_sel:WORD_0 src1_sel:DWORD
	v_mul_u32_u24_sdwa v9, v9, v98 dst_sel:DWORD dst_unused:UNUSED_PAD src0_sel:WORD_1 src1_sel:DWORD
	;; [unrolled: 46-line block ×3, first 2 shown]
	v_pk_fma_f16 v4, v10, v22, v4
	v_pk_fma_f16 v5, v10, v6, v5
	ds_read2_b32 v[20:21], v112 offset0:64 offset1:96
	v_mul_u32_u24_sdwa v9, v8, v98 dst_sel:DWORD dst_unused:UNUSED_PAD src0_sel:WORD_0 src1_sel:DWORD
	v_mul_u32_u24_sdwa v8, v8, v98 dst_sel:DWORD dst_unused:UNUSED_PAD src0_sel:WORD_1 src1_sel:DWORD
	s_waitcnt lgkmcnt(3)
	v_pk_fma_f16 v10, v16, v3, v4
	v_pk_fma_f16 v7, v16, v7, v5
	ds_read_b128 v[3:6], v88 offset:464
	s_waitcnt lgkmcnt(3)
	v_mul_u32_u24_sdwa v22, v12, v98 dst_sel:DWORD dst_unused:UNUSED_PAD src0_sel:WORD_0 src1_sel:DWORD
	v_mul_u32_u24_sdwa v12, v12, v98 dst_sel:DWORD dst_unused:UNUSED_PAD src0_sel:WORD_1 src1_sel:DWORD
	v_pk_fma_f16 v9, v17, v9, v10
	v_pk_fma_f16 v7, v17, v8, v7
	ds_read2_b32 v[16:17], v112 offset0:128 offset1:160
	v_mul_u32_u24_sdwa v8, v13, v98 dst_sel:DWORD dst_unused:UNUSED_PAD src0_sel:WORD_0 src1_sel:DWORD
	v_mul_u32_u24_sdwa v10, v13, v98 dst_sel:DWORD dst_unused:UNUSED_PAD src0_sel:WORD_1 src1_sel:DWORD
	s_waitcnt lgkmcnt(3)
	v_pk_fma_f16 v9, v18, v22, v9
	v_pk_fma_f16 v7, v18, v12, v7
	v_mul_u32_u24_sdwa v12, v14, v98 dst_sel:DWORD dst_unused:UNUSED_PAD src0_sel:WORD_0 src1_sel:DWORD
	v_mul_u32_u24_sdwa v13, v14, v98 dst_sel:DWORD dst_unused:UNUSED_PAD src0_sel:WORD_1 src1_sel:DWORD
	ds_read2_b32 v[22:23], v112 offset0:192 offset1:224
	v_pk_fma_f16 v8, v19, v8, v9
	v_pk_fma_f16 v7, v19, v10, v7
	v_mul_u32_u24_sdwa v14, v15, v98 dst_sel:DWORD dst_unused:UNUSED_PAD src0_sel:WORD_0 src1_sel:DWORD
	v_mul_u32_u24_sdwa v15, v15, v98 dst_sel:DWORD dst_unused:UNUSED_PAD src0_sel:WORD_1 src1_sel:DWORD
	ds_read2_b32 v[18:19], v113 offset1:32
	s_waitcnt lgkmcnt(4)
	v_pk_fma_f16 v12, v20, v12, v8
	v_pk_fma_f16 v13, v20, v13, v7
	ds_read_b128 v[7:10], v88 offset:480
	s_waitcnt lgkmcnt(4)
	v_mul_u32_u24_sdwa v24, v3, v98 dst_sel:DWORD dst_unused:UNUSED_PAD src0_sel:WORD_0 src1_sel:DWORD
	v_mul_u32_u24_sdwa v3, v3, v98 dst_sel:DWORD dst_unused:UNUSED_PAD src0_sel:WORD_1 src1_sel:DWORD
	v_pk_fma_f16 v12, v21, v14, v12
	v_pk_fma_f16 v13, v21, v15, v13
	v_mul_u32_u24_sdwa v14, v4, v98 dst_sel:DWORD dst_unused:UNUSED_PAD src0_sel:WORD_0 src1_sel:DWORD
	v_mul_u32_u24_sdwa v15, v4, v98 dst_sel:DWORD dst_unused:UNUSED_PAD src0_sel:WORD_1 src1_sel:DWORD
	ds_read2_b32 v[20:21], v113 offset0:64 offset1:96
	s_waitcnt lgkmcnt(4)
	v_pk_fma_f16 v12, v16, v24, v12
	v_pk_fma_f16 v13, v16, v3, v13
	v_mul_u32_u24_sdwa v16, v5, v98 dst_sel:DWORD dst_unused:UNUSED_PAD src0_sel:WORD_0 src1_sel:DWORD
	v_mul_u32_u24_sdwa v5, v5, v98 dst_sel:DWORD dst_unused:UNUSED_PAD src0_sel:WORD_1 src1_sel:DWORD
	v_mul_u32_u24_sdwa v25, v6, v98 dst_sel:DWORD dst_unused:UNUSED_PAD src0_sel:WORD_0 src1_sel:DWORD
	v_pk_fma_f16 v24, v17, v14, v12
	v_pk_fma_f16 v17, v17, v15, v13
	v_mul_u32_u24_sdwa v26, v6, v98 dst_sel:DWORD dst_unused:UNUSED_PAD src0_sel:WORD_1 src1_sel:DWORD
	ds_read_b128 v[12:15], v88 offset:496
	ds_read2_b32 v[3:4], v113 offset0:128 offset1:160
	s_waitcnt lgkmcnt(5)
	v_pk_fma_f16 v16, v22, v16, v24
	v_pk_fma_f16 v17, v22, v5, v17
	s_waitcnt lgkmcnt(3)
	v_mul_u32_u24_sdwa v22, v7, v98 dst_sel:DWORD dst_unused:UNUSED_PAD src0_sel:WORD_0 src1_sel:DWORD
	v_mul_u32_u24_sdwa v7, v7, v98 dst_sel:DWORD dst_unused:UNUSED_PAD src0_sel:WORD_1 src1_sel:DWORD
	ds_read2_b32 v[5:6], v113 offset0:192 offset1:224
	v_pk_fma_f16 v16, v23, v25, v16
	v_pk_fma_f16 v17, v23, v26, v17
	v_mul_u32_u24_sdwa v23, v8, v98 dst_sel:DWORD dst_unused:UNUSED_PAD src0_sel:WORD_0 src1_sel:DWORD
	v_mul_u32_u24_sdwa v8, v8, v98 dst_sel:DWORD dst_unused:UNUSED_PAD src0_sel:WORD_1 src1_sel:DWORD
	s_waitcnt lgkmcnt(0)
	v_pk_fma_f16 v16, v18, v22, v16
	v_pk_fma_f16 v7, v18, v7, v17
	v_mul_u32_u24_sdwa v17, v9, v98 dst_sel:DWORD dst_unused:UNUSED_PAD src0_sel:WORD_0 src1_sel:DWORD
	v_mul_u32_u24_sdwa v9, v9, v98 dst_sel:DWORD dst_unused:UNUSED_PAD src0_sel:WORD_1 src1_sel:DWORD
	s_barrier
	v_pk_fma_f16 v16, v19, v23, v16
	v_pk_fma_f16 v7, v19, v8, v7
	v_mul_u32_u24_sdwa v8, v10, v98 dst_sel:DWORD dst_unused:UNUSED_PAD src0_sel:WORD_0 src1_sel:DWORD
	v_mul_u32_u24_sdwa v10, v10, v98 dst_sel:DWORD dst_unused:UNUSED_PAD src0_sel:WORD_1 src1_sel:DWORD
	buffer_gl0_inv
	v_pk_fma_f16 v16, v20, v17, v16
	v_pk_fma_f16 v7, v20, v9, v7
	s_load_dword s0, s[10:11], 0x4
	v_mul_u32_u24_sdwa v9, v12, v98 dst_sel:DWORD dst_unused:UNUSED_PAD src0_sel:WORD_0 src1_sel:DWORD
	v_mul_u32_u24_sdwa v12, v12, v98 dst_sel:DWORD dst_unused:UNUSED_PAD src0_sel:WORD_1 src1_sel:DWORD
	v_pk_fma_f16 v8, v21, v8, v16
	v_pk_fma_f16 v7, v21, v10, v7
	v_fmac_f32_e32 v114, v11, v2
	v_mul_u32_u24_sdwa v2, v13, v98 dst_sel:DWORD dst_unused:UNUSED_PAD src0_sel:WORD_0 src1_sel:DWORD
	v_mul_u32_u24_sdwa v10, v13, v98 dst_sel:DWORD dst_unused:UNUSED_PAD src0_sel:WORD_1 src1_sel:DWORD
	v_pk_fma_f16 v8, v3, v9, v8
	v_pk_fma_f16 v3, v3, v12, v7
	v_mul_u32_u24_sdwa v7, v14, v98 dst_sel:DWORD dst_unused:UNUSED_PAD src0_sel:WORD_0 src1_sel:DWORD
	v_mul_u32_u24_sdwa v9, v14, v98 dst_sel:DWORD dst_unused:UNUSED_PAD src0_sel:WORD_1 src1_sel:DWORD
	v_fmac_f32_e32 v115, v29, v1
	v_pk_fma_f16 v2, v4, v2, v8
	v_pk_fma_f16 v3, v4, v10, v3
	v_mul_u32_u24_sdwa v1, v15, v98 dst_sel:DWORD dst_unused:UNUSED_PAD src0_sel:WORD_0 src1_sel:DWORD
	v_mul_u32_u24_sdwa v4, v15, v98 dst_sel:DWORD dst_unused:UNUSED_PAD src0_sel:WORD_1 src1_sel:DWORD
	v_pk_fma_f16 v2, v5, v7, v2
	v_pk_fma_f16 v3, v5, v9, v3
	s_waitcnt lgkmcnt(0)
	s_lshl_b32 s0, s0, 7
	s_add_i32 s9, s0, s9
	v_pk_fma_f16 v117, v6, v1, v2
	v_pk_fma_f16 v116, v6, v4, v3
	s_cmp_ge_i32 s9, s34
	s_cbranch_scc0 .LBB43_9
; %bb.10:
	v_mov_b32_e32 v3, v70
.LBB43_11:
	v_lshlrev_b32_e32 v7, 1, v0
	v_cmp_lt_i32_e32 vcc_lo, v82, v72
	s_cmp_lg_u64 s[16:17], 0
	s_cselect_b32 s0, -1, 0
	s_cmp_eq_u32 s28, 0
	v_cndmask_b32_e32 v1, v3, v82, vcc_lo
	v_cmp_lt_i32_e32 vcc_lo, v77, v72
	s_cselect_b32 s1, -1, 0
	s_and_b32 s0, s1, s0
	v_lshlrev_b32_e32 v1, 2, v1
	v_cndmask_b32_e32 v4, v3, v77, vcc_lo
	v_cmp_lt_i32_e32 vcc_lo, v76, v72
	ds_bpermute_b32 v2, v1, v114
	ds_bpermute_b32 v1, v1, v115
	v_lshlrev_b32_e32 v4, 2, v4
	v_cndmask_b32_e32 v6, v3, v76, vcc_lo
	v_cmp_lt_i32_e32 vcc_lo, v75, v72
	v_lshlrev_b32_e32 v6, 2, v6
	s_waitcnt lgkmcnt(1)
	v_add_f32_e32 v2, v114, v2
	s_waitcnt lgkmcnt(0)
	v_add_f32_e32 v1, v115, v1
	ds_bpermute_b32 v5, v4, v2
	ds_bpermute_b32 v4, v4, v1
	s_waitcnt lgkmcnt(1)
	v_add_f32_e32 v2, v2, v5
	s_waitcnt lgkmcnt(0)
	v_add_f32_e32 v1, v1, v4
	ds_bpermute_b32 v4, v6, v2
	ds_bpermute_b32 v5, v6, v1
	v_cndmask_b32_e32 v6, v3, v75, vcc_lo
	v_cmp_lt_i32_e32 vcc_lo, v74, v72
	v_lshlrev_b32_e32 v6, 2, v6
	v_cndmask_b32_e32 v3, v3, v74, vcc_lo
	s_and_b32 vcc_lo, exec_lo, s0
	v_lshlrev_b32_e32 v3, 2, v3
	s_waitcnt lgkmcnt(1)
	v_add_f32_e32 v2, v2, v4
	s_waitcnt lgkmcnt(0)
	v_add_f32_e32 v1, v1, v5
	ds_bpermute_b32 v4, v6, v2
	ds_bpermute_b32 v5, v6, v1
	s_waitcnt lgkmcnt(1)
	v_add_f32_e32 v2, v2, v4
	s_waitcnt lgkmcnt(0)
	v_add_f32_e32 v4, v1, v5
	ds_bpermute_b32 v1, v3, v2
	ds_bpermute_b32 v3, v3, v4
	s_waitcnt lgkmcnt(1)
	v_add_f32_e32 v1, v2, v1
	s_waitcnt lgkmcnt(0)
	v_add_f32_e32 v2, v4, v3
	s_cbranch_vccz .LBB43_13
; %bb.12:
	s_ashr_i32 s31, s30, 31
	v_mov_b32_e32 v3, 0
	s_lshl_b64 s[0:1], s[30:31], 2
	v_max_f32_e32 v5, v67, v67
	s_add_u32 s0, s16, s0
	s_addc_u32 s1, s17, s1
	v_max_f32_e32 v8, v68, v68
	global_load_dwordx2 v[3:4], v3, s[0:1]
	s_waitcnt vmcnt(0)
	v_max_f32_e32 v6, v3, v3
	v_max_f32_e32 v9, v4, v4
	v_max_f32_e32 v5, v5, v6
	v_max_f32_e32 v6, v8, v9
	v_sub_f32_e32 v8, v67, v5
	v_sub_f32_e32 v9, v68, v6
	;; [unrolled: 1-line block ×4, first 2 shown]
	v_mov_b32_e32 v68, v6
	v_mul_f32_e32 v10, 0x3fb8aa3b, v8
	v_mul_f32_e32 v12, 0x3fb8aa3b, v9
	v_mul_f32_e32 v11, 0x3fb8aa3b, v3
	v_mul_f32_e32 v13, 0x3fb8aa3b, v4
	v_cmp_ngt_f32_e32 vcc_lo, 0xc2ce8ed0, v8
	v_fma_f32 v14, 0x3fb8aa3b, v8, -v10
	v_rndne_f32_e32 v15, v10
	v_fma_f32 v18, 0x3fb8aa3b, v9, -v12
	v_rndne_f32_e32 v19, v12
	v_fma_f32 v16, 0x3fb8aa3b, v3, -v11
	v_fmac_f32_e32 v14, 0x32a5705f, v8
	v_sub_f32_e32 v10, v10, v15
	v_rndne_f32_e32 v17, v11
	v_fmac_f32_e32 v18, 0x32a5705f, v9
	v_sub_f32_e32 v12, v12, v19
	v_fmac_f32_e32 v16, 0x32a5705f, v3
	v_add_f32_e32 v10, v10, v14
	v_sub_f32_e32 v11, v11, v17
	v_cvt_i32_f32_e32 v14, v15
	v_add_f32_e32 v12, v12, v18
	v_fma_f32 v20, 0x3fb8aa3b, v4, -v13
	v_exp_f32_e32 v10, v10
	v_add_f32_e32 v11, v11, v16
	v_rndne_f32_e32 v21, v13
	v_exp_f32_e32 v12, v12
	v_cvt_i32_f32_e32 v16, v19
	v_fmac_f32_e32 v20, 0x32a5705f, v4
	v_exp_f32_e32 v11, v11
	v_sub_f32_e32 v13, v13, v21
	v_cvt_i32_f32_e32 v15, v17
	v_cvt_i32_f32_e32 v17, v21
	v_ldexp_f32 v10, v10, v14
	v_mov_b32_e32 v18, 0x10001
	v_add_f32_e32 v13, v13, v20
	v_ldexp_f32 v12, v12, v16
	v_mov_b32_e32 v67, v5
	v_cndmask_b32_e32 v10, 0, v10, vcc_lo
	v_cmp_ngt_f32_e32 vcc_lo, 0xc2ce8ed0, v9
	v_ldexp_f32 v11, v11, v15
	v_exp_f32_e32 v13, v13
	v_cndmask_b32_e32 v12, 0, v12, vcc_lo
	v_cmp_ngt_f32_e32 vcc_lo, 0xc2ce8ed0, v3
	v_cndmask_b32_e32 v11, 0, v11, vcc_lo
	v_cmp_nlt_f32_e32 vcc_lo, 0x42b17218, v8
	v_ldexp_f32 v13, v13, v17
	v_cndmask_b32_e32 v8, 0x7f800000, v10, vcc_lo
	v_cmp_nlt_f32_e32 vcc_lo, 0x42b17218, v9
	v_cndmask_b32_e32 v9, 0x7f800000, v12, vcc_lo
	v_cmp_ngt_f32_e32 vcc_lo, 0xc2ce8ed0, v4
	v_cvt_f16_f32_e32 v12, v9
	v_cndmask_b32_e32 v10, 0, v13, vcc_lo
	v_cmp_nlt_f32_e32 vcc_lo, 0x42b17218, v3
	v_cndmask_b32_e32 v3, 0x7f800000, v11, vcc_lo
	v_cmp_nlt_f32_e32 vcc_lo, 0x42b17218, v4
	v_cvt_f16_f32_e32 v11, v8
	v_fmac_f32_e32 v3, v1, v8
	v_cndmask_b32_e32 v4, 0x7f800000, v10, vcc_lo
	v_mul_u32_u24_sdwa v8, v11, v18 dst_sel:DWORD dst_unused:UNUSED_PAD src0_sel:WORD_0 src1_sel:DWORD
	v_mul_u32_u24_sdwa v10, v12, v18 dst_sel:DWORD dst_unused:UNUSED_PAD src0_sel:WORD_0 src1_sel:DWORD
	v_mov_b32_e32 v1, v3
	v_fmac_f32_e32 v4, v2, v9
	v_pk_mul_f16 v117, v117, v8
	v_pk_mul_f16 v116, v116, v10
	v_mov_b32_e32 v2, v4
	s_mov_b32 s0, exec_lo
	v_cmpx_gt_i32_e64 s26, v33
	s_cbranch_execnz .LBB43_14
	s_branch .LBB43_22
.LBB43_13:
	v_mov_b32_e32 v4, v2
	v_mov_b32_e32 v3, v1
	s_mov_b32 s0, exec_lo
	v_cmpx_gt_i32_e64 s26, v33
	s_cbranch_execz .LBB43_22
.LBB43_14:
	s_load_dword s1, s[4:5], 0xd4
	v_mov_b32_e32 v8, 1.0
	s_waitcnt lgkmcnt(0)
	s_cmp_lg_u32 s1, 1
	s_cselect_b32 s3, -1, 0
	s_cmp_eq_u32 s1, 1
	s_cselect_b32 s2, -1, 0
	s_and_b32 vcc_lo, exec_lo, s3
	s_cbranch_vccnz .LBB43_16
; %bb.15:
	v_div_scale_f32 v5, null, v1, v1, 1.0
	v_rcp_f32_e32 v6, v5
	v_fma_f32 v8, -v5, v6, 1.0
	v_fmac_f32_e32 v6, v8, v6
	v_div_scale_f32 v8, vcc_lo, 1.0, v1, 1.0
	v_mul_f32_e32 v9, v8, v6
	v_fma_f32 v10, -v5, v9, v8
	v_fmac_f32_e32 v9, v10, v6
	v_fma_f32 v5, -v5, v9, v8
	v_div_fmas_f32 v5, v5, v6, v9
	v_div_fixup_f32 v8, v5, v1, 1.0
.LBB43_16:
	v_mad_u64_u32 v[5:6], null, s29, s26, v[33:34]
	v_mov_b32_e32 v10, 0
	v_cvt_f32_f16_e32 v1, v117
	v_cmp_eq_u32_e32 vcc_lo, 0, v0
	v_mul_f32_e32 v0, v8, v1
	v_mad_u64_u32 v[5:6], null, v5, s27, s[30:31]
	v_mad_u64_u32 v[5:6], null, s1, v5, s[28:29]
	v_cvt_f32_f16_sdwa v6, v117 dst_sel:DWORD dst_unused:UNUSED_PAD src0_sel:WORD_1
	v_mul_f32_e32 v1, v8, v6
	v_lshl_add_u32 v9, v5, 6, v7
	v_lshlrev_b64 v[9:10], 2, v[9:10]
	v_add_co_u32 v8, s0, s20, v9
	v_add_co_ci_u32_e64 v9, null, s21, v10, s0
	s_and_b32 s0, vcc_lo, s3
	global_store_dwordx2 v[8:9], v[0:1], off
	s_and_saveexec_b32 s3, s0
	s_cbranch_execz .LBB43_18
; %bb.17:
	v_ashrrev_i32_e32 v6, 31, v5
	v_mov_b32_e32 v8, v67
	v_mov_b32_e32 v9, v3
	v_lshlrev_b64 v[0:1], 3, v[5:6]
	v_add_co_u32 v0, vcc_lo, s22, v0
	v_add_co_ci_u32_e64 v1, null, s23, v1, vcc_lo
	global_store_dwordx2 v[0:1], v[8:9], off
.LBB43_18:
	s_or_b32 exec_lo, exec_lo, s3
	v_mov_b32_e32 v1, 1.0
	s_andn2_b32 vcc_lo, exec_lo, s2
	s_cbranch_vccnz .LBB43_20
; %bb.19:
	v_div_scale_f32 v0, null, v2, v2, 1.0
	v_rcp_f32_e32 v1, v0
	v_fma_f32 v3, -v0, v1, 1.0
	v_fmac_f32_e32 v1, v3, v1
	v_div_scale_f32 v3, vcc_lo, 1.0, v2, 1.0
	v_mul_f32_e32 v6, v3, v1
	v_fma_f32 v8, -v0, v6, v3
	v_fmac_f32_e32 v6, v8, v1
	v_fma_f32 v0, -v0, v6, v3
	v_div_fmas_f32 v0, v0, v1, v6
	v_div_fixup_f32 v1, v0, v2, 1.0
.LBB43_20:
	v_add_nc_u32_e32 v0, s1, v5
	v_mov_b32_e32 v3, 0
	v_cvt_f32_f16_e32 v5, v116
	v_cvt_f32_f16_sdwa v6, v116 dst_sel:DWORD dst_unused:UNUSED_PAD src0_sel:WORD_1
	v_lshl_add_u32 v2, v0, 6, v7
	v_mul_f32_e32 v5, v1, v5
	v_mul_f32_e32 v6, v1, v6
	v_lshlrev_b64 v[2:3], 2, v[2:3]
	v_add_co_u32 v1, vcc_lo, s20, v2
	v_add_co_ci_u32_e64 v2, null, s21, v3, vcc_lo
	global_store_dwordx2 v[1:2], v[5:6], off
	s_and_b32 exec_lo, exec_lo, s0
	s_cbranch_execz .LBB43_22
; %bb.21:
	v_ashrrev_i32_e32 v1, 31, v0
	v_mov_b32_e32 v3, v68
	v_lshlrev_b64 v[0:1], 3, v[0:1]
	v_add_co_u32 v0, vcc_lo, s22, v0
	v_add_co_ci_u32_e64 v1, null, s23, v1, vcc_lo
	global_store_dwordx2 v[0:1], v[3:4], off
	s_endpgm
.LBB43_22:
	s_endpgm
	.section	.rodata,"a",@progbits
	.p2align	6, 0x0
	.amdhsa_kernel _ZL15flash_attn_tileILi64ELi64ELi4ELi2ELb0EEvPKcS1_S1_S1_S1_PKiPfP15HIP_vector_typeIfLj2EEffffjfiS5_IjLj3EEiiiiiiiiiiiliiliiiiil
		.amdhsa_group_segment_fixed_size 21504
		.amdhsa_private_segment_fixed_size 0
		.amdhsa_kernarg_size 464
		.amdhsa_user_sgpr_count 6
		.amdhsa_user_sgpr_private_segment_buffer 1
		.amdhsa_user_sgpr_dispatch_ptr 0
		.amdhsa_user_sgpr_queue_ptr 0
		.amdhsa_user_sgpr_kernarg_segment_ptr 1
		.amdhsa_user_sgpr_dispatch_id 0
		.amdhsa_user_sgpr_flat_scratch_init 0
		.amdhsa_user_sgpr_private_segment_size 0
		.amdhsa_wavefront_size32 1
		.amdhsa_uses_dynamic_stack 0
		.amdhsa_system_sgpr_private_segment_wavefront_offset 0
		.amdhsa_system_sgpr_workgroup_id_x 1
		.amdhsa_system_sgpr_workgroup_id_y 1
		.amdhsa_system_sgpr_workgroup_id_z 1
		.amdhsa_system_sgpr_workgroup_info 0
		.amdhsa_system_vgpr_workitem_id 1
		.amdhsa_next_free_vgpr 158
		.amdhsa_next_free_sgpr 40
		.amdhsa_reserve_vcc 1
		.amdhsa_reserve_flat_scratch 0
		.amdhsa_float_round_mode_32 0
		.amdhsa_float_round_mode_16_64 0
		.amdhsa_float_denorm_mode_32 3
		.amdhsa_float_denorm_mode_16_64 3
		.amdhsa_dx10_clamp 1
		.amdhsa_ieee_mode 1
		.amdhsa_fp16_overflow 0
		.amdhsa_workgroup_processor_mode 1
		.amdhsa_memory_ordered 1
		.amdhsa_forward_progress 1
		.amdhsa_shared_vgpr_count 0
		.amdhsa_exception_fp_ieee_invalid_op 0
		.amdhsa_exception_fp_denorm_src 0
		.amdhsa_exception_fp_ieee_div_zero 0
		.amdhsa_exception_fp_ieee_overflow 0
		.amdhsa_exception_fp_ieee_underflow 0
		.amdhsa_exception_fp_ieee_inexact 0
		.amdhsa_exception_int_div_zero 0
	.end_amdhsa_kernel
	.section	.text._ZL15flash_attn_tileILi64ELi64ELi4ELi2ELb0EEvPKcS1_S1_S1_S1_PKiPfP15HIP_vector_typeIfLj2EEffffjfiS5_IjLj3EEiiiiiiiiiiiliiliiiiil,"axG",@progbits,_ZL15flash_attn_tileILi64ELi64ELi4ELi2ELb0EEvPKcS1_S1_S1_S1_PKiPfP15HIP_vector_typeIfLj2EEffffjfiS5_IjLj3EEiiiiiiiiiiiliiliiiiil,comdat
.Lfunc_end43:
	.size	_ZL15flash_attn_tileILi64ELi64ELi4ELi2ELb0EEvPKcS1_S1_S1_S1_PKiPfP15HIP_vector_typeIfLj2EEffffjfiS5_IjLj3EEiiiiiiiiiiiliiliiiiil, .Lfunc_end43-_ZL15flash_attn_tileILi64ELi64ELi4ELi2ELb0EEvPKcS1_S1_S1_S1_PKiPfP15HIP_vector_typeIfLj2EEffffjfiS5_IjLj3EEiiiiiiiiiiiliiliiiiil
                                        ; -- End function
	.set _ZL15flash_attn_tileILi64ELi64ELi4ELi2ELb0EEvPKcS1_S1_S1_S1_PKiPfP15HIP_vector_typeIfLj2EEffffjfiS5_IjLj3EEiiiiiiiiiiiliiliiiiil.num_vgpr, 158
	.set _ZL15flash_attn_tileILi64ELi64ELi4ELi2ELb0EEvPKcS1_S1_S1_S1_PKiPfP15HIP_vector_typeIfLj2EEffffjfiS5_IjLj3EEiiiiiiiiiiiliiliiiiil.num_agpr, 0
	.set _ZL15flash_attn_tileILi64ELi64ELi4ELi2ELb0EEvPKcS1_S1_S1_S1_PKiPfP15HIP_vector_typeIfLj2EEffffjfiS5_IjLj3EEiiiiiiiiiiiliiliiiiil.numbered_sgpr, 40
	.set _ZL15flash_attn_tileILi64ELi64ELi4ELi2ELb0EEvPKcS1_S1_S1_S1_PKiPfP15HIP_vector_typeIfLj2EEffffjfiS5_IjLj3EEiiiiiiiiiiiliiliiiiil.num_named_barrier, 0
	.set _ZL15flash_attn_tileILi64ELi64ELi4ELi2ELb0EEvPKcS1_S1_S1_S1_PKiPfP15HIP_vector_typeIfLj2EEffffjfiS5_IjLj3EEiiiiiiiiiiiliiliiiiil.private_seg_size, 0
	.set _ZL15flash_attn_tileILi64ELi64ELi4ELi2ELb0EEvPKcS1_S1_S1_S1_PKiPfP15HIP_vector_typeIfLj2EEffffjfiS5_IjLj3EEiiiiiiiiiiiliiliiiiil.uses_vcc, 1
	.set _ZL15flash_attn_tileILi64ELi64ELi4ELi2ELb0EEvPKcS1_S1_S1_S1_PKiPfP15HIP_vector_typeIfLj2EEffffjfiS5_IjLj3EEiiiiiiiiiiiliiliiiiil.uses_flat_scratch, 0
	.set _ZL15flash_attn_tileILi64ELi64ELi4ELi2ELb0EEvPKcS1_S1_S1_S1_PKiPfP15HIP_vector_typeIfLj2EEffffjfiS5_IjLj3EEiiiiiiiiiiiliiliiiiil.has_dyn_sized_stack, 0
	.set _ZL15flash_attn_tileILi64ELi64ELi4ELi2ELb0EEvPKcS1_S1_S1_S1_PKiPfP15HIP_vector_typeIfLj2EEffffjfiS5_IjLj3EEiiiiiiiiiiiliiliiiiil.has_recursion, 0
	.set _ZL15flash_attn_tileILi64ELi64ELi4ELi2ELb0EEvPKcS1_S1_S1_S1_PKiPfP15HIP_vector_typeIfLj2EEffffjfiS5_IjLj3EEiiiiiiiiiiiliiliiiiil.has_indirect_call, 0
	.section	.AMDGPU.csdata,"",@progbits
; Kernel info:
; codeLenInByte = 16600
; TotalNumSgprs: 42
; NumVgprs: 158
; ScratchSize: 0
; MemoryBound: 0
; FloatMode: 240
; IeeeMode: 1
; LDSByteSize: 21504 bytes/workgroup (compile time only)
; SGPRBlocks: 0
; VGPRBlocks: 19
; NumSGPRsForWavesPerEU: 42
; NumVGPRsForWavesPerEU: 158
; Occupancy: 6
; WaveLimiterHint : 1
; COMPUTE_PGM_RSRC2:SCRATCH_EN: 0
; COMPUTE_PGM_RSRC2:USER_SGPR: 6
; COMPUTE_PGM_RSRC2:TRAP_HANDLER: 0
; COMPUTE_PGM_RSRC2:TGID_X_EN: 1
; COMPUTE_PGM_RSRC2:TGID_Y_EN: 1
; COMPUTE_PGM_RSRC2:TGID_Z_EN: 1
; COMPUTE_PGM_RSRC2:TIDIG_COMP_CNT: 1
	.section	.text._ZL33flash_attn_stream_k_fixup_uniformILi64ELi4ELi2EEvPfPK15HIP_vector_typeIfLj2EEiiiiiiS1_IjLj3EES5_S5_,"axG",@progbits,_ZL33flash_attn_stream_k_fixup_uniformILi64ELi4ELi2EEvPfPK15HIP_vector_typeIfLj2EEiiiiiiS1_IjLj3EES5_S5_,comdat
	.globl	_ZL33flash_attn_stream_k_fixup_uniformILi64ELi4ELi2EEvPfPK15HIP_vector_typeIfLj2EEiiiiiiS1_IjLj3EES5_S5_ ; -- Begin function _ZL33flash_attn_stream_k_fixup_uniformILi64ELi4ELi2EEvPfPK15HIP_vector_typeIfLj2EEiiiiiiS1_IjLj3EES5_S5_
	.p2align	8
	.type	_ZL33flash_attn_stream_k_fixup_uniformILi64ELi4ELi2EEvPfPK15HIP_vector_typeIfLj2EEiiiiiiS1_IjLj3EES5_S5_,@function
_ZL33flash_attn_stream_k_fixup_uniformILi64ELi4ELi2EEvPfPK15HIP_vector_typeIfLj2EEiiiiiiS1_IjLj3EES5_S5_: ; @_ZL33flash_attn_stream_k_fixup_uniformILi64ELi4ELi2EEvPfPK15HIP_vector_typeIfLj2EEiiiiiiS1_IjLj3EES5_S5_
; %bb.0:
	s_clause 0x2
	s_load_dwordx8 s[12:19], s[4:5], 0x1c
	s_load_dwordx4 s[20:23], s[4:5], 0x3c
	s_load_dwordx2 s[10:11], s[4:5], 0x10
	s_waitcnt lgkmcnt(0)
	s_mul_hi_u32 s0, s15, s6
	s_add_i32 s0, s6, s0
	s_lshr_b32 s0, s0, s16
	s_mul_i32 s1, s0, s17
	s_sub_i32 s2, s6, s1
	s_mul_hi_u32 s1, s2, s18
	s_add_i32 s1, s2, s1
	s_lshr_b32 s1, s1, s19
	s_mul_i32 s3, s1, s20
	s_sub_i32 s2, s2, s3
	s_mul_hi_u32 s3, s2, s21
	s_add_i32 s3, s2, s3
	s_lshr_b32 s3, s3, s22
	s_mul_i32 s9, s3, s23
	s_lshl_b32 s15, s3, 1
	s_sub_i32 s9, s2, s9
	s_lshl_b32 s2, s9, 2
	s_add_i32 s2, s2, s7
	s_cmp_lt_i32 s2, s10
	s_cselect_b32 s2, -1, 0
	s_add_i32 s3, s15, s8
	s_cmp_lt_i32 s3, s13
	s_cselect_b32 s3, -1, 0
	s_and_b32 s2, s2, s3
	s_andn2_b32 vcc_lo, exec_lo, s2
	s_cbranch_vccnz .LBB44_6
; %bb.1:
	s_mul_i32 s0, s0, s10
	s_mul_i32 s10, s1, s13
	s_add_i32 s0, s0, s7
	s_mul_i32 s0, s0, s11
	s_add_i32 s13, s0, s8
	s_load_dwordx4 s[0:3], s[4:5], 0x0
	s_add_i32 s4, s13, s10
	s_mul_i32 s5, s11, s9
	s_add_i32 s4, s4, s15
	s_lshl_b32 s5, s5, 8
	s_lshl_b32 s4, s4, 6
	;; [unrolled: 1-line block ×3, first 2 shown]
	s_add_i32 s5, s5, s4
	s_mul_i32 s4, s14, s6
	v_or_b32_e32 v1, s5, v0
	s_add_i32 s11, s4, s14
	v_ashrrev_i32_e32 v2, 31, v1
	v_lshlrev_b64 v[1:2], 2, v[1:2]
	s_waitcnt lgkmcnt(0)
	v_add_co_u32 v1, vcc_lo, s0, v1
	v_add_co_ci_u32_e64 v2, null, s1, v2, vcc_lo
	s_add_i32 s0, s10, s8
	s_lshl_b32 s1, s11, 3
	s_add_i32 s0, s0, s1
	global_load_dword v5, v[1:2], off
	s_add_i32 s0, s0, -8
	s_ashr_i32 s1, s0, 31
	s_lshl_b64 s[0:1], s[0:1], 3
	s_add_u32 s0, s2, s0
	s_addc_u32 s1, s3, s1
	s_add_i32 s5, s11, -2
	s_load_dword s13, s[0:1], 0x4
	s_cmp_lt_i32 s5, s4
	s_cbranch_scc1 .LBB44_4
; %bb.2:
	s_lshl_b32 s16, s12, 5
	s_load_dword s15, s[0:1], 0x0
	s_ashr_i32 s17, s16, 31
	s_waitcnt lgkmcnt(0)
	v_mov_b32_e32 v6, s13
	s_lshl_b64 s[0:1], s[16:17], 2
	s_add_u32 s5, s2, s0
	s_addc_u32 s9, s3, s1
	s_add_i32 s6, s6, 1
	s_lshl_b32 s0, s7, 7
	s_lshl_b32 s1, s8, 6
	s_mul_i32 s6, s14, s6
	s_add_i32 s0, s1, s0
	s_lshl_b32 s1, s6, 9
	s_add_i32 s0, s0, s1
	s_lshl_b32 s1, s6, 3
	v_or_b32_e32 v0, s0, v0
	s_lshl_b32 s0, s12, 3
	s_add_i32 s1, s8, s1
	s_add_i32 s6, s11, -1
	s_add_i32 s0, s1, s0
	v_add_nc_u32_e32 v3, 0xfffffc00, v0
	v_mov_b32_e32 v0, s15
	s_add_i32 s0, s0, s10
	s_add_i32 s0, s0, -16
.LBB44_3:                               ; =>This Inner Loop Header: Depth=1
	v_ashrrev_i32_e32 v4, 31, v3
	s_ashr_i32 s1, s0, 31
	s_lshl_b64 s[10:11], s[0:1], 3
	s_add_u32 s10, s2, s10
	v_lshlrev_b64 v[7:8], 2, v[3:4]
	s_addc_u32 s11, s3, s11
	v_add_nc_u32_e32 v3, 0xfffffe00, v3
	s_add_i32 s6, s6, -1
	s_add_i32 s0, s0, -8
	s_cmp_le_i32 s6, s4
	v_add_co_u32 v7, vcc_lo, s5, v7
	v_add_co_ci_u32_e64 v8, null, s9, v8, vcc_lo
	s_load_dwordx2 s[10:11], s[10:11], 0x0
	global_load_dword v4, v[7:8], off
	v_max_f32_e32 v7, v0, v0
	s_waitcnt lgkmcnt(0)
	v_max_f32_e64 v8, s10, s10
	v_max_f32_e32 v7, v7, v8
	v_sub_f32_e32 v8, s10, v7
	v_sub_f32_e32 v0, v0, v7
	v_mul_f32_e32 v9, 0x3fb8aa3b, v8
	v_mul_f32_e32 v12, 0x3fb8aa3b, v0
	v_cmp_ngt_f32_e32 vcc_lo, 0xc2ce8ed0, v8
	v_fma_f32 v10, 0x3fb8aa3b, v8, -v9
	v_rndne_f32_e32 v11, v9
	v_fma_f32 v13, 0x3fb8aa3b, v0, -v12
	v_rndne_f32_e32 v14, v12
	v_fmac_f32_e32 v10, 0x32a5705f, v8
	v_sub_f32_e32 v9, v9, v11
	v_fmac_f32_e32 v13, 0x32a5705f, v0
	v_cvt_i32_f32_e32 v11, v11
	v_add_f32_e32 v9, v9, v10
	v_sub_f32_e32 v10, v12, v14
	v_exp_f32_e32 v9, v9
	v_add_f32_e32 v10, v10, v13
	v_exp_f32_e32 v10, v10
	v_ldexp_f32 v9, v9, v11
	v_cvt_i32_f32_e32 v11, v14
	v_cndmask_b32_e32 v9, 0, v9, vcc_lo
	v_cmp_nlt_f32_e32 vcc_lo, 0x42b17218, v8
	v_ldexp_f32 v10, v10, v11
	v_mov_b32_e32 v11, v6
	v_cndmask_b32_e32 v9, 0x7f800000, v9, vcc_lo
	v_cmp_ngt_f32_e32 vcc_lo, 0xc2ce8ed0, v0
	v_cndmask_b32_e32 v10, 0, v10, vcc_lo
	v_cmp_le_f32_e32 vcc_lo, 0xc1a00000, v8
	v_cndmask_b32_e32 v8, 0, v9, vcc_lo
	v_cmp_nlt_f32_e32 vcc_lo, 0x42b17218, v0
	s_waitcnt vmcnt(1)
	v_mov_b32_e32 v9, v5
	v_cndmask_b32_e32 v5, 0x7f800000, v10, vcc_lo
	v_mul_f32_e32 v10, s11, v8
	v_cmp_le_f32_e32 vcc_lo, 0xc1a00000, v0
	v_mov_b32_e32 v0, v7
	v_mov_b32_e32 v6, v10
	v_cndmask_b32_e32 v12, 0, v5, vcc_lo
	v_fmac_f32_e32 v6, v11, v12
	s_waitcnt vmcnt(0)
	v_mul_f32_e32 v5, v4, v8
	v_fmac_f32_e32 v5, v9, v12
	s_cbranch_scc0 .LBB44_3
	s_branch .LBB44_5
.LBB44_4:
	s_waitcnt lgkmcnt(0)
	v_mov_b32_e32 v6, s13
.LBB44_5:
	s_waitcnt vmcnt(0)
	v_div_scale_f32 v0, null, v6, v6, v5
	v_rcp_f32_e32 v3, v0
	v_fma_f32 v4, -v0, v3, 1.0
	v_fmac_f32_e32 v3, v4, v3
	v_div_scale_f32 v4, vcc_lo, v5, v6, v5
	v_mul_f32_e32 v7, v4, v3
	v_fma_f32 v8, -v0, v7, v4
	v_fmac_f32_e32 v7, v8, v3
	v_fma_f32 v0, -v0, v7, v4
	v_div_fmas_f32 v0, v0, v3, v7
	v_div_fixup_f32 v0, v0, v6, v5
	global_store_dword v[1:2], v0, off
.LBB44_6:
	s_endpgm
	.section	.rodata,"a",@progbits
	.p2align	6, 0x0
	.amdhsa_kernel _ZL33flash_attn_stream_k_fixup_uniformILi64ELi4ELi2EEvPfPK15HIP_vector_typeIfLj2EEiiiiiiS1_IjLj3EES5_S5_
		.amdhsa_group_segment_fixed_size 0
		.amdhsa_private_segment_fixed_size 0
		.amdhsa_kernarg_size 76
		.amdhsa_user_sgpr_count 6
		.amdhsa_user_sgpr_private_segment_buffer 1
		.amdhsa_user_sgpr_dispatch_ptr 0
		.amdhsa_user_sgpr_queue_ptr 0
		.amdhsa_user_sgpr_kernarg_segment_ptr 1
		.amdhsa_user_sgpr_dispatch_id 0
		.amdhsa_user_sgpr_flat_scratch_init 0
		.amdhsa_user_sgpr_private_segment_size 0
		.amdhsa_wavefront_size32 1
		.amdhsa_uses_dynamic_stack 0
		.amdhsa_system_sgpr_private_segment_wavefront_offset 0
		.amdhsa_system_sgpr_workgroup_id_x 1
		.amdhsa_system_sgpr_workgroup_id_y 1
		.amdhsa_system_sgpr_workgroup_id_z 1
		.amdhsa_system_sgpr_workgroup_info 0
		.amdhsa_system_vgpr_workitem_id 0
		.amdhsa_next_free_vgpr 15
		.amdhsa_next_free_sgpr 24
		.amdhsa_reserve_vcc 1
		.amdhsa_reserve_flat_scratch 0
		.amdhsa_float_round_mode_32 0
		.amdhsa_float_round_mode_16_64 0
		.amdhsa_float_denorm_mode_32 3
		.amdhsa_float_denorm_mode_16_64 3
		.amdhsa_dx10_clamp 1
		.amdhsa_ieee_mode 1
		.amdhsa_fp16_overflow 0
		.amdhsa_workgroup_processor_mode 1
		.amdhsa_memory_ordered 1
		.amdhsa_forward_progress 1
		.amdhsa_shared_vgpr_count 0
		.amdhsa_exception_fp_ieee_invalid_op 0
		.amdhsa_exception_fp_denorm_src 0
		.amdhsa_exception_fp_ieee_div_zero 0
		.amdhsa_exception_fp_ieee_overflow 0
		.amdhsa_exception_fp_ieee_underflow 0
		.amdhsa_exception_fp_ieee_inexact 0
		.amdhsa_exception_int_div_zero 0
	.end_amdhsa_kernel
	.section	.text._ZL33flash_attn_stream_k_fixup_uniformILi64ELi4ELi2EEvPfPK15HIP_vector_typeIfLj2EEiiiiiiS1_IjLj3EES5_S5_,"axG",@progbits,_ZL33flash_attn_stream_k_fixup_uniformILi64ELi4ELi2EEvPfPK15HIP_vector_typeIfLj2EEiiiiiiS1_IjLj3EES5_S5_,comdat
.Lfunc_end44:
	.size	_ZL33flash_attn_stream_k_fixup_uniformILi64ELi4ELi2EEvPfPK15HIP_vector_typeIfLj2EEiiiiiiS1_IjLj3EES5_S5_, .Lfunc_end44-_ZL33flash_attn_stream_k_fixup_uniformILi64ELi4ELi2EEvPfPK15HIP_vector_typeIfLj2EEiiiiiiS1_IjLj3EES5_S5_
                                        ; -- End function
	.set _ZL33flash_attn_stream_k_fixup_uniformILi64ELi4ELi2EEvPfPK15HIP_vector_typeIfLj2EEiiiiiiS1_IjLj3EES5_S5_.num_vgpr, 15
	.set _ZL33flash_attn_stream_k_fixup_uniformILi64ELi4ELi2EEvPfPK15HIP_vector_typeIfLj2EEiiiiiiS1_IjLj3EES5_S5_.num_agpr, 0
	.set _ZL33flash_attn_stream_k_fixup_uniformILi64ELi4ELi2EEvPfPK15HIP_vector_typeIfLj2EEiiiiiiS1_IjLj3EES5_S5_.numbered_sgpr, 24
	.set _ZL33flash_attn_stream_k_fixup_uniformILi64ELi4ELi2EEvPfPK15HIP_vector_typeIfLj2EEiiiiiiS1_IjLj3EES5_S5_.num_named_barrier, 0
	.set _ZL33flash_attn_stream_k_fixup_uniformILi64ELi4ELi2EEvPfPK15HIP_vector_typeIfLj2EEiiiiiiS1_IjLj3EES5_S5_.private_seg_size, 0
	.set _ZL33flash_attn_stream_k_fixup_uniformILi64ELi4ELi2EEvPfPK15HIP_vector_typeIfLj2EEiiiiiiS1_IjLj3EES5_S5_.uses_vcc, 1
	.set _ZL33flash_attn_stream_k_fixup_uniformILi64ELi4ELi2EEvPfPK15HIP_vector_typeIfLj2EEiiiiiiS1_IjLj3EES5_S5_.uses_flat_scratch, 0
	.set _ZL33flash_attn_stream_k_fixup_uniformILi64ELi4ELi2EEvPfPK15HIP_vector_typeIfLj2EEiiiiiiS1_IjLj3EES5_S5_.has_dyn_sized_stack, 0
	.set _ZL33flash_attn_stream_k_fixup_uniformILi64ELi4ELi2EEvPfPK15HIP_vector_typeIfLj2EEiiiiiiS1_IjLj3EES5_S5_.has_recursion, 0
	.set _ZL33flash_attn_stream_k_fixup_uniformILi64ELi4ELi2EEvPfPK15HIP_vector_typeIfLj2EEiiiiiiS1_IjLj3EES5_S5_.has_indirect_call, 0
	.section	.AMDGPU.csdata,"",@progbits
; Kernel info:
; codeLenInByte = 848
; TotalNumSgprs: 26
; NumVgprs: 15
; ScratchSize: 0
; MemoryBound: 0
; FloatMode: 240
; IeeeMode: 1
; LDSByteSize: 0 bytes/workgroup (compile time only)
; SGPRBlocks: 0
; VGPRBlocks: 1
; NumSGPRsForWavesPerEU: 26
; NumVGPRsForWavesPerEU: 15
; Occupancy: 16
; WaveLimiterHint : 0
; COMPUTE_PGM_RSRC2:SCRATCH_EN: 0
; COMPUTE_PGM_RSRC2:USER_SGPR: 6
; COMPUTE_PGM_RSRC2:TRAP_HANDLER: 0
; COMPUTE_PGM_RSRC2:TGID_X_EN: 1
; COMPUTE_PGM_RSRC2:TGID_Y_EN: 1
; COMPUTE_PGM_RSRC2:TGID_Z_EN: 1
; COMPUTE_PGM_RSRC2:TIDIG_COMP_CNT: 0
	.section	.text._ZL33flash_attn_stream_k_fixup_generalILi64ELi4ELi2EEvPfPK15HIP_vector_typeIfLj2EEiiiiS1_IjLj3EES5_S5_S5_,"axG",@progbits,_ZL33flash_attn_stream_k_fixup_generalILi64ELi4ELi2EEvPfPK15HIP_vector_typeIfLj2EEiiiiS1_IjLj3EES5_S5_S5_,comdat
	.globl	_ZL33flash_attn_stream_k_fixup_generalILi64ELi4ELi2EEvPfPK15HIP_vector_typeIfLj2EEiiiiS1_IjLj3EES5_S5_S5_ ; -- Begin function _ZL33flash_attn_stream_k_fixup_generalILi64ELi4ELi2EEvPfPK15HIP_vector_typeIfLj2EEiiiiS1_IjLj3EES5_S5_S5_
	.p2align	8
	.type	_ZL33flash_attn_stream_k_fixup_generalILi64ELi4ELi2EEvPfPK15HIP_vector_typeIfLj2EEiiiiS1_IjLj3EES5_S5_S5_,@function
_ZL33flash_attn_stream_k_fixup_generalILi64ELi4ELi2EEvPfPK15HIP_vector_typeIfLj2EEiiiiS1_IjLj3EES5_S5_S5_: ; @_ZL33flash_attn_stream_k_fixup_generalILi64ELi4ELi2EEvPfPK15HIP_vector_typeIfLj2EEiiiiS1_IjLj3EES5_S5_S5_
; %bb.0:
	s_clause 0x1
	s_load_dwordx4 s[0:3], s[4:5], 0x10
	s_load_dword s9, s[4:5], 0x50
	s_mov_b32 s16, 0
	s_waitcnt lgkmcnt(0)
	s_mul_hi_i32 s17, s3, s6
	s_mul_i32 s18, s3, s6
	s_cmp_lg_u64 s[16:17], 0
	s_cbranch_scc0 .LBB45_21
; %bb.1:
	s_add_u32 s10, s9, 0
	s_addc_u32 s11, 0, 0
	s_xor_b64 s[10:11], s[10:11], 0
	v_cvt_f32_u32_e32 v1, s10
	v_cvt_f32_u32_e32 v2, s11
	s_sub_u32 s14, 0, s10
	s_subb_u32 s15, 0, s11
	v_fmamk_f32 v1, v2, 0x4f800000, v1
	v_rcp_f32_e32 v1, v1
	v_mul_f32_e32 v1, 0x5f7ffffc, v1
	v_mul_f32_e32 v2, 0x2f800000, v1
	v_trunc_f32_e32 v2, v2
	v_fmamk_f32 v1, v2, 0xcf800000, v1
	v_cvt_u32_f32_e32 v2, v2
	v_cvt_u32_f32_e32 v1, v1
	v_readfirstlane_b32 s12, v2
	v_readfirstlane_b32 s13, v1
	s_mul_i32 s19, s14, s12
	s_mul_hi_u32 s21, s14, s13
	s_mul_i32 s20, s15, s13
	s_add_i32 s19, s21, s19
	s_mul_i32 s22, s14, s13
	s_add_i32 s19, s19, s20
	s_mul_hi_u32 s21, s13, s22
	s_mul_i32 s24, s13, s19
	s_mul_hi_u32 s23, s12, s22
	s_mul_i32 s20, s12, s22
	s_mul_hi_u32 s22, s13, s19
	s_add_u32 s21, s21, s24
	s_addc_u32 s22, 0, s22
	s_mul_hi_u32 s25, s12, s19
	s_add_u32 s20, s21, s20
	s_mul_i32 s19, s12, s19
	s_addc_u32 s20, s22, s23
	s_addc_u32 s21, s25, 0
	s_add_u32 s19, s20, s19
	s_addc_u32 s20, 0, s21
	s_add_u32 s13, s13, s19
	s_cselect_b32 s19, -1, 0
	s_mul_hi_u32 s21, s14, s13
	s_cmp_lg_u32 s19, 0
	s_mul_i32 s19, s14, s13
	s_addc_u32 s12, s12, s20
	s_mul_i32 s15, s15, s13
	s_mul_i32 s14, s14, s12
	s_mul_hi_u32 s20, s13, s19
	s_add_i32 s14, s21, s14
	s_mul_hi_u32 s21, s12, s19
	s_add_i32 s14, s14, s15
	s_mul_i32 s15, s12, s19
	s_mul_i32 s23, s13, s14
	s_mul_hi_u32 s22, s13, s14
	s_add_u32 s20, s20, s23
	s_addc_u32 s22, 0, s22
	s_mul_hi_u32 s19, s12, s14
	s_add_u32 s15, s20, s15
	s_mul_i32 s14, s12, s14
	s_addc_u32 s15, s22, s21
	s_addc_u32 s19, s19, 0
	s_add_u32 s14, s15, s14
	s_addc_u32 s15, 0, s19
	s_add_u32 s19, s13, s14
	s_cselect_b32 s13, -1, 0
	s_cmp_lg_u32 s13, 0
	s_addc_u32 s20, s12, s15
	s_ashr_i32 s12, s17, 31
	s_add_u32 s14, s18, s12
	s_mov_b32 s13, s12
	s_addc_u32 s15, s17, s12
	s_xor_b64 s[14:15], s[14:15], s[12:13]
	s_mul_i32 s21, s14, s20
	s_mul_hi_u32 s22, s14, s19
	s_mul_hi_u32 s17, s14, s20
	s_mul_hi_u32 s24, s15, s19
	s_mul_i32 s19, s15, s19
	s_add_u32 s21, s22, s21
	s_addc_u32 s17, 0, s17
	s_mul_hi_u32 s23, s15, s20
	s_add_u32 s19, s21, s19
	s_mul_i32 s20, s15, s20
	s_addc_u32 s17, s17, s24
	s_addc_u32 s19, s23, 0
	s_add_u32 s17, s17, s20
	s_addc_u32 s19, 0, s19
	s_mul_hi_u32 s20, s10, s17
	s_mul_i32 s21, s10, s19
	s_mul_i32 s22, s11, s17
	s_add_i32 s20, s20, s21
	s_mul_i32 s21, s10, s17
	s_add_i32 s20, s20, s22
	s_sub_i32 s22, s15, s20
	s_sub_u32 s14, s14, s21
	s_cselect_b32 s21, -1, 0
	s_cmp_lg_u32 s21, 0
	s_subb_u32 s22, s22, s11
	s_sub_u32 s23, s14, s10
	s_cselect_b32 s24, -1, 0
	s_cmp_lg_u32 s24, 0
	s_subb_u32 s22, s22, 0
	s_cmp_ge_u32 s22, s11
	s_cselect_b32 s24, -1, 0
	s_cmp_ge_u32 s23, s10
	s_cselect_b32 s23, -1, 0
	s_cmp_eq_u32 s22, s11
	s_cselect_b32 s22, s23, s24
	s_add_u32 s23, s17, 1
	s_addc_u32 s24, s19, 0
	s_add_u32 s25, s17, 2
	s_addc_u32 s26, s19, 0
	s_cmp_lg_u32 s22, 0
	s_cselect_b32 s22, s25, s23
	s_cselect_b32 s23, s26, s24
	s_cmp_lg_u32 s21, 0
	s_subb_u32 s15, s15, s20
	s_cmp_ge_u32 s15, s11
	s_cselect_b32 s20, -1, 0
	s_cmp_ge_u32 s14, s10
	s_cselect_b32 s10, -1, 0
	s_cmp_eq_u32 s15, s11
	s_cselect_b32 s10, s10, s20
	s_cmp_lg_u32 s10, 0
	s_cselect_b32 s11, s23, s19
	s_cselect_b32 s10, s22, s17
	s_xor_b64 s[12:13], s[12:13], 0
	s_xor_b64 s[10:11], s[10:11], s[12:13]
	s_sub_u32 s10, s10, s12
	s_load_dwordx4 s[12:15], s[4:5], 0x44
	s_andn2_b32 vcc_lo, exec_lo, s16
	s_cbranch_vccnz .LBB45_3
.LBB45_2:
	v_cvt_f32_u32_e32 v1, s9
	s_sub_i32 s11, 0, s9
	v_rcp_iflag_f32_e32 v1, v1
	v_mul_f32_e32 v1, 0x4f7ffffe, v1
	v_cvt_u32_f32_e32 v1, v1
	v_readfirstlane_b32 s10, v1
	s_mul_i32 s11, s11, s10
	s_mul_hi_u32 s11, s10, s11
	s_add_i32 s10, s10, s11
	s_mul_hi_u32 s10, s18, s10
	s_mul_i32 s11, s10, s9
	s_waitcnt lgkmcnt(0)
	s_add_i32 s15, s10, 1
	s_sub_i32 s11, s18, s11
	s_sub_i32 s16, s11, s9
	s_cmp_ge_u32 s11, s9
	s_cselect_b32 s10, s15, s10
	s_cselect_b32 s11, s16, s11
	s_add_i32 s15, s10, 1
	s_cmp_ge_u32 s11, s9
	s_cselect_b32 s10, s15, s10
.LBB45_3:
	s_add_i32 s11, s6, 1
	s_mov_b32 s16, 0
	s_mul_hi_i32 s17, s3, s11
	s_mul_i32 s11, s3, s11
	s_cmp_lg_u64 s[16:17], 0
	s_cbranch_scc0 .LBB45_22
; %bb.4:
	s_add_u32 s18, s9, 0
	s_addc_u32 s19, 0, 0
	s_xor_b64 s[18:19], s[18:19], 0
	v_cvt_f32_u32_e32 v1, s18
	v_cvt_f32_u32_e32 v2, s19
	s_sub_u32 s21, 0, s18
	s_subb_u32 s22, 0, s19
	v_fmamk_f32 v1, v2, 0x4f800000, v1
	v_rcp_f32_e32 v1, v1
	v_mul_f32_e32 v1, 0x5f7ffffc, v1
	v_mul_f32_e32 v2, 0x2f800000, v1
	v_trunc_f32_e32 v2, v2
	v_fmamk_f32 v1, v2, 0xcf800000, v1
	v_cvt_u32_f32_e32 v2, v2
	v_cvt_u32_f32_e32 v1, v1
	s_waitcnt lgkmcnt(0)
	v_readfirstlane_b32 s15, v2
	v_readfirstlane_b32 s20, v1
	s_mul_i32 s23, s21, s15
	s_mul_hi_u32 s25, s21, s20
	s_mul_i32 s24, s22, s20
	s_add_i32 s23, s25, s23
	s_mul_i32 s26, s21, s20
	s_add_i32 s23, s23, s24
	s_mul_hi_u32 s25, s20, s26
	s_mul_i32 s28, s20, s23
	s_mul_hi_u32 s27, s15, s26
	s_mul_i32 s24, s15, s26
	s_mul_hi_u32 s26, s20, s23
	s_add_u32 s25, s25, s28
	s_addc_u32 s26, 0, s26
	s_mul_hi_u32 s29, s15, s23
	s_add_u32 s24, s25, s24
	s_mul_i32 s23, s15, s23
	s_addc_u32 s24, s26, s27
	s_addc_u32 s25, s29, 0
	s_add_u32 s23, s24, s23
	s_addc_u32 s24, 0, s25
	s_add_u32 s20, s20, s23
	s_cselect_b32 s23, -1, 0
	s_mul_hi_u32 s25, s21, s20
	s_cmp_lg_u32 s23, 0
	s_mul_i32 s23, s21, s20
	s_addc_u32 s15, s15, s24
	s_mul_i32 s22, s22, s20
	s_mul_i32 s21, s21, s15
	s_mul_hi_u32 s24, s20, s23
	s_add_i32 s21, s25, s21
	s_mul_hi_u32 s25, s15, s23
	s_add_i32 s21, s21, s22
	s_mul_i32 s22, s15, s23
	s_mul_i32 s27, s20, s21
	s_mul_hi_u32 s26, s20, s21
	s_add_u32 s24, s24, s27
	s_addc_u32 s26, 0, s26
	s_mul_hi_u32 s23, s15, s21
	s_add_u32 s22, s24, s22
	s_mul_i32 s21, s15, s21
	s_addc_u32 s22, s26, s25
	s_addc_u32 s23, s23, 0
	s_add_u32 s21, s22, s21
	s_addc_u32 s22, 0, s23
	s_add_u32 s24, s20, s21
	s_cselect_b32 s20, -1, 0
	s_cmp_lg_u32 s20, 0
	s_addc_u32 s15, s15, s22
	s_ashr_i32 s20, s17, 31
	s_add_u32 s22, s11, s20
	s_mov_b32 s21, s20
	s_addc_u32 s23, s17, s20
	s_xor_b64 s[22:23], s[22:23], s[20:21]
	s_mul_i32 s25, s22, s15
	s_mul_hi_u32 s26, s22, s24
	s_mul_hi_u32 s17, s22, s15
	;; [unrolled: 1-line block ×3, first 2 shown]
	s_mul_i32 s24, s23, s24
	s_add_u32 s25, s26, s25
	s_addc_u32 s17, 0, s17
	s_mul_hi_u32 s27, s23, s15
	s_add_u32 s24, s25, s24
	s_mul_i32 s15, s23, s15
	s_addc_u32 s17, s17, s28
	s_addc_u32 s24, s27, 0
	s_add_u32 s15, s17, s15
	s_addc_u32 s17, 0, s24
	s_mul_hi_u32 s24, s18, s15
	s_mul_i32 s25, s18, s17
	s_mul_i32 s26, s19, s15
	s_add_i32 s24, s24, s25
	s_mul_i32 s25, s18, s15
	s_add_i32 s24, s24, s26
	s_sub_i32 s26, s23, s24
	s_sub_u32 s22, s22, s25
	s_cselect_b32 s25, -1, 0
	s_cmp_lg_u32 s25, 0
	s_subb_u32 s26, s26, s19
	s_sub_u32 s27, s22, s18
	s_cselect_b32 s28, -1, 0
	s_cmp_lg_u32 s28, 0
	s_subb_u32 s26, s26, 0
	s_cmp_ge_u32 s26, s19
	s_cselect_b32 s28, -1, 0
	s_cmp_ge_u32 s27, s18
	s_cselect_b32 s27, -1, 0
	s_cmp_eq_u32 s26, s19
	s_cselect_b32 s26, s27, s28
	s_add_u32 s27, s15, 1
	s_addc_u32 s28, s17, 0
	s_add_u32 s29, s15, 2
	s_addc_u32 s30, s17, 0
	s_cmp_lg_u32 s26, 0
	s_cselect_b32 s26, s29, s27
	s_cselect_b32 s27, s30, s28
	s_cmp_lg_u32 s25, 0
	s_subb_u32 s23, s23, s24
	s_cmp_ge_u32 s23, s19
	s_cselect_b32 s24, -1, 0
	s_cmp_ge_u32 s22, s18
	s_cselect_b32 s18, -1, 0
	s_cmp_eq_u32 s23, s19
	s_cselect_b32 s18, s18, s24
	s_cmp_lg_u32 s18, 0
	s_cselect_b32 s19, s27, s17
	s_cselect_b32 s18, s26, s15
	s_xor_b64 s[20:21], s[20:21], 0
	s_xor_b64 s[18:19], s[18:19], s[20:21]
	s_sub_u32 s18, s18, s20
	s_andn2_b32 vcc_lo, exec_lo, s16
	s_cbranch_vccnz .LBB45_6
.LBB45_5:
	v_cvt_f32_u32_e32 v1, s9
	s_sub_i32 s16, 0, s9
	v_rcp_iflag_f32_e32 v1, v1
	v_mul_f32_e32 v1, 0x4f7ffffe, v1
	v_cvt_u32_f32_e32 v1, v1
	s_waitcnt lgkmcnt(0)
	v_readfirstlane_b32 s15, v1
	s_mul_i32 s16, s16, s15
	s_mul_hi_u32 s16, s15, s16
	s_add_i32 s15, s15, s16
	s_mul_hi_u32 s15, s11, s15
	s_mul_i32 s16, s15, s9
	s_sub_i32 s11, s11, s16
	s_add_i32 s16, s15, 1
	s_sub_i32 s17, s11, s9
	s_cmp_ge_u32 s11, s9
	s_cselect_b32 s15, s16, s15
	s_cselect_b32 s11, s17, s11
	s_add_i32 s16, s15, 1
	s_cmp_ge_u32 s11, s9
	s_cselect_b32 s18, s16, s15
.LBB45_6:
	s_cmp_eq_u32 s10, s18
	s_waitcnt lgkmcnt(0)
	s_mul_hi_u32 s11, s10, s12
	s_cselect_b32 s15, -1, 0
	s_add_i32 s11, s11, s10
	s_lshr_b32 s11, s11, s13
	s_mul_i32 s16, s11, s14
	s_cmp_eq_u32 s16, s10
	s_mul_hi_u32 s16, s18, s12
	s_cselect_b32 s17, -1, 0
	s_add_i32 s16, s16, s18
	s_lshr_b32 s16, s16, s13
	s_cmp_eq_u32 s11, s16
	s_mul_i32 s16, s16, s14
	s_cselect_b32 s19, -1, 0
	s_cmp_lg_u32 s16, s18
	s_cselect_b32 s16, -1, 0
	s_or_b32 s15, s15, s17
	s_and_b32 s16, s19, s16
	s_or_b32 s15, s15, s16
	s_and_b32 vcc_lo, exec_lo, s15
	s_cbranch_vccnz .LBB45_24
; %bb.7:
	s_clause 0x1
	s_load_dwordx8 s[20:27], s[4:5], 0x20
	s_load_dword s16, s[4:5], 0x40
	s_waitcnt lgkmcnt(0)
	s_mul_hi_u32 s15, s10, s20
	s_add_i32 s15, s15, s10
	s_lshr_b32 s15, s15, s21
	s_mul_i32 s17, s15, s22
	s_sub_i32 s17, s10, s17
	s_mul_hi_u32 s18, s17, s23
	s_add_i32 s18, s17, s18
	s_lshr_b32 s22, s18, s24
	s_mul_i32 s18, s22, s25
	s_sub_i32 s17, s17, s18
	s_mul_hi_u32 s18, s17, s26
	s_add_i32 s18, s17, s18
	s_lshr_b32 s18, s18, s27
	s_mul_i32 s16, s18, s16
	s_lshl_b32 s24, s18, 1
	s_sub_i32 s16, s17, s16
	s_mul_hi_u32 s17, s16, s12
	s_add_i32 s16, s16, s17
	s_lshr_b32 s23, s16, s13
	s_lshl_b32 s16, s23, 2
	s_add_i32 s16, s16, s7
	s_cmp_lt_i32 s16, s0
	s_cselect_b32 s16, -1, 0
	s_add_i32 s17, s24, s8
	s_cmp_lt_i32 s17, s2
	s_cselect_b32 s17, -1, 0
	s_and_b32 s16, s16, s17
	s_andn2_b32 vcc_lo, exec_lo, s16
	s_cbranch_vccnz .LBB45_24
; %bb.8:
	s_load_dwordx4 s[16:19], s[4:5], 0x0
	s_mov_b32 s4, 0
	s_lshl_b32 s20, s9, 5
	s_mov_b32 s21, s4
	s_lshl_b32 s5, s7, 1
	s_lshl_b64 s[20:21], s[20:21], 2
	s_mul_i32 s0, s15, s0
	s_add_i32 s15, s5, s8
	s_mul_i32 s22, s22, s2
	v_cvt_f32_u32_e32 v4, s9
	v_rcp_iflag_f32_e32 v4, v4
	s_waitcnt lgkmcnt(0)
	s_add_u32 s20, s18, s20
	s_addc_u32 s21, s19, s21
	s_add_i32 s0, s0, s7
	s_mul_i32 s0, s0, s1
	s_mul_i32 s1, s1, s23
	s_add_i32 s0, s0, s8
	s_lshl_b32 s1, s1, 8
	s_add_i32 s0, s0, s22
	v_mul_f32_e32 v4, 0x4f7ffffe, v4
	s_add_i32 s0, s0, s24
	s_lshl_b32 s0, s0, 6
	s_add_i32 s1, s1, s0
	s_lshl_b32 s0, s6, 3
	v_or_b32_e32 v1, s1, v0
	s_add_i32 s0, s15, s0
	v_lshl_or_b32 v0, s15, 6, v0
	s_ashr_i32 s1, s0, 31
	v_cvt_u32_f32_e32 v4, v4
	v_ashrrev_i32_e32 v2, 31, v1
	s_lshl_b64 s[0:1], s[0:1], 3
	s_add_u32 s0, s18, s0
	s_addc_u32 s1, s19, s1
	v_lshlrev_b64 v[1:2], 2, v[1:2]
	s_load_dwordx2 s[0:1], s[0:1], 0x0
	s_add_i32 s8, s6, -1
	s_sub_i32 s2, 0, s9
	v_add_co_u32 v1, vcc_lo, s16, v1
	v_add_co_ci_u32_e64 v2, null, s17, v2, vcc_lo
	global_load_dword v3, v[1:2], off
	s_waitcnt lgkmcnt(0)
	v_mov_b32_e32 v5, s1
	v_mov_b32_e32 v6, s0
.LBB45_9:                               ; =>This Inner Loop Header: Depth=1
	s_mul_hi_i32 s5, s8, s3
	s_mul_i32 s6, s8, s3
	s_cmp_lg_u64 s[4:5], 0
	s_mov_b32 s7, -1
                                        ; implicit-def: $sgpr0_sgpr1
	s_cbranch_scc0 .LBB45_11
; %bb.10:                               ;   in Loop: Header=BB45_9 Depth=1
	s_add_u32 s0, s9, 0
	s_addc_u32 s1, 0, 0
	s_xor_b64 s[0:1], s[0:1], 0
	v_cvt_f32_u32_e32 v7, s0
	v_cvt_f32_u32_e32 v8, s1
	s_sub_u32 s17, 0, s0
	s_subb_u32 s22, 0, s1
	v_fmac_f32_e32 v7, 0x4f800000, v8
	v_rcp_f32_e32 v7, v7
	v_mul_f32_e32 v7, 0x5f7ffffc, v7
	v_mul_f32_e32 v8, 0x2f800000, v7
	v_trunc_f32_e32 v8, v8
	v_fmac_f32_e32 v7, 0xcf800000, v8
	v_cvt_u32_f32_e32 v8, v8
	v_cvt_u32_f32_e32 v7, v7
	v_readfirstlane_b32 s7, v8
	v_readfirstlane_b32 s16, v7
	s_mul_i32 s23, s17, s7
	s_mul_hi_u32 s25, s17, s16
	s_mul_i32 s24, s22, s16
	s_add_i32 s23, s25, s23
	s_mul_i32 s26, s17, s16
	s_add_i32 s23, s23, s24
	s_mul_hi_u32 s25, s16, s26
	s_mul_i32 s28, s16, s23
	s_mul_hi_u32 s27, s7, s26
	s_mul_i32 s24, s7, s26
	s_mul_hi_u32 s26, s16, s23
	s_add_u32 s25, s25, s28
	s_addc_u32 s26, 0, s26
	s_mul_hi_u32 s29, s7, s23
	s_add_u32 s24, s25, s24
	s_mul_i32 s23, s7, s23
	s_addc_u32 s24, s26, s27
	s_addc_u32 s25, s29, 0
	s_add_u32 s23, s24, s23
	s_addc_u32 s24, 0, s25
	s_add_u32 s16, s16, s23
	s_cselect_b32 s23, -1, 0
	s_mul_hi_u32 s25, s17, s16
	s_cmp_lg_u32 s23, 0
	s_mul_i32 s23, s17, s16
	s_addc_u32 s7, s7, s24
	s_mul_i32 s22, s22, s16
	s_mul_i32 s17, s17, s7
	s_mul_hi_u32 s24, s16, s23
	s_add_i32 s17, s25, s17
	s_mul_hi_u32 s25, s7, s23
	s_add_i32 s17, s17, s22
	s_mul_i32 s22, s7, s23
	s_mul_i32 s27, s16, s17
	s_mul_hi_u32 s26, s16, s17
	s_add_u32 s24, s24, s27
	s_addc_u32 s26, 0, s26
	s_mul_hi_u32 s23, s7, s17
	s_add_u32 s22, s24, s22
	s_mul_i32 s17, s7, s17
	s_addc_u32 s22, s26, s25
	s_addc_u32 s23, s23, 0
	s_add_u32 s17, s22, s17
	s_addc_u32 s22, 0, s23
	s_add_u32 s24, s16, s17
	s_cselect_b32 s16, -1, 0
	s_cmp_lg_u32 s16, 0
	s_addc_u32 s7, s7, s22
	s_ashr_i32 s16, s5, 31
	s_add_u32 s22, s6, s16
	s_mov_b32 s17, s16
	s_addc_u32 s23, s5, s16
	s_xor_b64 s[22:23], s[22:23], s[16:17]
	s_mul_i32 s25, s22, s7
	s_mul_hi_u32 s26, s22, s24
	s_mul_hi_u32 s5, s22, s7
	;; [unrolled: 1-line block ×3, first 2 shown]
	s_mul_i32 s24, s23, s24
	s_add_u32 s25, s26, s25
	s_addc_u32 s5, 0, s5
	s_mul_hi_u32 s27, s23, s7
	s_add_u32 s24, s25, s24
	s_mul_i32 s7, s23, s7
	s_addc_u32 s5, s5, s28
	s_addc_u32 s24, s27, 0
	s_add_u32 s5, s5, s7
	s_addc_u32 s7, 0, s24
	s_mul_hi_u32 s24, s0, s5
	s_mul_i32 s25, s0, s7
	s_mul_i32 s26, s1, s5
	s_add_i32 s24, s24, s25
	s_mul_i32 s25, s0, s5
	s_add_i32 s24, s24, s26
	s_sub_i32 s26, s23, s24
	s_sub_u32 s22, s22, s25
	s_cselect_b32 s25, -1, 0
	s_cmp_lg_u32 s25, 0
	s_subb_u32 s26, s26, s1
	s_sub_u32 s27, s22, s0
	s_cselect_b32 s28, -1, 0
	s_cmp_lg_u32 s28, 0
	s_subb_u32 s26, s26, 0
	s_cmp_ge_u32 s26, s1
	s_cselect_b32 s28, -1, 0
	s_cmp_ge_u32 s27, s0
	s_cselect_b32 s27, -1, 0
	s_cmp_eq_u32 s26, s1
	s_cselect_b32 s26, s27, s28
	s_add_u32 s27, s5, 1
	s_addc_u32 s28, s7, 0
	s_add_u32 s29, s5, 2
	s_addc_u32 s30, s7, 0
	s_cmp_lg_u32 s26, 0
	s_cselect_b32 s26, s29, s27
	s_cselect_b32 s27, s30, s28
	s_cmp_lg_u32 s25, 0
	s_subb_u32 s23, s23, s24
	s_cmp_ge_u32 s23, s1
	s_cselect_b32 s24, -1, 0
	s_cmp_ge_u32 s22, s0
	s_cselect_b32 s0, -1, 0
	s_cmp_eq_u32 s23, s1
	s_cselect_b32 s0, s0, s24
	s_cmp_lg_u32 s0, 0
	s_cselect_b32 s1, s27, s7
	s_cselect_b32 s0, s26, s5
	s_xor_b64 s[16:17], s[16:17], 0
	s_mov_b32 s7, 0
	s_xor_b64 s[0:1], s[0:1], s[16:17]
	s_sub_u32 s0, s0, s16
.LBB45_11:                              ;   in Loop: Header=BB45_9 Depth=1
	s_andn2_b32 vcc_lo, exec_lo, s7
	s_cbranch_vccnz .LBB45_13
; %bb.12:                               ;   in Loop: Header=BB45_9 Depth=1
	v_readfirstlane_b32 s0, v4
	s_mul_i32 s1, s2, s0
	s_mul_hi_u32 s1, s0, s1
	s_add_i32 s0, s0, s1
	s_mul_hi_u32 s0, s6, s0
	s_mul_i32 s1, s0, s9
	s_add_i32 s5, s0, 1
	s_sub_i32 s1, s6, s1
	s_sub_i32 s6, s1, s9
	s_cmp_ge_u32 s1, s9
	s_cselect_b32 s0, s5, s0
	s_cselect_b32 s1, s6, s1
	s_add_i32 s5, s0, 1
	s_cmp_ge_u32 s1, s9
	s_cselect_b32 s0, s5, s0
.LBB45_13:                              ;   in Loop: Header=BB45_9 Depth=1
	s_cmp_lg_u32 s10, s0
	s_mov_b32 s6, -1
                                        ; implicit-def: $sgpr5
                                        ; implicit-def: $vgpr8
                                        ; implicit-def: $vgpr7
                                        ; implicit-def: $vgpr9
                                        ; implicit-def: $sgpr1
                                        ; implicit-def: $sgpr16
	s_cbranch_scc0 .LBB45_18
; %bb.14:                               ;   in Loop: Header=BB45_9 Depth=1
	s_add_i32 s1, s8, s9
	s_mov_b32 s7, s4
	s_lshl_b32 s1, s1, 3
	s_mov_b32 s16, s10
	s_add_i32 s6, s1, s15
	s_mul_hi_u32 s1, s0, s12
	s_lshl_b64 s[6:7], s[6:7], 3
	s_add_u32 s6, s18, s6
	s_addc_u32 s7, s19, s7
	s_add_i32 s1, s1, s0
	s_lshr_b32 s1, s1, s13
	s_mul_i32 s5, s1, s14
	s_cmp_eq_u32 s5, s0
	s_cselect_b32 s5, -1, 0
	s_cmp_lt_u32 s1, s11
	s_cselect_b32 s1, -1, 0
	s_or_b32 s1, s1, s5
	s_mov_b32 s5, -1
	s_and_b32 vcc_lo, exec_lo, s1
	s_mov_b32 s1, s8
	s_cbranch_vccnz .LBB45_16
; %bb.15:                               ;   in Loop: Header=BB45_9 Depth=1
	s_add_i32 s1, s8, -1
	s_mov_b32 s5, 0
	s_mov_b32 s16, s0
.LBB45_16:                              ;   in Loop: Header=BB45_9 Depth=1
	v_lshl_add_u32 v7, s8, 9, v0
	s_load_dwordx2 s[6:7], s[6:7], 0x0
	v_ashrrev_i32_e32 v8, 31, v7
	v_lshlrev_b64 v[7:8], 2, v[7:8]
	v_add_co_u32 v7, vcc_lo, s20, v7
	v_add_co_ci_u32_e64 v8, null, s21, v8, vcc_lo
	s_waitcnt lgkmcnt(0)
	v_max_f32_e64 v9, s6, s6
	global_load_dword v8, v[7:8], off
	v_max_f32_e32 v7, v6, v6
	v_max_f32_e32 v7, v7, v9
	v_sub_f32_e32 v9, s6, v7
	v_sub_f32_e32 v10, v6, v7
	v_mul_f32_e32 v11, 0x3fb8aa3b, v9
	v_mul_f32_e32 v12, 0x3fb8aa3b, v10
	v_cmp_ngt_f32_e32 vcc_lo, 0xc2ce8ed0, v9
	v_fma_f32 v13, 0x3fb8aa3b, v9, -v11
	v_rndne_f32_e32 v14, v11
	v_fma_f32 v15, 0x3fb8aa3b, v10, -v12
	v_rndne_f32_e32 v16, v12
	v_fmac_f32_e32 v13, 0x32a5705f, v9
	v_sub_f32_e32 v11, v11, v14
	v_fmac_f32_e32 v15, 0x32a5705f, v10
	v_sub_f32_e32 v12, v12, v16
	v_add_f32_e32 v11, v11, v13
	v_cvt_i32_f32_e32 v13, v14
	v_add_f32_e32 v12, v12, v15
	v_cvt_i32_f32_e32 v14, v16
	v_exp_f32_e32 v11, v11
	v_exp_f32_e32 v12, v12
	v_ldexp_f32 v11, v11, v13
	v_ldexp_f32 v12, v12, v14
	v_cndmask_b32_e32 v11, 0, v11, vcc_lo
	v_cmp_ngt_f32_e32 vcc_lo, 0xc2ce8ed0, v10
	v_cndmask_b32_e32 v12, 0, v12, vcc_lo
	v_cmp_nlt_f32_e32 vcc_lo, 0x42b17218, v9
	v_cndmask_b32_e32 v11, 0x7f800000, v11, vcc_lo
	v_cmp_nlt_f32_e32 vcc_lo, 0x42b17218, v10
	v_cndmask_b32_e32 v12, 0x7f800000, v12, vcc_lo
	v_cmp_le_f32_e32 vcc_lo, 0xc1a00000, v9
	v_cndmask_b32_e32 v9, 0, v11, vcc_lo
	v_cmp_le_f32_e32 vcc_lo, 0xc1a00000, v10
	v_cndmask_b32_e32 v10, 0, v12, vcc_lo
	s_waitcnt vmcnt(0)
	v_mul_f32_e32 v8, v8, v9
	v_mul_f32_e32 v9, s7, v9
	v_fmac_f32_e32 v8, v3, v10
	v_fmac_f32_e32 v9, v5, v10
	s_cbranch_execz .LBB45_19
.LBB45_17:                              ;   in Loop: Header=BB45_9 Depth=1
	s_andn2_b32 vcc_lo, exec_lo, s5
	s_cbranch_vccnz .LBB45_20
	s_branch .LBB45_23
.LBB45_18:                              ;   in Loop: Header=BB45_9 Depth=1
	s_andn2_b32 vcc_lo, exec_lo, s6
	s_cbranch_vccnz .LBB45_17
.LBB45_19:                              ;   in Loop: Header=BB45_9 Depth=1
	v_mov_b32_e32 v9, v5
	v_mov_b32_e32 v7, v6
	s_waitcnt vmcnt(0)
	v_mov_b32_e32 v8, v3
	s_add_i32 s1, s8, -1
	s_mov_b32 s16, s10
	s_cbranch_execz .LBB45_23
.LBB45_20:                              ;   in Loop: Header=BB45_9 Depth=1
	v_mov_b32_e32 v5, v9
	v_mov_b32_e32 v6, v7
	s_waitcnt vmcnt(0)
	v_mov_b32_e32 v3, v8
	s_mov_b32 s10, s16
	s_mov_b32 s8, s1
	s_branch .LBB45_9
.LBB45_21:
                                        ; implicit-def: $sgpr10_sgpr11
	s_load_dwordx4 s[12:15], s[4:5], 0x44
	s_branch .LBB45_2
.LBB45_22:
                                        ; implicit-def: $sgpr18_sgpr19
	s_branch .LBB45_5
.LBB45_23:
	v_div_scale_f32 v0, null, v9, v9, v8
	s_waitcnt vmcnt(0)
	v_rcp_f32_e32 v3, v0
	v_fma_f32 v4, -v0, v3, 1.0
	v_fmac_f32_e32 v3, v4, v3
	v_div_scale_f32 v4, vcc_lo, v8, v9, v8
	v_mul_f32_e32 v5, v4, v3
	v_fma_f32 v6, -v0, v5, v4
	v_fmac_f32_e32 v5, v6, v3
	v_fma_f32 v0, -v0, v5, v4
	v_div_fmas_f32 v0, v0, v3, v5
	v_div_fixup_f32 v0, v0, v9, v8
	global_store_dword v[1:2], v0, off
.LBB45_24:
	s_endpgm
	.section	.rodata,"a",@progbits
	.p2align	6, 0x0
	.amdhsa_kernel _ZL33flash_attn_stream_k_fixup_generalILi64ELi4ELi2EEvPfPK15HIP_vector_typeIfLj2EEiiiiS1_IjLj3EES5_S5_S5_
		.amdhsa_group_segment_fixed_size 0
		.amdhsa_private_segment_fixed_size 0
		.amdhsa_kernarg_size 336
		.amdhsa_user_sgpr_count 6
		.amdhsa_user_sgpr_private_segment_buffer 1
		.amdhsa_user_sgpr_dispatch_ptr 0
		.amdhsa_user_sgpr_queue_ptr 0
		.amdhsa_user_sgpr_kernarg_segment_ptr 1
		.amdhsa_user_sgpr_dispatch_id 0
		.amdhsa_user_sgpr_flat_scratch_init 0
		.amdhsa_user_sgpr_private_segment_size 0
		.amdhsa_wavefront_size32 1
		.amdhsa_uses_dynamic_stack 0
		.amdhsa_system_sgpr_private_segment_wavefront_offset 0
		.amdhsa_system_sgpr_workgroup_id_x 1
		.amdhsa_system_sgpr_workgroup_id_y 1
		.amdhsa_system_sgpr_workgroup_id_z 1
		.amdhsa_system_sgpr_workgroup_info 0
		.amdhsa_system_vgpr_workitem_id 0
		.amdhsa_next_free_vgpr 17
		.amdhsa_next_free_sgpr 31
		.amdhsa_reserve_vcc 1
		.amdhsa_reserve_flat_scratch 0
		.amdhsa_float_round_mode_32 0
		.amdhsa_float_round_mode_16_64 0
		.amdhsa_float_denorm_mode_32 3
		.amdhsa_float_denorm_mode_16_64 3
		.amdhsa_dx10_clamp 1
		.amdhsa_ieee_mode 1
		.amdhsa_fp16_overflow 0
		.amdhsa_workgroup_processor_mode 1
		.amdhsa_memory_ordered 1
		.amdhsa_forward_progress 1
		.amdhsa_shared_vgpr_count 0
		.amdhsa_exception_fp_ieee_invalid_op 0
		.amdhsa_exception_fp_denorm_src 0
		.amdhsa_exception_fp_ieee_div_zero 0
		.amdhsa_exception_fp_ieee_overflow 0
		.amdhsa_exception_fp_ieee_underflow 0
		.amdhsa_exception_fp_ieee_inexact 0
		.amdhsa_exception_int_div_zero 0
	.end_amdhsa_kernel
	.section	.text._ZL33flash_attn_stream_k_fixup_generalILi64ELi4ELi2EEvPfPK15HIP_vector_typeIfLj2EEiiiiS1_IjLj3EES5_S5_S5_,"axG",@progbits,_ZL33flash_attn_stream_k_fixup_generalILi64ELi4ELi2EEvPfPK15HIP_vector_typeIfLj2EEiiiiS1_IjLj3EES5_S5_S5_,comdat
.Lfunc_end45:
	.size	_ZL33flash_attn_stream_k_fixup_generalILi64ELi4ELi2EEvPfPK15HIP_vector_typeIfLj2EEiiiiS1_IjLj3EES5_S5_S5_, .Lfunc_end45-_ZL33flash_attn_stream_k_fixup_generalILi64ELi4ELi2EEvPfPK15HIP_vector_typeIfLj2EEiiiiS1_IjLj3EES5_S5_S5_
                                        ; -- End function
	.set _ZL33flash_attn_stream_k_fixup_generalILi64ELi4ELi2EEvPfPK15HIP_vector_typeIfLj2EEiiiiS1_IjLj3EES5_S5_S5_.num_vgpr, 17
	.set _ZL33flash_attn_stream_k_fixup_generalILi64ELi4ELi2EEvPfPK15HIP_vector_typeIfLj2EEiiiiS1_IjLj3EES5_S5_S5_.num_agpr, 0
	.set _ZL33flash_attn_stream_k_fixup_generalILi64ELi4ELi2EEvPfPK15HIP_vector_typeIfLj2EEiiiiS1_IjLj3EES5_S5_S5_.numbered_sgpr, 31
	.set _ZL33flash_attn_stream_k_fixup_generalILi64ELi4ELi2EEvPfPK15HIP_vector_typeIfLj2EEiiiiS1_IjLj3EES5_S5_S5_.num_named_barrier, 0
	.set _ZL33flash_attn_stream_k_fixup_generalILi64ELi4ELi2EEvPfPK15HIP_vector_typeIfLj2EEiiiiS1_IjLj3EES5_S5_S5_.private_seg_size, 0
	.set _ZL33flash_attn_stream_k_fixup_generalILi64ELi4ELi2EEvPfPK15HIP_vector_typeIfLj2EEiiiiS1_IjLj3EES5_S5_S5_.uses_vcc, 1
	.set _ZL33flash_attn_stream_k_fixup_generalILi64ELi4ELi2EEvPfPK15HIP_vector_typeIfLj2EEiiiiS1_IjLj3EES5_S5_S5_.uses_flat_scratch, 0
	.set _ZL33flash_attn_stream_k_fixup_generalILi64ELi4ELi2EEvPfPK15HIP_vector_typeIfLj2EEiiiiS1_IjLj3EES5_S5_S5_.has_dyn_sized_stack, 0
	.set _ZL33flash_attn_stream_k_fixup_generalILi64ELi4ELi2EEvPfPK15HIP_vector_typeIfLj2EEiiiiS1_IjLj3EES5_S5_S5_.has_recursion, 0
	.set _ZL33flash_attn_stream_k_fixup_generalILi64ELi4ELi2EEvPfPK15HIP_vector_typeIfLj2EEiiiiS1_IjLj3EES5_S5_S5_.has_indirect_call, 0
	.section	.AMDGPU.csdata,"",@progbits
; Kernel info:
; codeLenInByte = 2944
; TotalNumSgprs: 33
; NumVgprs: 17
; ScratchSize: 0
; MemoryBound: 0
; FloatMode: 240
; IeeeMode: 1
; LDSByteSize: 0 bytes/workgroup (compile time only)
; SGPRBlocks: 0
; VGPRBlocks: 2
; NumSGPRsForWavesPerEU: 33
; NumVGPRsForWavesPerEU: 17
; Occupancy: 16
; WaveLimiterHint : 0
; COMPUTE_PGM_RSRC2:SCRATCH_EN: 0
; COMPUTE_PGM_RSRC2:USER_SGPR: 6
; COMPUTE_PGM_RSRC2:TRAP_HANDLER: 0
; COMPUTE_PGM_RSRC2:TGID_X_EN: 1
; COMPUTE_PGM_RSRC2:TGID_Y_EN: 1
; COMPUTE_PGM_RSRC2:TGID_Z_EN: 1
; COMPUTE_PGM_RSRC2:TIDIG_COMP_CNT: 0
	.section	.text._ZL15flash_attn_tileILi64ELi64ELi2ELi2ELb0EEvPKcS1_S1_S1_S1_PKiPfP15HIP_vector_typeIfLj2EEffffjfiS5_IjLj3EEiiiiiiiiiiiliiliiiiil,"axG",@progbits,_ZL15flash_attn_tileILi64ELi64ELi2ELi2ELb0EEvPKcS1_S1_S1_S1_PKiPfP15HIP_vector_typeIfLj2EEffffjfiS5_IjLj3EEiiiiiiiiiiiliiliiiiil,comdat
	.globl	_ZL15flash_attn_tileILi64ELi64ELi2ELi2ELb0EEvPKcS1_S1_S1_S1_PKiPfP15HIP_vector_typeIfLj2EEffffjfiS5_IjLj3EEiiiiiiiiiiiliiliiiiil ; -- Begin function _ZL15flash_attn_tileILi64ELi64ELi2ELi2ELb0EEvPKcS1_S1_S1_S1_PKiPfP15HIP_vector_typeIfLj2EEffffjfiS5_IjLj3EEiiiiiiiiiiiliiliiiiil
	.p2align	8
	.type	_ZL15flash_attn_tileILi64ELi64ELi2ELi2ELb0EEvPKcS1_S1_S1_S1_PKiPfP15HIP_vector_typeIfLj2EEffffjfiS5_IjLj3EEiiiiiiiiiiiliiliiiiil,@function
_ZL15flash_attn_tileILi64ELi64ELi2ELi2ELb0EEvPKcS1_S1_S1_S1_PKiPfP15HIP_vector_typeIfLj2EEffffjfiS5_IjLj3EEiiiiiiiiiiiliiliiiiil: ; @_ZL15flash_attn_tileILi64ELi64ELi2ELi2ELb0EEvPKcS1_S1_S1_S1_PKiPfP15HIP_vector_typeIfLj2EEffffjfiS5_IjLj3EEiiiiiiiiiiiliiliiiiil
; %bb.0:
	s_clause 0x1
	s_load_dwordx4 s[24:27], s[4:5], 0x5c
	s_load_dwordx2 s[34:35], s[4:5], 0x80
	s_mov_b32 s28, s7
	s_mov_b64 s[36:37], 0
	s_waitcnt lgkmcnt(0)
	s_lshr_b32 s0, s27, 31
	s_add_i32 s0, s27, s0
	s_ashr_i32 s0, s0, 1
	v_cvt_f32_u32_e32 v2, s0
	s_sub_i32 s2, 0, s0
	v_rcp_iflag_f32_e32 v2, v2
	v_mul_f32_e32 v2, 0x4f7ffffe, v2
	v_cvt_u32_f32_e32 v2, v2
	v_readfirstlane_b32 s1, v2
	s_mul_i32 s2, s2, s1
	s_mul_hi_u32 s2, s1, s2
	s_add_i32 s1, s1, s2
	s_mul_hi_u32 s1, s8, s1
	s_mul_i32 s2, s1, s0
	s_add_i32 s3, s1, 1
	s_sub_i32 s2, s8, s2
	s_sub_i32 s7, s2, s0
	s_cmp_ge_u32 s2, s0
	s_cselect_b32 s1, s3, s1
	s_cselect_b32 s2, s7, s2
	s_add_i32 s3, s1, 1
	s_cmp_ge_u32 s2, s0
	s_cselect_b32 s29, s3, s1
	s_abs_i32 s0, s35
	s_lshl_b32 s3, s8, 1
	v_cvt_f32_u32_e32 v2, s0
	s_sub_i32 s2, 0, s0
	s_abs_i32 s8, s27
	s_mul_i32 s7, s29, s27
	v_rcp_iflag_f32_e32 v2, v2
	s_sub_i32 s30, s3, s7
	v_mul_f32_e32 v2, 0x4f7ffffe, v2
	v_cvt_u32_f32_e32 v2, v2
	v_readfirstlane_b32 s1, v2
	s_mul_i32 s2, s2, s1
	s_mul_hi_u32 s2, s1, s2
	s_add_i32 s1, s1, s2
	s_xor_b32 s2, s27, s35
	s_mul_hi_u32 s1, s8, s1
	s_ashr_i32 s2, s2, 31
	s_mul_i32 s3, s1, s0
	s_add_i32 s7, s1, 1
	s_sub_i32 s3, s8, s3
	s_sub_i32 s8, s3, s0
	s_cmp_ge_u32 s3, s0
	s_cselect_b32 s1, s7, s1
	s_cselect_b32 s3, s8, s3
	s_add_i32 s7, s1, 1
	s_cmp_ge_u32 s3, s0
	s_clause 0x1
	s_load_dwordx16 s[8:23], s[4:5], 0x0
	s_load_dwordx2 s[38:39], s[4:5], 0xb8
	s_cselect_b32 s0, s7, s1
	s_xor_b32 s0, s0, s2
	s_sub_i32 s31, s0, s2
	s_abs_i32 s7, s31
	v_cvt_f32_u32_e32 v2, s7
	v_rcp_iflag_f32_e32 v2, v2
	s_waitcnt lgkmcnt(0)
	s_cmp_eq_u64 s[14:15], 0
	v_mul_f32_e32 v2, 0x4f7ffffe, v2
	v_cvt_u32_f32_e32 v2, v2
	v_readfirstlane_b32 s33, v2
	s_cbranch_scc1 .LBB46_2
; %bb.1:
	s_abs_i32 s2, s38
	s_abs_i32 s3, s29
	v_cvt_f32_u32_e32 v2, s2
	s_sub_i32 s1, 0, s2
	v_rcp_iflag_f32_e32 v2, v2
	v_mul_f32_e32 v2, 0x4f7ffffe, v2
	v_cvt_u32_f32_e32 v2, v2
	v_readfirstlane_b32 s0, v2
	s_mul_i32 s1, s1, s0
	s_mul_hi_u32 s1, s0, s1
	s_add_i32 s0, s0, s1
	s_mul_hi_u32 s35, s3, s0
	s_load_dwordx2 s[0:1], s[4:5], 0xc8
	s_mul_i32 s35, s35, s2
	s_sub_i32 s3, s3, s35
	s_ashr_i32 s35, s29, 31
	s_sub_i32 s36, s3, s2
	s_cmp_ge_u32 s3, s2
	s_cselect_b32 s3, s36, s3
	s_sub_i32 s36, s3, s2
	s_cmp_ge_u32 s3, s2
	s_cselect_b32 s2, s36, s3
	s_xor_b32 s2, s2, s35
	s_sub_i32 s2, s2, s35
	s_ashr_i32 s3, s2, 31
	s_waitcnt lgkmcnt(0)
	s_mul_hi_u32 s35, s0, s2
	s_mul_i32 s3, s0, s3
	s_mul_i32 s1, s1, s2
	s_add_i32 s3, s35, s3
	s_mul_i32 s0, s0, s2
	s_add_i32 s3, s3, s1
	s_add_u32 s36, s14, s0
	s_addc_u32 s37, s15, s3
.LBB46_2:
	v_lshl_add_u32 v2, s6, 1, v1
	s_load_dwordx4 s[0:3], s[4:5], 0x70
	v_lshl_add_u32 v22, v1, 8, 0x1200
	v_mul_hi_u32 v3, s24, v2
	v_lshl_or_b32 v8, v0, 2, v22
	v_add_nc_u32_e32 v3, v2, v3
	v_lshrrev_b32_e32 v3, s25, v3
	s_waitcnt lgkmcnt(0)
	s_mul_i32 s3, s29, s2
	s_mul_i32 s14, s30, s1
	v_mul_lo_u32 v3, v3, s26
	s_ashr_i32 s15, s3, 31
	s_add_u32 s3, s8, s3
	s_addc_u32 s8, s9, s15
	s_ashr_i32 s9, s14, 31
	s_add_u32 s14, s3, s14
	s_mov_b32 s2, s0
	s_addc_u32 s15, s8, s9
	v_sub_nc_u32_e32 v3, v2, v3
	s_ashr_i32 s3, s0, 31
	s_lshr_b64 s[8:9], s[2:3], 2
	s_lshr_b32 s0, s3, 2
	v_mad_u64_u32 v[4:5], null, s8, v3, 0
	v_mad_u64_u32 v[5:6], null, s0, v3, v[5:6]
	v_lshlrev_b32_e32 v6, 3, v0
	s_ashr_i32 s0, s1, 31
	s_and_b32 s1, s1, -4
	s_cmp_eq_u64 s[18:19], 0
	v_lshlrev_b64 v[4:5], 2, v[4:5]
	v_add_co_u32 v4, vcc_lo, s14, v4
	v_add_co_ci_u32_e64 v5, null, s15, v5, vcc_lo
	v_add_co_u32 v4, vcc_lo, v4, v6
	v_add_co_ci_u32_e64 v5, null, 0, v5, vcc_lo
	;; [unrolled: 2-line block ×3, first 2 shown]
	s_load_dword s0, s[4:5], 0x40
	s_clause 0x1
	global_load_dwordx2 v[4:5], v[4:5], off
	global_load_dwordx2 v[6:7], v[6:7], off
	s_waitcnt vmcnt(1) lgkmcnt(0)
	v_fma_mixlo_f16 v5, s0, v5, 0
	s_waitcnt vmcnt(0)
	v_fma_mixlo_f16 v7, s0, v7, 0
	v_fma_mixlo_f16 v4, s0, v4, 0
	;; [unrolled: 1-line block ×3, first 2 shown]
	v_lshlrev_b32_e32 v5, 16, v5
	v_lshlrev_b32_e32 v7, 16, v7
	v_or_b32_sdwa v4, v5, v4 dst_sel:DWORD dst_unused:UNUSED_PAD src0_sel:DWORD src1_sel:WORD_0
	v_or_b32_sdwa v5, v7, v6 dst_sel:DWORD dst_unused:UNUSED_PAD src0_sel:DWORD src1_sel:WORD_0
	ds_write2_b32 v8, v4, v5 offset1:32
	s_waitcnt lgkmcnt(0)
	s_barrier
	buffer_gl0_inv
	s_cbranch_scc1 .LBB46_4
; %bb.3:
	s_load_dword s0, s[4:5], 0xd0
	s_mov_b32 s1, 0
	s_waitcnt lgkmcnt(0)
	s_mul_i32 s0, s0, s29
	s_add_i32 s0, s0, s6
	s_lshl_b64 s[0:1], s[0:1], 2
	s_add_u32 s0, s18, s0
	s_addc_u32 s1, s19, s1
	s_load_dword s34, s[0:1], 0x0
.LBB46_4:
	v_mbcnt_lo_u32_b32 v23, -1, 0
	s_lshl_b32 s14, s28, 5
	s_waitcnt lgkmcnt(0)
	s_cmp_lt_i32 s14, s34
	s_cbranch_scc1 .LBB46_7
; %bb.5:
	v_mbcnt_lo_u32_b32 v4, -1, 0
	v_mov_b32_e32 v25, 32
	v_xor_b32_e32 v31, 16, v4
	v_xor_b32_e32 v29, 8, v4
	;; [unrolled: 1-line block ×5, first 2 shown]
	s_cbranch_execz .LBB46_8
; %bb.6:
	v_mov_b32_e32 v33, 0
	v_mov_b32_e32 v49, 0
	;; [unrolled: 1-line block ×6, first 2 shown]
	s_branch .LBB46_11
.LBB46_7:
                                        ; implicit-def: $vgpr4
                                        ; implicit-def: $vgpr25
                                        ; implicit-def: $vgpr31
                                        ; implicit-def: $vgpr29
                                        ; implicit-def: $vgpr28
                                        ; implicit-def: $vgpr27
                                        ; implicit-def: $vgpr26
.LBB46_8:
	s_clause 0x1
	s_load_dwordx4 s[0:3], s[4:5], 0x98
	s_load_dwordx2 s[8:9], s[4:5], 0x8c
	s_sub_i32 s6, 0, s7
	s_ashr_i32 s38, s29, 31
	s_mul_i32 s6, s6, s33
	s_abs_i32 s19, s30
	s_mul_hi_u32 s6, s33, s6
	s_ashr_i32 s35, s30, 31
	s_add_i32 s33, s33, s6
	s_ashr_i32 s31, s31, 31
	s_mul_hi_u32 s33, s19, s33
	s_load_dwordx2 s[24:25], s[4:5], 0xa8
	s_ashr_i32 s6, s39, 1
	s_mul_i32 s39, s33, s7
	v_lshrrev_b32_e32 v4, 3, v0
	v_lshlrev_b32_e32 v30, 2, v0
	v_lshl_add_u32 v39, v1, 7, 0x1400
	v_mov_b32_e32 v24, 0
	v_mul_u32_u24_e32 v37, 0x90, v0
	v_lshl_add_u32 v4, v1, 2, v4
	s_waitcnt lgkmcnt(0)
	s_ashr_i32 s15, s2, 2
	s_ashr_i32 s18, s8, 2
	s_mul_hi_u32 s2, s0, s29
	s_mul_i32 s8, s0, s38
	s_mul_i32 s1, s1, s29
	s_add_i32 s2, s2, s8
	s_mul_i32 s0, s0, s29
	s_add_i32 s2, s2, s1
	s_add_u32 s0, s10, s0
	s_addc_u32 s1, s11, s2
	s_sub_i32 s8, s19, s39
	s_xor_b32 s2, s35, s31
	s_add_i32 s10, s33, 1
	s_sub_i32 s11, s8, s7
	s_cmp_ge_u32 s8, s7
	s_mul_i32 s19, s25, s29
	s_cselect_b32 s10, s10, s33
	s_cselect_b32 s8, s11, s8
	s_add_i32 s11, s10, 1
	s_cmp_ge_u32 s8, s7
	s_mul_hi_u32 s8, s24, s29
	s_cselect_b32 s7, s11, s10
	v_mul_lo_u32 v5, s18, v4
	s_xor_b32 s7, s7, s2
	v_mul_lo_u32 v12, s15, v4
	s_sub_i32 s2, s7, s2
	s_mul_i32 s7, s24, s38
	s_mul_i32 s9, s2, s9
	;; [unrolled: 1-line block ×3, first 2 shown]
	s_ashr_i32 s11, s9, 31
	s_add_u32 s10, s0, s9
	s_addc_u32 s11, s1, s11
	s_add_i32 s0, s8, s7
	s_mul_i32 s1, s24, s29
	s_add_i32 s0, s0, s19
	s_add_u32 s1, s12, s1
	s_addc_u32 s0, s13, s0
	s_ashr_i32 s3, s2, 31
	s_add_u32 s12, s1, s2
	s_addc_u32 s13, s0, s3
	s_lshl_b32 s0, s18, 3
	v_and_b32_e32 v11, 28, v30
	v_add_nc_u32_e32 v7, s0, v5
	v_ashrrev_i32_e32 v6, 31, v5
	v_mov_b32_e32 v20, 0xfeffffff
	v_mov_b32_e32 v25, 32
	v_lshlrev_b32_e32 v13, 2, v11
	v_add_nc_u32_e32 v9, s0, v7
	v_ashrrev_i32_e32 v8, 31, v7
	v_lshlrev_b32_e32 v43, 2, v11
	v_xor_b32_e32 v31, 16, v23
	v_mad_u32_u24 v32, 0x90, v4, v13
	v_add_nc_u32_e32 v14, s0, v9
	s_lshl_b32 s0, s15, 3
	v_ashrrev_i32_e32 v10, 31, v9
	v_add_nc_u32_e32 v16, s0, v12
	v_lshl_or_b32 v38, v4, 7, v13
	v_ashrrev_i32_e32 v15, 31, v14
	v_ashrrev_i32_e32 v13, 31, v12
	v_mad_u64_u32 v[3:4], null, v3, s6, v[0:1]
	v_add_nc_u32_e32 v18, s0, v16
	v_ashrrev_i32_e32 v17, 31, v16
	v_lshlrev_b64 v[4:5], 2, v[5:6]
	v_lshlrev_b64 v[6:7], 2, v[7:8]
	;; [unrolled: 1-line block ×3, first 2 shown]
	v_add_nc_u32_e32 v45, s0, v18
	v_ashrrev_i32_e32 v19, 31, v18
	v_lshlrev_b64 v[10:11], 2, v[14:15]
	v_lshlrev_b64 v[12:13], 2, v[12:13]
	v_lshlrev_b64 v[14:15], 2, v[16:17]
	v_ashrrev_i32_e32 v46, 31, v45
	v_lshlrev_b64 v[16:17], 2, v[18:19]
	v_add_nc_u32_e32 v34, 0x480, v32
	v_add_nc_u32_e32 v35, 0x900, v32
	;; [unrolled: 1-line block ×3, first 2 shown]
	v_lshlrev_b64 v[18:19], 2, v[45:46]
	v_add_nc_u32_e32 v40, 0x400, v38
	v_add_nc_u32_e32 v41, 0x800, v38
	;; [unrolled: 1-line block ×3, first 2 shown]
	v_xor_b32_e32 v29, 8, v23
	v_xor_b32_e32 v28, 4, v23
	;; [unrolled: 1-line block ×4, first 2 shown]
	v_add_nc_u32_e32 v44, v39, v30
	v_mov_b32_e32 v45, 0x10001
	v_add_nc_u32_e32 v46, 0x400, v30
	v_add_nc_u32_e32 v47, 0x800, v30
	;; [unrolled: 1-line block ×3, first 2 shown]
	v_mov_b32_e32 v33, 0
	v_mov_b32_e32 v21, 0xfeffffff
	;; [unrolled: 1-line block ×4, first 2 shown]
	s_add_u32 s8, s4, 0xd0
	s_addc_u32 s9, s5, 0
.LBB46_9:                               ; =>This Inner Loop Header: Depth=1
	v_cmp_gt_i32_e32 vcc_lo, 32, v31
	s_mul_hi_i32 s1, s14, s18
	s_mul_i32 s0, s14, s18
	v_add_nc_u32_e32 v52, s14, v3
	s_lshl_b64 s[0:1], s[0:1], 2
	v_cndmask_b32_e32 v54, v23, v31, vcc_lo
	v_cmp_gt_i32_e32 vcc_lo, 32, v29
	s_mul_hi_i32 s3, s14, s15
	s_mul_i32 s2, s14, s15
	s_add_u32 s19, s10, s0
	s_addc_u32 s24, s11, s1
	v_cndmask_b32_e32 v55, v23, v29, vcc_lo
	v_cmp_gt_i32_e32 vcc_lo, 32, v28
	v_ashrrev_i32_e32 v53, 31, v52
	s_lshl_b64 s[6:7], s[2:3], 2
	v_lshlrev_b32_e32 v68, 2, v54
	v_lshlrev_b32_e32 v69, 2, v55
	v_cndmask_b32_e32 v56, v23, v28, vcc_lo
	v_cmp_gt_i32_e32 vcc_lo, 32, v27
	v_add_co_u32 v55, s0, s19, v8
	v_lshlrev_b64 v[64:65], 1, v[52:53]
	v_lshlrev_b32_e32 v70, 2, v56
	v_cndmask_b32_e32 v57, v23, v27, vcc_lo
	v_cmp_gt_i32_e32 vcc_lo, 32, v26
	v_add_co_u32 v60, s3, v55, v43
	v_add_co_ci_u32_e64 v63, null, s24, v9, s0
	v_cndmask_b32_e32 v58, v23, v26, vcc_lo
	v_add_co_u32 v54, vcc_lo, s19, v6
	v_lshlrev_b32_e32 v71, 2, v57
	v_add_co_u32 v57, s1, s19, v10
	v_lshlrev_b32_e32 v72, 2, v58
	v_add_co_u32 v58, s2, s19, v4
	v_add_co_ci_u32_e64 v59, null, s24, v5, s2
	s_add_u32 s2, s12, s6
	v_add_co_ci_u32_e64 v61, null, s24, v7, vcc_lo
	s_addc_u32 s19, s13, s7
	v_add_co_u32 v67, vcc_lo, s2, v12
	v_add_co_u32 v52, s7, v58, v43
	v_add_co_ci_u32_e64 v78, null, s19, v13, vcc_lo
	v_add_co_u32 v56, vcc_lo, v54, v43
	v_add_co_ci_u32_e64 v53, null, 0, v59, s7
	v_add_co_u32 v62, s6, v57, v43
	v_add_co_ci_u32_e64 v57, null, 0, v61, vcc_lo
	s_clause 0x1
	global_load_dwordx4 v[52:55], v[52:53], off
	global_load_dwordx4 v[56:59], v[56:57], off
	v_add_co_ci_u32_e64 v66, null, s24, v11, s1
	v_add_co_ci_u32_e64 v61, null, 0, v63, s3
	v_mov_b32_e32 v51, v20
	v_add_co_ci_u32_e64 v63, null, 0, v66, s6
	v_mov_b32_e32 v20, 0
	v_mov_b32_e32 v50, v21
	;; [unrolled: 1-line block ×3, first 2 shown]
	v_add_co_u32 v75, s0, s2, v14
	v_add_co_u32 v76, s1, s2, v16
	;; [unrolled: 1-line block ×3, first 2 shown]
	v_max_f32_e32 v73, v51, v51
	v_max_f32_e32 v74, v50, v50
	s_waitcnt vmcnt(1)
	ds_write_b128 v32, v[52:55]
	s_clause 0x1
	global_load_dwordx4 v[52:55], v[60:61], off
	global_load_dwordx4 v[60:63], v[62:63], off
	s_waitcnt vmcnt(2)
	ds_write_b128 v34, v[56:59]
	s_waitcnt vmcnt(1)
	ds_write_b128 v35, v[52:55]
	;; [unrolled: 2-line block ×3, first 2 shown]
	s_waitcnt lgkmcnt(0)
	s_barrier
	buffer_gl0_inv
	ds_read_b128 v[52:55], v37
	ds_read_b128 v[56:59], v22
	ds_read_b128 v[60:63], v22 offset:128
	s_waitcnt lgkmcnt(1)
	;;#ASMSTART
	v_dot2_f32_f16 v20, v52, v56, v20
	;;#ASMEND
	;;#ASMSTART
	v_dot2_f32_f16 v20, v53, v57, v20
	;;#ASMEND
	;;#ASMSTART
	v_dot2_f32_f16 v20, v54, v58, v20
	;;#ASMEND
	;;#ASMSTART
	v_dot2_f32_f16 v20, v55, v59, v20
	;;#ASMEND
	s_waitcnt lgkmcnt(0)
	;;#ASMSTART
	v_dot2_f32_f16 v21, v52, v60, v21
	;;#ASMEND
	;;#ASMSTART
	v_dot2_f32_f16 v21, v53, v61, v21
	;;#ASMEND
	;;#ASMSTART
	v_dot2_f32_f16 v21, v54, v62, v21
	;;#ASMEND
	;;#ASMSTART
	v_dot2_f32_f16 v21, v55, v63, v21
	;;#ASMEND
	ds_read_b128 v[52:55], v37 offset:16
	ds_read_b128 v[56:59], v22 offset:16
	ds_read_b128 v[60:63], v22 offset:144
	s_waitcnt lgkmcnt(1)
	;;#ASMSTART
	v_dot2_f32_f16 v20, v52, v56, v20
	;;#ASMEND
	;;#ASMSTART
	v_dot2_f32_f16 v20, v53, v57, v20
	;;#ASMEND
	;;#ASMSTART
	v_dot2_f32_f16 v20, v54, v58, v20
	;;#ASMEND
	;;#ASMSTART
	v_dot2_f32_f16 v20, v55, v59, v20
	;;#ASMEND
	s_waitcnt lgkmcnt(0)
	;;#ASMSTART
	v_dot2_f32_f16 v21, v52, v60, v21
	;;#ASMEND
	;;#ASMSTART
	v_dot2_f32_f16 v21, v53, v61, v21
	;;#ASMEND
	;;#ASMSTART
	v_dot2_f32_f16 v21, v54, v62, v21
	;;#ASMEND
	;;#ASMSTART
	v_dot2_f32_f16 v21, v55, v63, v21
	;;#ASMEND
	ds_read_b128 v[52:55], v37 offset:32
	ds_read_b128 v[56:59], v22 offset:32
	;; [unrolled: 29-line block ×7, first 2 shown]
	ds_read_b128 v[60:63], v22 offset:240
	s_waitcnt lgkmcnt(1)
	;;#ASMSTART
	v_dot2_f32_f16 v20, v52, v56, v20
	;;#ASMEND
	;;#ASMSTART
	v_dot2_f32_f16 v20, v53, v57, v20
	;;#ASMEND
	;; [unrolled: 3-line block ×4, first 2 shown]
	v_add_co_ci_u32_e64 v59, null, s19, v19, s2
	s_waitcnt lgkmcnt(0)
	;;#ASMSTART
	v_dot2_f32_f16 v21, v52, v60, v21
	;;#ASMEND
	v_add_co_u32 v52, s2, v67, v43
	;;#ASMSTART
	v_dot2_f32_f16 v21, v53, v61, v21
	;;#ASMEND
	;;#ASMSTART
	v_dot2_f32_f16 v21, v54, v62, v21
	;;#ASMEND
	v_add_co_ci_u32_e64 v53, null, 0, v78, s2
	v_add_co_u32 v54, s2, s36, v64
	;;#ASMSTART
	v_dot2_f32_f16 v21, v55, v63, v21
	;;#ASMEND
	v_add_co_ci_u32_e64 v55, null, s37, v65, s2
	v_add_co_u32 v56, vcc_lo, v75, v43
	v_add_co_ci_u32_e64 v57, null, s19, v15, s0
	global_load_ushort v64, v[54:55], off
	v_add_co_ci_u32_e64 v58, null, s19, v17, s1
	v_add_co_u32 v60, s0, v76, v43
	v_add_co_u32 v66, s1, v77, v43
	v_add_co_ci_u32_e64 v57, null, 0, v57, vcc_lo
	v_add_co_ci_u32_e64 v61, null, 0, v58, s0
	v_add_co_ci_u32_e64 v67, null, 0, v59, s1
	s_waitcnt vmcnt(0)
	s_barrier
	buffer_gl0_inv
	s_clause 0x2
	global_load_dwordx4 v[52:55], v[52:53], off
	global_load_dwordx4 v[56:59], v[56:57], off
	;; [unrolled: 1-line block ×3, first 2 shown]
	v_cvt_f32_f16_e32 v64, v64
	v_add_f32_e32 v65, v20, v64
	v_add_f32_e32 v64, v21, v64
	;; [unrolled: 1-line block ×4, first 2 shown]
	v_max_f32_e32 v20, v73, v20
	v_max_f32_e32 v21, v74, v21
	ds_bpermute_b32 v73, v68, v20
	ds_bpermute_b32 v68, v68, v21
	s_waitcnt lgkmcnt(1)
	v_max_f32_e32 v73, v73, v73
	s_waitcnt lgkmcnt(0)
	v_max_f32_e32 v68, v68, v68
	v_max_f32_e32 v20, v20, v73
	v_max_f32_e32 v21, v21, v68
	ds_bpermute_b32 v68, v69, v20
	ds_bpermute_b32 v69, v69, v21
	s_waitcnt lgkmcnt(1)
	v_max_f32_e32 v68, v68, v68
	s_waitcnt lgkmcnt(0)
	v_max_f32_e32 v69, v69, v69
	;; [unrolled: 8-line block ×5, first 2 shown]
	v_max_f32_e32 v20, v20, v68
	v_max_f32_e32 v21, v21, v69
	v_sub_f32_e32 v68, v51, v20
	v_sub_f32_e32 v51, v65, v20
	;; [unrolled: 1-line block ×4, first 2 shown]
	v_mul_f32_e32 v50, 0x3fb8aa3b, v68
	v_mul_f32_e32 v64, 0x3fb8aa3b, v51
	;; [unrolled: 1-line block ×4, first 2 shown]
	v_cmp_ngt_f32_e32 vcc_lo, 0xc2ce8ed0, v70
	v_fma_f32 v72, 0x3fb8aa3b, v68, -v50
	v_rndne_f32_e32 v73, v50
	v_fma_f32 v74, 0x3fb8aa3b, v51, -v64
	v_rndne_f32_e32 v75, v64
	v_fma_f32 v76, 0x3fb8aa3b, v69, -v65
	v_fmac_f32_e32 v72, 0x32a5705f, v68
	v_sub_f32_e32 v50, v50, v73
	v_rndne_f32_e32 v77, v65
	v_fmac_f32_e32 v74, 0x32a5705f, v51
	v_sub_f32_e32 v64, v64, v75
	v_rndne_f32_e32 v78, v71
	v_add_f32_e32 v72, v50, v72
	v_fma_f32 v50, 0x3fb8aa3b, v70, -v71
	v_fmac_f32_e32 v76, 0x32a5705f, v69
	v_add_f32_e32 v74, v64, v74
	v_sub_f32_e32 v64, v65, v77
	v_sub_f32_e32 v65, v71, v78
	v_fmac_f32_e32 v50, 0x32a5705f, v70
	v_exp_f32_e32 v72, v72
	v_exp_f32_e32 v74, v74
	v_add_f32_e32 v71, v64, v76
	v_cmp_ngt_f32_e64 s0, 0xc2ce8ed0, v51
	v_add_f32_e32 v76, v65, v50
	global_load_dwordx4 v[64:67], v[66:67], off
	v_mov_b32_e32 v50, v1
	v_cvt_i32_f32_e32 v1, v73
	v_cvt_i32_f32_e32 v73, v75
	v_exp_f32_e32 v76, v76
	v_cvt_i32_f32_e32 v75, v77
	v_cvt_i32_f32_e32 v77, v78
	v_ldexp_f32 v72, v72, v1
	v_ldexp_f32 v1, v74, v73
	v_exp_f32_e32 v71, v71
	v_cndmask_b32_e64 v1, 0, v1, s0
	v_ldexp_f32 v73, v76, v77
	v_cmp_nlt_f32_e64 s0, 0x42b17218, v51
	v_cndmask_b32_e32 v73, 0, v73, vcc_lo
	v_cmp_nlt_f32_e32 vcc_lo, 0x42b17218, v70
	v_cndmask_b32_e64 v1, 0x7f800000, v1, s0
	v_ldexp_f32 v71, v71, v75
	v_cmp_ngt_f32_e64 s0, 0xc2ce8ed0, v68
	v_cndmask_b32_e32 v51, 0x7f800000, v73, vcc_lo
	v_cvt_f16_f32_e32 v70, v1
	v_cmp_ngt_f32_e32 vcc_lo, 0xc2ce8ed0, v69
	v_cvt_f16_f32_e32 v73, v51
	v_pack_b32_f16 v70, v70, v73
	ds_write_b32 v44, v70
	s_waitcnt vmcnt(3)
	ds_write_b128 v38, v[52:55]
	s_waitcnt vmcnt(2)
	ds_write_b128 v40, v[56:59]
	;; [unrolled: 2-line block ×4, first 2 shown]
	s_waitcnt lgkmcnt(0)
	s_barrier
	buffer_gl0_inv
	ds_read_b128 v[54:57], v39
	ds_read2_b32 v[62:63], v30 offset1:32
	v_cndmask_b32_e64 v52, 0, v72, s0
	v_cndmask_b32_e32 v58, 0, v71, vcc_lo
	v_cmp_nlt_f32_e32 vcc_lo, 0x42b17218, v69
	v_cmp_nlt_f32_e64 s0, 0x42b17218, v68
	v_mov_b32_e32 v72, v49
	v_cndmask_b32_e64 v53, 0x7f800000, v52, s0
	v_cndmask_b32_e32 v52, 0x7f800000, v58, vcc_lo
	ds_read_b128 v[58:61], v39 offset:16
	ds_read2_b32 v[64:65], v30 offset0:64 offset1:96
	v_cvt_f16_f32_e32 v66, v53
	v_cvt_f16_f32_e32 v67, v52
	v_fmac_f32_e32 v1, v50, v53
	s_waitcnt lgkmcnt(3)
	v_mul_u32_u24_sdwa v68, v54, v45 dst_sel:DWORD dst_unused:UNUSED_PAD src0_sel:WORD_0 src1_sel:DWORD
	v_mul_u32_u24_sdwa v54, v54, v45 dst_sel:DWORD dst_unused:UNUSED_PAD src0_sel:WORD_1 src1_sel:DWORD
	v_mul_u32_u24_sdwa v69, v66, v45 dst_sel:DWORD dst_unused:UNUSED_PAD src0_sel:WORD_0 src1_sel:DWORD
	v_mul_u32_u24_sdwa v70, v67, v45 dst_sel:DWORD dst_unused:UNUSED_PAD src0_sel:WORD_0 src1_sel:DWORD
	ds_read2_b32 v[66:67], v30 offset0:128 offset1:160
	s_waitcnt lgkmcnt(3)
	v_pk_mul_f16 v68, v62, v68
	v_pk_mul_f16 v54, v62, v54
	v_mul_u32_u24_sdwa v62, v55, v45 dst_sel:DWORD dst_unused:UNUSED_PAD src0_sel:WORD_0 src1_sel:DWORD
	v_mul_u32_u24_sdwa v55, v55, v45 dst_sel:DWORD dst_unused:UNUSED_PAD src0_sel:WORD_1 src1_sel:DWORD
	v_pk_fma_f16 v33, v33, v69, v68
	v_pk_fma_f16 v24, v24, v70, v54
	v_mul_u32_u24_sdwa v54, v56, v45 dst_sel:DWORD dst_unused:UNUSED_PAD src0_sel:WORD_0 src1_sel:DWORD
	v_mul_u32_u24_sdwa v56, v56, v45 dst_sel:DWORD dst_unused:UNUSED_PAD src0_sel:WORD_1 src1_sel:DWORD
	v_mul_u32_u24_sdwa v68, v57, v45 dst_sel:DWORD dst_unused:UNUSED_PAD src0_sel:WORD_0 src1_sel:DWORD
	v_pk_fma_f16 v33, v63, v62, v33
	v_pk_fma_f16 v24, v63, v55, v24
	ds_read2_b32 v[62:63], v30 offset0:192 offset1:224
	v_mul_u32_u24_sdwa v69, v57, v45 dst_sel:DWORD dst_unused:UNUSED_PAD src0_sel:WORD_1 src1_sel:DWORD
	s_waitcnt lgkmcnt(3)
	v_mul_u32_u24_sdwa v70, v58, v45 dst_sel:DWORD dst_unused:UNUSED_PAD src0_sel:WORD_0 src1_sel:DWORD
	s_waitcnt lgkmcnt(2)
	v_pk_fma_f16 v33, v64, v54, v33
	v_pk_fma_f16 v24, v64, v56, v24
	ds_read_b128 v[54:57], v39 offset:32
	v_mul_u32_u24_sdwa v58, v58, v45 dst_sel:DWORD dst_unused:UNUSED_PAD src0_sel:WORD_1 src1_sel:DWORD
	v_pk_fma_f16 v33, v65, v68, v33
	v_pk_fma_f16 v24, v65, v69, v24
	ds_read2_b32 v[64:65], v46 offset1:32
	v_mul_u32_u24_sdwa v68, v59, v45 dst_sel:DWORD dst_unused:UNUSED_PAD src0_sel:WORD_0 src1_sel:DWORD
	v_mul_u32_u24_sdwa v59, v59, v45 dst_sel:DWORD dst_unused:UNUSED_PAD src0_sel:WORD_1 src1_sel:DWORD
	s_waitcnt lgkmcnt(3)
	v_pk_fma_f16 v33, v66, v70, v33
	v_pk_fma_f16 v24, v66, v58, v24
	v_mul_u32_u24_sdwa v58, v60, v45 dst_sel:DWORD dst_unused:UNUSED_PAD src0_sel:WORD_0 src1_sel:DWORD
	v_mul_u32_u24_sdwa v60, v60, v45 dst_sel:DWORD dst_unused:UNUSED_PAD src0_sel:WORD_1 src1_sel:DWORD
	v_mul_u32_u24_sdwa v69, v61, v45 dst_sel:DWORD dst_unused:UNUSED_PAD src0_sel:WORD_1 src1_sel:DWORD
	v_pk_fma_f16 v33, v67, v68, v33
	v_pk_fma_f16 v24, v67, v59, v24
	ds_read2_b32 v[66:67], v46 offset0:64 offset1:96
	v_mul_u32_u24_sdwa v68, v61, v45 dst_sel:DWORD dst_unused:UNUSED_PAD src0_sel:WORD_0 src1_sel:DWORD
	s_waitcnt lgkmcnt(3)
	v_pk_fma_f16 v33, v62, v58, v33
	v_pk_fma_f16 v24, v62, v60, v24
	ds_read_b128 v[58:61], v39 offset:48
	s_waitcnt lgkmcnt(3)
	v_mul_u32_u24_sdwa v70, v54, v45 dst_sel:DWORD dst_unused:UNUSED_PAD src0_sel:WORD_0 src1_sel:DWORD
	v_mul_u32_u24_sdwa v54, v54, v45 dst_sel:DWORD dst_unused:UNUSED_PAD src0_sel:WORD_1 src1_sel:DWORD
	v_pk_fma_f16 v33, v63, v68, v33
	v_pk_fma_f16 v24, v63, v69, v24
	ds_read2_b32 v[62:63], v46 offset0:128 offset1:160
	v_mul_u32_u24_sdwa v68, v55, v45 dst_sel:DWORD dst_unused:UNUSED_PAD src0_sel:WORD_0 src1_sel:DWORD
	v_mul_u32_u24_sdwa v55, v55, v45 dst_sel:DWORD dst_unused:UNUSED_PAD src0_sel:WORD_1 src1_sel:DWORD
	s_waitcnt lgkmcnt(3)
	v_pk_fma_f16 v33, v64, v70, v33
	v_pk_fma_f16 v24, v64, v54, v24
	v_mul_u32_u24_sdwa v54, v56, v45 dst_sel:DWORD dst_unused:UNUSED_PAD src0_sel:WORD_0 src1_sel:DWORD
	v_mul_u32_u24_sdwa v56, v56, v45 dst_sel:DWORD dst_unused:UNUSED_PAD src0_sel:WORD_1 src1_sel:DWORD
	v_mul_u32_u24_sdwa v69, v57, v45 dst_sel:DWORD dst_unused:UNUSED_PAD src0_sel:WORD_1 src1_sel:DWORD
	v_pk_fma_f16 v33, v65, v68, v33
	v_pk_fma_f16 v24, v65, v55, v24
	ds_read2_b32 v[64:65], v46 offset0:192 offset1:224
	v_mul_u32_u24_sdwa v68, v57, v45 dst_sel:DWORD dst_unused:UNUSED_PAD src0_sel:WORD_0 src1_sel:DWORD
	s_waitcnt lgkmcnt(3)
	v_pk_fma_f16 v33, v66, v54, v33
	v_pk_fma_f16 v24, v66, v56, v24
	ds_read_b128 v[54:57], v39 offset:64
	s_waitcnt lgkmcnt(3)
	v_mul_u32_u24_sdwa v70, v58, v45 dst_sel:DWORD dst_unused:UNUSED_PAD src0_sel:WORD_0 src1_sel:DWORD
	v_mul_u32_u24_sdwa v58, v58, v45 dst_sel:DWORD dst_unused:UNUSED_PAD src0_sel:WORD_1 src1_sel:DWORD
	v_pk_fma_f16 v33, v67, v68, v33
	v_pk_fma_f16 v24, v67, v69, v24
	ds_read2_b32 v[66:67], v47 offset1:32
	v_mul_u32_u24_sdwa v68, v59, v45 dst_sel:DWORD dst_unused:UNUSED_PAD src0_sel:WORD_0 src1_sel:DWORD
	v_mul_u32_u24_sdwa v59, v59, v45 dst_sel:DWORD dst_unused:UNUSED_PAD src0_sel:WORD_1 src1_sel:DWORD
	s_waitcnt lgkmcnt(3)
	v_pk_fma_f16 v33, v62, v70, v33
	v_pk_fma_f16 v24, v62, v58, v24
	v_mul_u32_u24_sdwa v49, v60, v45 dst_sel:DWORD dst_unused:UNUSED_PAD src0_sel:WORD_0 src1_sel:DWORD
	v_mul_u32_u24_sdwa v58, v60, v45 dst_sel:DWORD dst_unused:UNUSED_PAD src0_sel:WORD_1 src1_sel:DWORD
	v_mul_u32_u24_sdwa v69, v61, v45 dst_sel:DWORD dst_unused:UNUSED_PAD src0_sel:WORD_1 src1_sel:DWORD
	v_pk_fma_f16 v33, v63, v68, v33
	v_pk_fma_f16 v24, v63, v59, v24
	ds_read2_b32 v[62:63], v47 offset0:64 offset1:96
	v_mul_u32_u24_sdwa v68, v61, v45 dst_sel:DWORD dst_unused:UNUSED_PAD src0_sel:WORD_0 src1_sel:DWORD
	s_waitcnt lgkmcnt(3)
	v_pk_fma_f16 v33, v64, v49, v33
	v_pk_fma_f16 v24, v64, v58, v24
	ds_read_b128 v[58:61], v39 offset:80
	s_waitcnt lgkmcnt(3)
	v_mul_u32_u24_sdwa v49, v54, v45 dst_sel:DWORD dst_unused:UNUSED_PAD src0_sel:WORD_0 src1_sel:DWORD
	v_mul_u32_u24_sdwa v54, v54, v45 dst_sel:DWORD dst_unused:UNUSED_PAD src0_sel:WORD_1 src1_sel:DWORD
	v_pk_fma_f16 v33, v65, v68, v33
	v_pk_fma_f16 v24, v65, v69, v24
	ds_read2_b32 v[64:65], v47 offset0:128 offset1:160
	v_mul_u32_u24_sdwa v70, v55, v45 dst_sel:DWORD dst_unused:UNUSED_PAD src0_sel:WORD_0 src1_sel:DWORD
	v_mul_u32_u24_sdwa v55, v55, v45 dst_sel:DWORD dst_unused:UNUSED_PAD src0_sel:WORD_1 src1_sel:DWORD
	s_waitcnt lgkmcnt(3)
	v_pk_fma_f16 v33, v66, v49, v33
	v_pk_fma_f16 v24, v66, v54, v24
	v_mul_u32_u24_sdwa v49, v56, v45 dst_sel:DWORD dst_unused:UNUSED_PAD src0_sel:WORD_0 src1_sel:DWORD
	v_mul_u32_u24_sdwa v54, v56, v45 dst_sel:DWORD dst_unused:UNUSED_PAD src0_sel:WORD_1 src1_sel:DWORD
	ds_read2_b32 v[68:69], v47 offset0:192 offset1:224
	v_pk_fma_f16 v33, v67, v70, v33
	v_pk_fma_f16 v24, v67, v55, v24
	v_mul_u32_u24_sdwa v70, v57, v45 dst_sel:DWORD dst_unused:UNUSED_PAD src0_sel:WORD_0 src1_sel:DWORD
	v_mul_u32_u24_sdwa v71, v57, v45 dst_sel:DWORD dst_unused:UNUSED_PAD src0_sel:WORD_1 src1_sel:DWORD
	ds_read2_b32 v[66:67], v48 offset1:32
	s_waitcnt lgkmcnt(4)
	v_pk_fma_f16 v33, v62, v49, v33
	v_pk_fma_f16 v24, v62, v54, v24
	ds_read_b128 v[54:57], v39 offset:96
	s_waitcnt lgkmcnt(4)
	v_mul_u32_u24_sdwa v49, v58, v45 dst_sel:DWORD dst_unused:UNUSED_PAD src0_sel:WORD_0 src1_sel:DWORD
	v_mul_u32_u24_sdwa v58, v58, v45 dst_sel:DWORD dst_unused:UNUSED_PAD src0_sel:WORD_1 src1_sel:DWORD
	v_pk_fma_f16 v33, v63, v70, v33
	v_pk_fma_f16 v24, v63, v71, v24
	v_mul_u32_u24_sdwa v62, v59, v45 dst_sel:DWORD dst_unused:UNUSED_PAD src0_sel:WORD_0 src1_sel:DWORD
	v_mul_u32_u24_sdwa v63, v59, v45 dst_sel:DWORD dst_unused:UNUSED_PAD src0_sel:WORD_1 src1_sel:DWORD
	ds_read2_b32 v[70:71], v48 offset0:64 offset1:96
	s_waitcnt lgkmcnt(4)
	v_pk_fma_f16 v33, v64, v49, v33
	v_pk_fma_f16 v24, v64, v58, v24
	v_mul_u32_u24_sdwa v49, v60, v45 dst_sel:DWORD dst_unused:UNUSED_PAD src0_sel:WORD_0 src1_sel:DWORD
	v_mul_u32_u24_sdwa v60, v60, v45 dst_sel:DWORD dst_unused:UNUSED_PAD src0_sel:WORD_1 src1_sel:DWORD
	v_mul_u32_u24_sdwa v73, v61, v45 dst_sel:DWORD dst_unused:UNUSED_PAD src0_sel:WORD_0 src1_sel:DWORD
	v_pk_fma_f16 v33, v65, v62, v33
	v_pk_fma_f16 v24, v65, v63, v24
	v_mul_u32_u24_sdwa v74, v61, v45 dst_sel:DWORD dst_unused:UNUSED_PAD src0_sel:WORD_1 src1_sel:DWORD
	ds_read_b128 v[62:65], v39 offset:112
	ds_read2_b32 v[58:59], v48 offset0:128 offset1:160
	s_waitcnt lgkmcnt(5)
	v_pk_fma_f16 v33, v68, v49, v33
	v_pk_fma_f16 v24, v68, v60, v24
	s_waitcnt lgkmcnt(3)
	v_mul_u32_u24_sdwa v49, v54, v45 dst_sel:DWORD dst_unused:UNUSED_PAD src0_sel:WORD_0 src1_sel:DWORD
	v_mul_u32_u24_sdwa v54, v54, v45 dst_sel:DWORD dst_unused:UNUSED_PAD src0_sel:WORD_1 src1_sel:DWORD
	v_mul_u32_u24_sdwa v68, v55, v45 dst_sel:DWORD dst_unused:UNUSED_PAD src0_sel:WORD_0 src1_sel:DWORD
	v_pk_fma_f16 v33, v69, v73, v33
	v_pk_fma_f16 v24, v69, v74, v24
	v_mul_u32_u24_sdwa v55, v55, v45 dst_sel:DWORD dst_unused:UNUSED_PAD src0_sel:WORD_1 src1_sel:DWORD
	ds_read2_b32 v[60:61], v48 offset0:192 offset1:224
	s_waitcnt lgkmcnt(0)
	v_pk_fma_f16 v33, v66, v49, v33
	v_pk_fma_f16 v24, v66, v54, v24
	v_mul_u32_u24_sdwa v49, v56, v45 dst_sel:DWORD dst_unused:UNUSED_PAD src0_sel:WORD_0 src1_sel:DWORD
	v_mul_u32_u24_sdwa v54, v56, v45 dst_sel:DWORD dst_unused:UNUSED_PAD src0_sel:WORD_1 src1_sel:DWORD
	v_mul_u32_u24_sdwa v56, v57, v45 dst_sel:DWORD dst_unused:UNUSED_PAD src0_sel:WORD_1 src1_sel:DWORD
	v_pk_fma_f16 v33, v67, v68, v33
	v_pk_fma_f16 v24, v67, v55, v24
	v_mul_u32_u24_sdwa v55, v57, v45 dst_sel:DWORD dst_unused:UNUSED_PAD src0_sel:WORD_0 src1_sel:DWORD
	s_barrier
	buffer_gl0_inv
	v_pk_fma_f16 v33, v70, v49, v33
	v_pk_fma_f16 v24, v70, v54, v24
	s_load_dword s0, s[8:9], 0x4
	v_mul_u32_u24_sdwa v49, v62, v45 dst_sel:DWORD dst_unused:UNUSED_PAD src0_sel:WORD_0 src1_sel:DWORD
	v_mul_u32_u24_sdwa v54, v62, v45 dst_sel:DWORD dst_unused:UNUSED_PAD src0_sel:WORD_1 src1_sel:DWORD
	v_pk_fma_f16 v33, v71, v55, v33
	v_pk_fma_f16 v24, v71, v56, v24
	v_mul_u32_u24_sdwa v50, v63, v45 dst_sel:DWORD dst_unused:UNUSED_PAD src0_sel:WORD_0 src1_sel:DWORD
	v_mul_u32_u24_sdwa v53, v63, v45 dst_sel:DWORD dst_unused:UNUSED_PAD src0_sel:WORD_1 src1_sel:DWORD
	v_pk_fma_f16 v33, v58, v49, v33
	v_pk_fma_f16 v24, v58, v54, v24
	v_mov_b32_e32 v49, v51
	v_mul_u32_u24_sdwa v51, v64, v45 dst_sel:DWORD dst_unused:UNUSED_PAD src0_sel:WORD_0 src1_sel:DWORD
	v_mul_u32_u24_sdwa v54, v64, v45 dst_sel:DWORD dst_unused:UNUSED_PAD src0_sel:WORD_1 src1_sel:DWORD
	v_pk_fma_f16 v33, v59, v50, v33
	v_pk_fma_f16 v24, v59, v53, v24
	v_fmac_f32_e32 v49, v72, v52
	v_mul_u32_u24_sdwa v50, v65, v45 dst_sel:DWORD dst_unused:UNUSED_PAD src0_sel:WORD_0 src1_sel:DWORD
	v_mul_u32_u24_sdwa v52, v65, v45 dst_sel:DWORD dst_unused:UNUSED_PAD src0_sel:WORD_1 src1_sel:DWORD
	v_pk_fma_f16 v33, v60, v51, v33
	v_pk_fma_f16 v24, v60, v54, v24
	s_waitcnt lgkmcnt(0)
	s_lshl_b32 s0, s0, 5
	s_add_i32 s14, s0, s14
	v_pk_fma_f16 v33, v61, v50, v33
	v_pk_fma_f16 v24, v61, v52, v24
	s_cmp_ge_i32 s14, s34
	s_cbranch_scc0 .LBB46_9
; %bb.10:
	v_mov_b32_e32 v4, v23
.LBB46_11:
	v_lshlrev_b32_e32 v7, 1, v0
	v_cmp_lt_i32_e32 vcc_lo, v31, v25
	s_cmp_lg_u64 s[16:17], 0
	s_cselect_b32 s0, -1, 0
	s_cmp_eq_u32 s28, 0
	v_cndmask_b32_e32 v3, v4, v31, vcc_lo
	v_cmp_lt_i32_e32 vcc_lo, v29, v25
	s_cselect_b32 s1, -1, 0
	s_and_b32 s0, s1, s0
	v_lshlrev_b32_e32 v3, 2, v3
	v_cndmask_b32_e32 v6, v4, v29, vcc_lo
	v_cmp_lt_i32_e32 vcc_lo, v28, v25
	ds_bpermute_b32 v5, v3, v1
	ds_bpermute_b32 v3, v3, v49
	v_lshlrev_b32_e32 v6, 2, v6
	v_cndmask_b32_e32 v8, v4, v28, vcc_lo
	v_cmp_lt_i32_e32 vcc_lo, v27, v25
	v_lshlrev_b32_e32 v8, 2, v8
	s_waitcnt lgkmcnt(1)
	v_add_f32_e32 v1, v1, v5
	s_waitcnt lgkmcnt(0)
	v_add_f32_e32 v3, v49, v3
	ds_bpermute_b32 v5, v6, v1
	ds_bpermute_b32 v6, v6, v3
	s_waitcnt lgkmcnt(1)
	v_add_f32_e32 v1, v1, v5
	s_waitcnt lgkmcnt(0)
	v_add_f32_e32 v3, v3, v6
	ds_bpermute_b32 v5, v8, v1
	ds_bpermute_b32 v6, v8, v3
	v_cndmask_b32_e32 v8, v4, v27, vcc_lo
	v_cmp_lt_i32_e32 vcc_lo, v26, v25
	v_lshlrev_b32_e32 v8, 2, v8
	v_cndmask_b32_e32 v4, v4, v26, vcc_lo
	s_and_b32 vcc_lo, exec_lo, s0
	v_lshlrev_b32_e32 v4, 2, v4
	s_waitcnt lgkmcnt(1)
	v_add_f32_e32 v1, v1, v5
	s_waitcnt lgkmcnt(0)
	v_add_f32_e32 v3, v3, v6
	ds_bpermute_b32 v5, v8, v1
	ds_bpermute_b32 v6, v8, v3
	s_waitcnt lgkmcnt(1)
	v_add_f32_e32 v1, v1, v5
	s_waitcnt lgkmcnt(0)
	v_add_f32_e32 v5, v3, v6
	ds_bpermute_b32 v3, v4, v1
	ds_bpermute_b32 v4, v4, v5
	s_waitcnt lgkmcnt(1)
	v_add_f32_e32 v3, v1, v3
	s_waitcnt lgkmcnt(0)
	v_add_f32_e32 v4, v5, v4
	s_cbranch_vccz .LBB46_13
; %bb.12:
	s_ashr_i32 s31, s30, 31
	v_mov_b32_e32 v1, 0
	s_lshl_b64 s[0:1], s[30:31], 2
	v_max_f32_e32 v9, v21, v21
	s_add_u32 s0, s16, s0
	s_addc_u32 s1, s17, s1
	global_load_dwordx2 v[5:6], v1, s[0:1]
	v_max_f32_e32 v1, v20, v20
	s_waitcnt vmcnt(0)
	v_max_f32_e32 v8, v5, v5
	v_max_f32_e32 v10, v6, v6
	;; [unrolled: 1-line block ×4, first 2 shown]
	v_sub_f32_e32 v1, v20, v8
	v_sub_f32_e32 v10, v21, v9
	;; [unrolled: 1-line block ×4, first 2 shown]
	v_mul_f32_e32 v11, 0x3fb8aa3b, v1
	v_mul_f32_e32 v13, 0x3fb8aa3b, v10
	;; [unrolled: 1-line block ×4, first 2 shown]
	v_cmp_ngt_f32_e32 vcc_lo, 0xc2ce8ed0, v1
	v_fma_f32 v15, 0x3fb8aa3b, v1, -v11
	v_rndne_f32_e32 v16, v11
	v_fma_f32 v19, 0x3fb8aa3b, v10, -v13
	v_rndne_f32_e32 v20, v13
	v_fma_f32 v17, 0x3fb8aa3b, v5, -v12
	v_fmac_f32_e32 v15, 0x32a5705f, v1
	v_sub_f32_e32 v11, v11, v16
	v_rndne_f32_e32 v18, v12
	v_fmac_f32_e32 v19, 0x32a5705f, v10
	v_sub_f32_e32 v13, v13, v20
	v_fmac_f32_e32 v17, 0x32a5705f, v5
	v_add_f32_e32 v11, v11, v15
	v_sub_f32_e32 v12, v12, v18
	v_cvt_i32_f32_e32 v15, v16
	v_add_f32_e32 v13, v13, v19
	v_fma_f32 v21, 0x3fb8aa3b, v6, -v14
	v_exp_f32_e32 v11, v11
	v_add_f32_e32 v12, v12, v17
	v_rndne_f32_e32 v22, v14
	v_exp_f32_e32 v13, v13
	v_cvt_i32_f32_e32 v17, v20
	v_fmac_f32_e32 v21, 0x32a5705f, v6
	v_exp_f32_e32 v12, v12
	v_sub_f32_e32 v14, v14, v22
	v_cvt_i32_f32_e32 v16, v18
	v_cvt_i32_f32_e32 v18, v22
	v_ldexp_f32 v11, v11, v15
	v_mov_b32_e32 v19, 0x10001
	v_add_f32_e32 v14, v14, v21
	v_ldexp_f32 v13, v13, v17
	v_mov_b32_e32 v21, v9
	v_cndmask_b32_e32 v11, 0, v11, vcc_lo
	v_cmp_ngt_f32_e32 vcc_lo, 0xc2ce8ed0, v10
	v_ldexp_f32 v12, v12, v16
	v_exp_f32_e32 v14, v14
	v_mov_b32_e32 v20, v8
	v_cndmask_b32_e32 v13, 0, v13, vcc_lo
	v_cmp_ngt_f32_e32 vcc_lo, 0xc2ce8ed0, v5
	v_cndmask_b32_e32 v12, 0, v12, vcc_lo
	v_cmp_nlt_f32_e32 vcc_lo, 0x42b17218, v1
	v_ldexp_f32 v14, v14, v18
	v_cndmask_b32_e32 v1, 0x7f800000, v11, vcc_lo
	v_cmp_nlt_f32_e32 vcc_lo, 0x42b17218, v10
	v_cndmask_b32_e32 v10, 0x7f800000, v13, vcc_lo
	v_cmp_ngt_f32_e32 vcc_lo, 0xc2ce8ed0, v6
	v_cvt_f16_f32_e32 v13, v10
	v_cndmask_b32_e32 v11, 0, v14, vcc_lo
	v_cmp_nlt_f32_e32 vcc_lo, 0x42b17218, v5
	v_cndmask_b32_e32 v5, 0x7f800000, v12, vcc_lo
	v_cmp_nlt_f32_e32 vcc_lo, 0x42b17218, v6
	v_cvt_f16_f32_e32 v12, v1
	v_fmac_f32_e32 v5, v3, v1
	v_cndmask_b32_e32 v6, 0x7f800000, v11, vcc_lo
	v_mul_u32_u24_sdwa v1, v12, v19 dst_sel:DWORD dst_unused:UNUSED_PAD src0_sel:WORD_0 src1_sel:DWORD
	v_mul_u32_u24_sdwa v11, v13, v19 dst_sel:DWORD dst_unused:UNUSED_PAD src0_sel:WORD_0 src1_sel:DWORD
	v_mov_b32_e32 v3, v5
	v_fmac_f32_e32 v6, v4, v10
	v_pk_mul_f16 v33, v33, v1
	v_pk_mul_f16 v24, v24, v11
	v_mov_b32_e32 v4, v6
	s_mov_b32 s0, exec_lo
	v_cmpx_gt_i32_e64 s26, v2
	s_cbranch_execnz .LBB46_14
	s_branch .LBB46_22
.LBB46_13:
	v_mov_b32_e32 v6, v4
	v_mov_b32_e32 v5, v3
	s_mov_b32 s0, exec_lo
	v_cmpx_gt_i32_e64 s26, v2
	s_cbranch_execz .LBB46_22
.LBB46_14:
	s_load_dword s1, s[4:5], 0xd4
	v_mov_b32_e32 v8, 1.0
	s_waitcnt lgkmcnt(0)
	s_cmp_lg_u32 s1, 1
	s_cselect_b32 s3, -1, 0
	s_cmp_eq_u32 s1, 1
	s_cselect_b32 s2, -1, 0
	s_and_b32 vcc_lo, exec_lo, s3
	s_cbranch_vccnz .LBB46_16
; %bb.15:
	v_div_scale_f32 v1, null, v3, v3, 1.0
	v_rcp_f32_e32 v8, v1
	v_fma_f32 v9, -v1, v8, 1.0
	v_fmac_f32_e32 v8, v9, v8
	v_div_scale_f32 v9, vcc_lo, 1.0, v3, 1.0
	v_mul_f32_e32 v10, v9, v8
	v_fma_f32 v11, -v1, v10, v9
	v_fmac_f32_e32 v10, v11, v8
	v_fma_f32 v1, -v1, v10, v9
	v_div_fmas_f32 v1, v1, v8, v10
	v_div_fixup_f32 v8, v1, v3, 1.0
.LBB46_16:
	v_mad_u64_u32 v[1:2], null, s29, s26, v[2:3]
	v_mov_b32_e32 v3, 0
	v_cvt_f32_f16_e32 v9, v33
	v_cvt_f32_f16_sdwa v10, v33 dst_sel:DWORD dst_unused:UNUSED_PAD src0_sel:WORD_1
	v_cmp_eq_u32_e32 vcc_lo, 0, v0
	v_mul_f32_e32 v9, v8, v9
	v_mad_u64_u32 v[1:2], null, v1, s27, s[30:31]
	v_mul_f32_e32 v10, v8, v10
	v_mad_u64_u32 v[1:2], null, s1, v1, s[28:29]
	v_lshl_add_u32 v2, v1, 6, v7
	v_lshlrev_b64 v[2:3], 2, v[2:3]
	v_add_co_u32 v2, s0, s20, v2
	v_add_co_ci_u32_e64 v3, null, s21, v3, s0
	s_and_b32 s0, vcc_lo, s3
	global_store_dwordx2 v[2:3], v[9:10], off
	s_and_saveexec_b32 s3, s0
	s_cbranch_execz .LBB46_18
; %bb.17:
	v_ashrrev_i32_e32 v2, 31, v1
	v_mov_b32_e32 v8, v20
	v_mov_b32_e32 v9, v5
	v_lshlrev_b64 v[2:3], 3, v[1:2]
	v_add_co_u32 v2, vcc_lo, s22, v2
	v_add_co_ci_u32_e64 v3, null, s23, v3, vcc_lo
	global_store_dwordx2 v[2:3], v[8:9], off
.LBB46_18:
	s_or_b32 exec_lo, exec_lo, s3
	v_mov_b32_e32 v2, 1.0
	s_andn2_b32 vcc_lo, exec_lo, s2
	s_cbranch_vccnz .LBB46_20
; %bb.19:
	v_div_scale_f32 v0, null, v4, v4, 1.0
	v_rcp_f32_e32 v2, v0
	v_fma_f32 v3, -v0, v2, 1.0
	v_fmac_f32_e32 v2, v3, v2
	v_div_scale_f32 v3, vcc_lo, 1.0, v4, 1.0
	v_mul_f32_e32 v5, v3, v2
	v_fma_f32 v8, -v0, v5, v3
	v_fmac_f32_e32 v5, v8, v2
	v_fma_f32 v0, -v0, v5, v3
	v_div_fmas_f32 v0, v0, v2, v5
	v_div_fixup_f32 v2, v0, v4, 1.0
.LBB46_20:
	v_add_nc_u32_e32 v0, s1, v1
	v_mov_b32_e32 v4, 0
	v_cvt_f32_f16_e32 v1, v24
	v_cvt_f32_f16_sdwa v5, v24 dst_sel:DWORD dst_unused:UNUSED_PAD src0_sel:WORD_1
	v_lshl_add_u32 v3, v0, 6, v7
	v_mul_f32_e32 v1, v2, v1
	v_mul_f32_e32 v2, v2, v5
	v_lshlrev_b64 v[3:4], 2, v[3:4]
	v_add_co_u32 v3, vcc_lo, s20, v3
	v_add_co_ci_u32_e64 v4, null, s21, v4, vcc_lo
	global_store_dwordx2 v[3:4], v[1:2], off
	s_and_b32 exec_lo, exec_lo, s0
	s_cbranch_execz .LBB46_22
; %bb.21:
	v_ashrrev_i32_e32 v1, 31, v0
	v_mov_b32_e32 v5, v21
	v_lshlrev_b64 v[0:1], 3, v[0:1]
	v_add_co_u32 v0, vcc_lo, s22, v0
	v_add_co_ci_u32_e64 v1, null, s23, v1, vcc_lo
	global_store_dwordx2 v[0:1], v[5:6], off
	s_endpgm
.LBB46_22:
	s_endpgm
	.section	.rodata,"a",@progbits
	.p2align	6, 0x0
	.amdhsa_kernel _ZL15flash_attn_tileILi64ELi64ELi2ELi2ELb0EEvPKcS1_S1_S1_S1_PKiPfP15HIP_vector_typeIfLj2EEffffjfiS5_IjLj3EEiiiiiiiiiiiliiliiiiil
		.amdhsa_group_segment_fixed_size 5376
		.amdhsa_private_segment_fixed_size 0
		.amdhsa_kernarg_size 464
		.amdhsa_user_sgpr_count 6
		.amdhsa_user_sgpr_private_segment_buffer 1
		.amdhsa_user_sgpr_dispatch_ptr 0
		.amdhsa_user_sgpr_queue_ptr 0
		.amdhsa_user_sgpr_kernarg_segment_ptr 1
		.amdhsa_user_sgpr_dispatch_id 0
		.amdhsa_user_sgpr_flat_scratch_init 0
		.amdhsa_user_sgpr_private_segment_size 0
		.amdhsa_wavefront_size32 1
		.amdhsa_uses_dynamic_stack 0
		.amdhsa_system_sgpr_private_segment_wavefront_offset 0
		.amdhsa_system_sgpr_workgroup_id_x 1
		.amdhsa_system_sgpr_workgroup_id_y 1
		.amdhsa_system_sgpr_workgroup_id_z 1
		.amdhsa_system_sgpr_workgroup_info 0
		.amdhsa_system_vgpr_workitem_id 1
		.amdhsa_next_free_vgpr 79
		.amdhsa_next_free_sgpr 40
		.amdhsa_reserve_vcc 1
		.amdhsa_reserve_flat_scratch 0
		.amdhsa_float_round_mode_32 0
		.amdhsa_float_round_mode_16_64 0
		.amdhsa_float_denorm_mode_32 3
		.amdhsa_float_denorm_mode_16_64 3
		.amdhsa_dx10_clamp 1
		.amdhsa_ieee_mode 1
		.amdhsa_fp16_overflow 0
		.amdhsa_workgroup_processor_mode 1
		.amdhsa_memory_ordered 1
		.amdhsa_forward_progress 1
		.amdhsa_shared_vgpr_count 0
		.amdhsa_exception_fp_ieee_invalid_op 0
		.amdhsa_exception_fp_denorm_src 0
		.amdhsa_exception_fp_ieee_div_zero 0
		.amdhsa_exception_fp_ieee_overflow 0
		.amdhsa_exception_fp_ieee_underflow 0
		.amdhsa_exception_fp_ieee_inexact 0
		.amdhsa_exception_int_div_zero 0
	.end_amdhsa_kernel
	.section	.text._ZL15flash_attn_tileILi64ELi64ELi2ELi2ELb0EEvPKcS1_S1_S1_S1_PKiPfP15HIP_vector_typeIfLj2EEffffjfiS5_IjLj3EEiiiiiiiiiiiliiliiiiil,"axG",@progbits,_ZL15flash_attn_tileILi64ELi64ELi2ELi2ELb0EEvPKcS1_S1_S1_S1_PKiPfP15HIP_vector_typeIfLj2EEffffjfiS5_IjLj3EEiiiiiiiiiiiliiliiiiil,comdat
.Lfunc_end46:
	.size	_ZL15flash_attn_tileILi64ELi64ELi2ELi2ELb0EEvPKcS1_S1_S1_S1_PKiPfP15HIP_vector_typeIfLj2EEffffjfiS5_IjLj3EEiiiiiiiiiiiliiliiiiil, .Lfunc_end46-_ZL15flash_attn_tileILi64ELi64ELi2ELi2ELb0EEvPKcS1_S1_S1_S1_PKiPfP15HIP_vector_typeIfLj2EEffffjfiS5_IjLj3EEiiiiiiiiiiiliiliiiiil
                                        ; -- End function
	.set _ZL15flash_attn_tileILi64ELi64ELi2ELi2ELb0EEvPKcS1_S1_S1_S1_PKiPfP15HIP_vector_typeIfLj2EEffffjfiS5_IjLj3EEiiiiiiiiiiiliiliiiiil.num_vgpr, 79
	.set _ZL15flash_attn_tileILi64ELi64ELi2ELi2ELb0EEvPKcS1_S1_S1_S1_PKiPfP15HIP_vector_typeIfLj2EEffffjfiS5_IjLj3EEiiiiiiiiiiiliiliiiiil.num_agpr, 0
	.set _ZL15flash_attn_tileILi64ELi64ELi2ELi2ELb0EEvPKcS1_S1_S1_S1_PKiPfP15HIP_vector_typeIfLj2EEffffjfiS5_IjLj3EEiiiiiiiiiiiliiliiiiil.numbered_sgpr, 40
	.set _ZL15flash_attn_tileILi64ELi64ELi2ELi2ELb0EEvPKcS1_S1_S1_S1_PKiPfP15HIP_vector_typeIfLj2EEffffjfiS5_IjLj3EEiiiiiiiiiiiliiliiiiil.num_named_barrier, 0
	.set _ZL15flash_attn_tileILi64ELi64ELi2ELi2ELb0EEvPKcS1_S1_S1_S1_PKiPfP15HIP_vector_typeIfLj2EEffffjfiS5_IjLj3EEiiiiiiiiiiiliiliiiiil.private_seg_size, 0
	.set _ZL15flash_attn_tileILi64ELi64ELi2ELi2ELb0EEvPKcS1_S1_S1_S1_PKiPfP15HIP_vector_typeIfLj2EEffffjfiS5_IjLj3EEiiiiiiiiiiiliiliiiiil.uses_vcc, 1
	.set _ZL15flash_attn_tileILi64ELi64ELi2ELi2ELb0EEvPKcS1_S1_S1_S1_PKiPfP15HIP_vector_typeIfLj2EEffffjfiS5_IjLj3EEiiiiiiiiiiiliiliiiiil.uses_flat_scratch, 0
	.set _ZL15flash_attn_tileILi64ELi64ELi2ELi2ELb0EEvPKcS1_S1_S1_S1_PKiPfP15HIP_vector_typeIfLj2EEffffjfiS5_IjLj3EEiiiiiiiiiiiliiliiiiil.has_dyn_sized_stack, 0
	.set _ZL15flash_attn_tileILi64ELi64ELi2ELi2ELb0EEvPKcS1_S1_S1_S1_PKiPfP15HIP_vector_typeIfLj2EEffffjfiS5_IjLj3EEiiiiiiiiiiiliiliiiiil.has_recursion, 0
	.set _ZL15flash_attn_tileILi64ELi64ELi2ELi2ELb0EEvPKcS1_S1_S1_S1_PKiPfP15HIP_vector_typeIfLj2EEffffjfiS5_IjLj3EEiiiiiiiiiiiliiliiiiil.has_indirect_call, 0
	.section	.AMDGPU.csdata,"",@progbits
; Kernel info:
; codeLenInByte = 6984
; TotalNumSgprs: 42
; NumVgprs: 79
; ScratchSize: 0
; MemoryBound: 0
; FloatMode: 240
; IeeeMode: 1
; LDSByteSize: 5376 bytes/workgroup (compile time only)
; SGPRBlocks: 0
; VGPRBlocks: 9
; NumSGPRsForWavesPerEU: 42
; NumVGPRsForWavesPerEU: 79
; Occupancy: 12
; WaveLimiterHint : 1
; COMPUTE_PGM_RSRC2:SCRATCH_EN: 0
; COMPUTE_PGM_RSRC2:USER_SGPR: 6
; COMPUTE_PGM_RSRC2:TRAP_HANDLER: 0
; COMPUTE_PGM_RSRC2:TGID_X_EN: 1
; COMPUTE_PGM_RSRC2:TGID_Y_EN: 1
; COMPUTE_PGM_RSRC2:TGID_Z_EN: 1
; COMPUTE_PGM_RSRC2:TIDIG_COMP_CNT: 1
	.section	.text._ZL33flash_attn_stream_k_fixup_uniformILi64ELi2ELi2EEvPfPK15HIP_vector_typeIfLj2EEiiiiiiS1_IjLj3EES5_S5_,"axG",@progbits,_ZL33flash_attn_stream_k_fixup_uniformILi64ELi2ELi2EEvPfPK15HIP_vector_typeIfLj2EEiiiiiiS1_IjLj3EES5_S5_,comdat
	.globl	_ZL33flash_attn_stream_k_fixup_uniformILi64ELi2ELi2EEvPfPK15HIP_vector_typeIfLj2EEiiiiiiS1_IjLj3EES5_S5_ ; -- Begin function _ZL33flash_attn_stream_k_fixup_uniformILi64ELi2ELi2EEvPfPK15HIP_vector_typeIfLj2EEiiiiiiS1_IjLj3EES5_S5_
	.p2align	8
	.type	_ZL33flash_attn_stream_k_fixup_uniformILi64ELi2ELi2EEvPfPK15HIP_vector_typeIfLj2EEiiiiiiS1_IjLj3EES5_S5_,@function
_ZL33flash_attn_stream_k_fixup_uniformILi64ELi2ELi2EEvPfPK15HIP_vector_typeIfLj2EEiiiiiiS1_IjLj3EES5_S5_: ; @_ZL33flash_attn_stream_k_fixup_uniformILi64ELi2ELi2EEvPfPK15HIP_vector_typeIfLj2EEiiiiiiS1_IjLj3EES5_S5_
; %bb.0:
	s_clause 0x2
	s_load_dwordx8 s[12:19], s[4:5], 0x1c
	s_load_dwordx4 s[20:23], s[4:5], 0x3c
	s_load_dwordx2 s[10:11], s[4:5], 0x10
	s_waitcnt lgkmcnt(0)
	s_mul_hi_u32 s0, s15, s6
	s_add_i32 s0, s6, s0
	s_lshr_b32 s0, s0, s16
	s_mul_i32 s1, s0, s17
	s_sub_i32 s2, s6, s1
	s_mul_hi_u32 s1, s2, s18
	s_add_i32 s1, s2, s1
	s_lshr_b32 s1, s1, s19
	s_mul_i32 s3, s1, s20
	s_sub_i32 s2, s2, s3
	s_mul_hi_u32 s3, s2, s21
	s_add_i32 s3, s2, s3
	s_lshr_b32 s3, s3, s22
	s_mul_i32 s9, s3, s23
	s_lshl_b32 s15, s3, 1
	s_sub_i32 s9, s2, s9
	s_lshl_b32 s2, s9, 1
	s_add_i32 s2, s2, s7
	s_cmp_lt_i32 s2, s10
	s_cselect_b32 s2, -1, 0
	s_add_i32 s3, s15, s8
	s_cmp_lt_i32 s3, s13
	s_cselect_b32 s3, -1, 0
	s_and_b32 s2, s2, s3
	s_andn2_b32 vcc_lo, exec_lo, s2
	s_cbranch_vccnz .LBB47_6
; %bb.1:
	s_mul_i32 s0, s0, s10
	s_mul_i32 s10, s1, s13
	s_add_i32 s0, s0, s7
	s_mul_i32 s0, s0, s11
	s_add_i32 s13, s0, s8
	s_load_dwordx4 s[0:3], s[4:5], 0x0
	s_add_i32 s4, s13, s10
	s_mul_i32 s5, s11, s9
	s_add_i32 s4, s4, s15
	s_lshl_b32 s5, s5, 7
	s_lshl_b32 s4, s4, 6
	;; [unrolled: 1-line block ×3, first 2 shown]
	s_add_i32 s5, s5, s4
	s_mul_i32 s4, s14, s6
	v_or_b32_e32 v1, s5, v0
	s_add_i32 s11, s4, s14
	v_ashrrev_i32_e32 v2, 31, v1
	v_lshlrev_b64 v[1:2], 2, v[1:2]
	s_waitcnt lgkmcnt(0)
	v_add_co_u32 v1, vcc_lo, s0, v1
	v_add_co_ci_u32_e64 v2, null, s1, v2, vcc_lo
	s_add_i32 s0, s10, s8
	s_lshl_b32 s1, s11, 2
	s_add_i32 s0, s0, s1
	global_load_dword v5, v[1:2], off
	s_add_i32 s0, s0, -4
	s_ashr_i32 s1, s0, 31
	s_lshl_b64 s[0:1], s[0:1], 3
	s_add_u32 s0, s2, s0
	s_addc_u32 s1, s3, s1
	s_add_i32 s5, s11, -2
	s_load_dword s13, s[0:1], 0x4
	s_cmp_lt_i32 s5, s4
	s_cbranch_scc1 .LBB47_4
; %bb.2:
	s_lshl_b32 s16, s12, 4
	s_load_dword s15, s[0:1], 0x0
	s_ashr_i32 s17, s16, 31
	s_waitcnt lgkmcnt(0)
	v_mov_b32_e32 v6, s13
	s_lshl_b64 s[0:1], s[16:17], 2
	s_add_u32 s5, s2, s0
	s_addc_u32 s9, s3, s1
	s_add_i32 s6, s6, 1
	s_lshl_b32 s0, s7, 7
	s_lshl_b32 s1, s8, 6
	s_mul_i32 s6, s14, s6
	s_add_i32 s0, s1, s0
	s_lshl_b32 s1, s6, 8
	s_add_i32 s0, s0, s1
	s_lshl_b32 s1, s6, 2
	v_or_b32_e32 v0, s0, v0
	s_lshl_b32 s0, s12, 2
	s_add_i32 s1, s8, s1
	s_add_i32 s6, s11, -1
	s_add_i32 s0, s1, s0
	v_add_nc_u32_e32 v3, 0xfffffe00, v0
	v_mov_b32_e32 v0, s15
	s_add_i32 s0, s0, s10
	s_add_i32 s0, s0, -8
.LBB47_3:                               ; =>This Inner Loop Header: Depth=1
	v_ashrrev_i32_e32 v4, 31, v3
	s_ashr_i32 s1, s0, 31
	s_lshl_b64 s[10:11], s[0:1], 3
	s_add_u32 s10, s2, s10
	v_lshlrev_b64 v[7:8], 2, v[3:4]
	s_addc_u32 s11, s3, s11
	v_add_nc_u32_e32 v3, 0xffffff00, v3
	s_add_i32 s6, s6, -1
	s_add_i32 s0, s0, -4
	s_cmp_le_i32 s6, s4
	v_add_co_u32 v7, vcc_lo, s5, v7
	v_add_co_ci_u32_e64 v8, null, s9, v8, vcc_lo
	s_load_dwordx2 s[10:11], s[10:11], 0x0
	global_load_dword v4, v[7:8], off
	v_max_f32_e32 v7, v0, v0
	s_waitcnt lgkmcnt(0)
	v_max_f32_e64 v8, s10, s10
	v_max_f32_e32 v7, v7, v8
	v_sub_f32_e32 v8, s10, v7
	v_sub_f32_e32 v0, v0, v7
	v_mul_f32_e32 v9, 0x3fb8aa3b, v8
	v_mul_f32_e32 v12, 0x3fb8aa3b, v0
	v_cmp_ngt_f32_e32 vcc_lo, 0xc2ce8ed0, v8
	v_fma_f32 v10, 0x3fb8aa3b, v8, -v9
	v_rndne_f32_e32 v11, v9
	v_fma_f32 v13, 0x3fb8aa3b, v0, -v12
	v_rndne_f32_e32 v14, v12
	v_fmac_f32_e32 v10, 0x32a5705f, v8
	v_sub_f32_e32 v9, v9, v11
	v_fmac_f32_e32 v13, 0x32a5705f, v0
	v_cvt_i32_f32_e32 v11, v11
	v_add_f32_e32 v9, v9, v10
	v_sub_f32_e32 v10, v12, v14
	v_exp_f32_e32 v9, v9
	v_add_f32_e32 v10, v10, v13
	v_exp_f32_e32 v10, v10
	v_ldexp_f32 v9, v9, v11
	v_cvt_i32_f32_e32 v11, v14
	v_cndmask_b32_e32 v9, 0, v9, vcc_lo
	v_cmp_nlt_f32_e32 vcc_lo, 0x42b17218, v8
	v_ldexp_f32 v10, v10, v11
	v_mov_b32_e32 v11, v6
	v_cndmask_b32_e32 v9, 0x7f800000, v9, vcc_lo
	v_cmp_ngt_f32_e32 vcc_lo, 0xc2ce8ed0, v0
	v_cndmask_b32_e32 v10, 0, v10, vcc_lo
	v_cmp_le_f32_e32 vcc_lo, 0xc1a00000, v8
	v_cndmask_b32_e32 v8, 0, v9, vcc_lo
	v_cmp_nlt_f32_e32 vcc_lo, 0x42b17218, v0
	s_waitcnt vmcnt(1)
	v_mov_b32_e32 v9, v5
	v_cndmask_b32_e32 v5, 0x7f800000, v10, vcc_lo
	v_mul_f32_e32 v10, s11, v8
	v_cmp_le_f32_e32 vcc_lo, 0xc1a00000, v0
	v_mov_b32_e32 v0, v7
	v_mov_b32_e32 v6, v10
	v_cndmask_b32_e32 v12, 0, v5, vcc_lo
	v_fmac_f32_e32 v6, v11, v12
	s_waitcnt vmcnt(0)
	v_mul_f32_e32 v5, v4, v8
	v_fmac_f32_e32 v5, v9, v12
	s_cbranch_scc0 .LBB47_3
	s_branch .LBB47_5
.LBB47_4:
	s_waitcnt lgkmcnt(0)
	v_mov_b32_e32 v6, s13
.LBB47_5:
	s_waitcnt vmcnt(0)
	v_div_scale_f32 v0, null, v6, v6, v5
	v_rcp_f32_e32 v3, v0
	v_fma_f32 v4, -v0, v3, 1.0
	v_fmac_f32_e32 v3, v4, v3
	v_div_scale_f32 v4, vcc_lo, v5, v6, v5
	v_mul_f32_e32 v7, v4, v3
	v_fma_f32 v8, -v0, v7, v4
	v_fmac_f32_e32 v7, v8, v3
	v_fma_f32 v0, -v0, v7, v4
	v_div_fmas_f32 v0, v0, v3, v7
	v_div_fixup_f32 v0, v0, v6, v5
	global_store_dword v[1:2], v0, off
.LBB47_6:
	s_endpgm
	.section	.rodata,"a",@progbits
	.p2align	6, 0x0
	.amdhsa_kernel _ZL33flash_attn_stream_k_fixup_uniformILi64ELi2ELi2EEvPfPK15HIP_vector_typeIfLj2EEiiiiiiS1_IjLj3EES5_S5_
		.amdhsa_group_segment_fixed_size 0
		.amdhsa_private_segment_fixed_size 0
		.amdhsa_kernarg_size 76
		.amdhsa_user_sgpr_count 6
		.amdhsa_user_sgpr_private_segment_buffer 1
		.amdhsa_user_sgpr_dispatch_ptr 0
		.amdhsa_user_sgpr_queue_ptr 0
		.amdhsa_user_sgpr_kernarg_segment_ptr 1
		.amdhsa_user_sgpr_dispatch_id 0
		.amdhsa_user_sgpr_flat_scratch_init 0
		.amdhsa_user_sgpr_private_segment_size 0
		.amdhsa_wavefront_size32 1
		.amdhsa_uses_dynamic_stack 0
		.amdhsa_system_sgpr_private_segment_wavefront_offset 0
		.amdhsa_system_sgpr_workgroup_id_x 1
		.amdhsa_system_sgpr_workgroup_id_y 1
		.amdhsa_system_sgpr_workgroup_id_z 1
		.amdhsa_system_sgpr_workgroup_info 0
		.amdhsa_system_vgpr_workitem_id 0
		.amdhsa_next_free_vgpr 15
		.amdhsa_next_free_sgpr 24
		.amdhsa_reserve_vcc 1
		.amdhsa_reserve_flat_scratch 0
		.amdhsa_float_round_mode_32 0
		.amdhsa_float_round_mode_16_64 0
		.amdhsa_float_denorm_mode_32 3
		.amdhsa_float_denorm_mode_16_64 3
		.amdhsa_dx10_clamp 1
		.amdhsa_ieee_mode 1
		.amdhsa_fp16_overflow 0
		.amdhsa_workgroup_processor_mode 1
		.amdhsa_memory_ordered 1
		.amdhsa_forward_progress 1
		.amdhsa_shared_vgpr_count 0
		.amdhsa_exception_fp_ieee_invalid_op 0
		.amdhsa_exception_fp_denorm_src 0
		.amdhsa_exception_fp_ieee_div_zero 0
		.amdhsa_exception_fp_ieee_overflow 0
		.amdhsa_exception_fp_ieee_underflow 0
		.amdhsa_exception_fp_ieee_inexact 0
		.amdhsa_exception_int_div_zero 0
	.end_amdhsa_kernel
	.section	.text._ZL33flash_attn_stream_k_fixup_uniformILi64ELi2ELi2EEvPfPK15HIP_vector_typeIfLj2EEiiiiiiS1_IjLj3EES5_S5_,"axG",@progbits,_ZL33flash_attn_stream_k_fixup_uniformILi64ELi2ELi2EEvPfPK15HIP_vector_typeIfLj2EEiiiiiiS1_IjLj3EES5_S5_,comdat
.Lfunc_end47:
	.size	_ZL33flash_attn_stream_k_fixup_uniformILi64ELi2ELi2EEvPfPK15HIP_vector_typeIfLj2EEiiiiiiS1_IjLj3EES5_S5_, .Lfunc_end47-_ZL33flash_attn_stream_k_fixup_uniformILi64ELi2ELi2EEvPfPK15HIP_vector_typeIfLj2EEiiiiiiS1_IjLj3EES5_S5_
                                        ; -- End function
	.set _ZL33flash_attn_stream_k_fixup_uniformILi64ELi2ELi2EEvPfPK15HIP_vector_typeIfLj2EEiiiiiiS1_IjLj3EES5_S5_.num_vgpr, 15
	.set _ZL33flash_attn_stream_k_fixup_uniformILi64ELi2ELi2EEvPfPK15HIP_vector_typeIfLj2EEiiiiiiS1_IjLj3EES5_S5_.num_agpr, 0
	.set _ZL33flash_attn_stream_k_fixup_uniformILi64ELi2ELi2EEvPfPK15HIP_vector_typeIfLj2EEiiiiiiS1_IjLj3EES5_S5_.numbered_sgpr, 24
	.set _ZL33flash_attn_stream_k_fixup_uniformILi64ELi2ELi2EEvPfPK15HIP_vector_typeIfLj2EEiiiiiiS1_IjLj3EES5_S5_.num_named_barrier, 0
	.set _ZL33flash_attn_stream_k_fixup_uniformILi64ELi2ELi2EEvPfPK15HIP_vector_typeIfLj2EEiiiiiiS1_IjLj3EES5_S5_.private_seg_size, 0
	.set _ZL33flash_attn_stream_k_fixup_uniformILi64ELi2ELi2EEvPfPK15HIP_vector_typeIfLj2EEiiiiiiS1_IjLj3EES5_S5_.uses_vcc, 1
	.set _ZL33flash_attn_stream_k_fixup_uniformILi64ELi2ELi2EEvPfPK15HIP_vector_typeIfLj2EEiiiiiiS1_IjLj3EES5_S5_.uses_flat_scratch, 0
	.set _ZL33flash_attn_stream_k_fixup_uniformILi64ELi2ELi2EEvPfPK15HIP_vector_typeIfLj2EEiiiiiiS1_IjLj3EES5_S5_.has_dyn_sized_stack, 0
	.set _ZL33flash_attn_stream_k_fixup_uniformILi64ELi2ELi2EEvPfPK15HIP_vector_typeIfLj2EEiiiiiiS1_IjLj3EES5_S5_.has_recursion, 0
	.set _ZL33flash_attn_stream_k_fixup_uniformILi64ELi2ELi2EEvPfPK15HIP_vector_typeIfLj2EEiiiiiiS1_IjLj3EES5_S5_.has_indirect_call, 0
	.section	.AMDGPU.csdata,"",@progbits
; Kernel info:
; codeLenInByte = 848
; TotalNumSgprs: 26
; NumVgprs: 15
; ScratchSize: 0
; MemoryBound: 0
; FloatMode: 240
; IeeeMode: 1
; LDSByteSize: 0 bytes/workgroup (compile time only)
; SGPRBlocks: 0
; VGPRBlocks: 1
; NumSGPRsForWavesPerEU: 26
; NumVGPRsForWavesPerEU: 15
; Occupancy: 16
; WaveLimiterHint : 0
; COMPUTE_PGM_RSRC2:SCRATCH_EN: 0
; COMPUTE_PGM_RSRC2:USER_SGPR: 6
; COMPUTE_PGM_RSRC2:TRAP_HANDLER: 0
; COMPUTE_PGM_RSRC2:TGID_X_EN: 1
; COMPUTE_PGM_RSRC2:TGID_Y_EN: 1
; COMPUTE_PGM_RSRC2:TGID_Z_EN: 1
; COMPUTE_PGM_RSRC2:TIDIG_COMP_CNT: 0
	.section	.text._ZL33flash_attn_stream_k_fixup_generalILi64ELi2ELi2EEvPfPK15HIP_vector_typeIfLj2EEiiiiS1_IjLj3EES5_S5_S5_,"axG",@progbits,_ZL33flash_attn_stream_k_fixup_generalILi64ELi2ELi2EEvPfPK15HIP_vector_typeIfLj2EEiiiiS1_IjLj3EES5_S5_S5_,comdat
	.globl	_ZL33flash_attn_stream_k_fixup_generalILi64ELi2ELi2EEvPfPK15HIP_vector_typeIfLj2EEiiiiS1_IjLj3EES5_S5_S5_ ; -- Begin function _ZL33flash_attn_stream_k_fixup_generalILi64ELi2ELi2EEvPfPK15HIP_vector_typeIfLj2EEiiiiS1_IjLj3EES5_S5_S5_
	.p2align	8
	.type	_ZL33flash_attn_stream_k_fixup_generalILi64ELi2ELi2EEvPfPK15HIP_vector_typeIfLj2EEiiiiS1_IjLj3EES5_S5_S5_,@function
_ZL33flash_attn_stream_k_fixup_generalILi64ELi2ELi2EEvPfPK15HIP_vector_typeIfLj2EEiiiiS1_IjLj3EES5_S5_S5_: ; @_ZL33flash_attn_stream_k_fixup_generalILi64ELi2ELi2EEvPfPK15HIP_vector_typeIfLj2EEiiiiS1_IjLj3EES5_S5_S5_
; %bb.0:
	s_clause 0x1
	s_load_dwordx4 s[0:3], s[4:5], 0x10
	s_load_dword s9, s[4:5], 0x50
	s_mov_b32 s16, 0
	s_waitcnt lgkmcnt(0)
	s_mul_hi_i32 s17, s3, s6
	s_mul_i32 s18, s3, s6
	s_cmp_lg_u64 s[16:17], 0
	s_cbranch_scc0 .LBB48_21
; %bb.1:
	s_add_u32 s10, s9, 0
	s_addc_u32 s11, 0, 0
	s_xor_b64 s[10:11], s[10:11], 0
	v_cvt_f32_u32_e32 v1, s10
	v_cvt_f32_u32_e32 v2, s11
	s_sub_u32 s14, 0, s10
	s_subb_u32 s15, 0, s11
	v_fmamk_f32 v1, v2, 0x4f800000, v1
	v_rcp_f32_e32 v1, v1
	v_mul_f32_e32 v1, 0x5f7ffffc, v1
	v_mul_f32_e32 v2, 0x2f800000, v1
	v_trunc_f32_e32 v2, v2
	v_fmamk_f32 v1, v2, 0xcf800000, v1
	v_cvt_u32_f32_e32 v2, v2
	v_cvt_u32_f32_e32 v1, v1
	v_readfirstlane_b32 s12, v2
	v_readfirstlane_b32 s13, v1
	s_mul_i32 s19, s14, s12
	s_mul_hi_u32 s21, s14, s13
	s_mul_i32 s20, s15, s13
	s_add_i32 s19, s21, s19
	s_mul_i32 s22, s14, s13
	s_add_i32 s19, s19, s20
	s_mul_hi_u32 s21, s13, s22
	s_mul_i32 s24, s13, s19
	s_mul_hi_u32 s23, s12, s22
	s_mul_i32 s20, s12, s22
	s_mul_hi_u32 s22, s13, s19
	s_add_u32 s21, s21, s24
	s_addc_u32 s22, 0, s22
	s_mul_hi_u32 s25, s12, s19
	s_add_u32 s20, s21, s20
	s_mul_i32 s19, s12, s19
	s_addc_u32 s20, s22, s23
	s_addc_u32 s21, s25, 0
	s_add_u32 s19, s20, s19
	s_addc_u32 s20, 0, s21
	s_add_u32 s13, s13, s19
	s_cselect_b32 s19, -1, 0
	s_mul_hi_u32 s21, s14, s13
	s_cmp_lg_u32 s19, 0
	s_mul_i32 s19, s14, s13
	s_addc_u32 s12, s12, s20
	s_mul_i32 s15, s15, s13
	s_mul_i32 s14, s14, s12
	s_mul_hi_u32 s20, s13, s19
	s_add_i32 s14, s21, s14
	s_mul_hi_u32 s21, s12, s19
	s_add_i32 s14, s14, s15
	s_mul_i32 s15, s12, s19
	s_mul_i32 s23, s13, s14
	s_mul_hi_u32 s22, s13, s14
	s_add_u32 s20, s20, s23
	s_addc_u32 s22, 0, s22
	s_mul_hi_u32 s19, s12, s14
	s_add_u32 s15, s20, s15
	s_mul_i32 s14, s12, s14
	s_addc_u32 s15, s22, s21
	s_addc_u32 s19, s19, 0
	s_add_u32 s14, s15, s14
	s_addc_u32 s15, 0, s19
	s_add_u32 s19, s13, s14
	s_cselect_b32 s13, -1, 0
	s_cmp_lg_u32 s13, 0
	s_addc_u32 s20, s12, s15
	s_ashr_i32 s12, s17, 31
	s_add_u32 s14, s18, s12
	s_mov_b32 s13, s12
	s_addc_u32 s15, s17, s12
	s_xor_b64 s[14:15], s[14:15], s[12:13]
	s_mul_i32 s21, s14, s20
	s_mul_hi_u32 s22, s14, s19
	s_mul_hi_u32 s17, s14, s20
	;; [unrolled: 1-line block ×3, first 2 shown]
	s_mul_i32 s19, s15, s19
	s_add_u32 s21, s22, s21
	s_addc_u32 s17, 0, s17
	s_mul_hi_u32 s23, s15, s20
	s_add_u32 s19, s21, s19
	s_mul_i32 s20, s15, s20
	s_addc_u32 s17, s17, s24
	s_addc_u32 s19, s23, 0
	s_add_u32 s17, s17, s20
	s_addc_u32 s19, 0, s19
	s_mul_hi_u32 s20, s10, s17
	s_mul_i32 s21, s10, s19
	s_mul_i32 s22, s11, s17
	s_add_i32 s20, s20, s21
	s_mul_i32 s21, s10, s17
	s_add_i32 s20, s20, s22
	s_sub_i32 s22, s15, s20
	s_sub_u32 s14, s14, s21
	s_cselect_b32 s21, -1, 0
	s_cmp_lg_u32 s21, 0
	s_subb_u32 s22, s22, s11
	s_sub_u32 s23, s14, s10
	s_cselect_b32 s24, -1, 0
	s_cmp_lg_u32 s24, 0
	s_subb_u32 s22, s22, 0
	s_cmp_ge_u32 s22, s11
	s_cselect_b32 s24, -1, 0
	s_cmp_ge_u32 s23, s10
	s_cselect_b32 s23, -1, 0
	s_cmp_eq_u32 s22, s11
	s_cselect_b32 s22, s23, s24
	s_add_u32 s23, s17, 1
	s_addc_u32 s24, s19, 0
	s_add_u32 s25, s17, 2
	s_addc_u32 s26, s19, 0
	s_cmp_lg_u32 s22, 0
	s_cselect_b32 s22, s25, s23
	s_cselect_b32 s23, s26, s24
	s_cmp_lg_u32 s21, 0
	s_subb_u32 s15, s15, s20
	s_cmp_ge_u32 s15, s11
	s_cselect_b32 s20, -1, 0
	s_cmp_ge_u32 s14, s10
	s_cselect_b32 s10, -1, 0
	s_cmp_eq_u32 s15, s11
	s_cselect_b32 s10, s10, s20
	s_cmp_lg_u32 s10, 0
	s_cselect_b32 s11, s23, s19
	s_cselect_b32 s10, s22, s17
	s_xor_b64 s[12:13], s[12:13], 0
	s_xor_b64 s[10:11], s[10:11], s[12:13]
	s_sub_u32 s10, s10, s12
	s_load_dwordx4 s[12:15], s[4:5], 0x44
	s_andn2_b32 vcc_lo, exec_lo, s16
	s_cbranch_vccnz .LBB48_3
.LBB48_2:
	v_cvt_f32_u32_e32 v1, s9
	s_sub_i32 s11, 0, s9
	v_rcp_iflag_f32_e32 v1, v1
	v_mul_f32_e32 v1, 0x4f7ffffe, v1
	v_cvt_u32_f32_e32 v1, v1
	v_readfirstlane_b32 s10, v1
	s_mul_i32 s11, s11, s10
	s_mul_hi_u32 s11, s10, s11
	s_add_i32 s10, s10, s11
	s_mul_hi_u32 s10, s18, s10
	s_mul_i32 s11, s10, s9
	s_waitcnt lgkmcnt(0)
	s_add_i32 s15, s10, 1
	s_sub_i32 s11, s18, s11
	s_sub_i32 s16, s11, s9
	s_cmp_ge_u32 s11, s9
	s_cselect_b32 s10, s15, s10
	s_cselect_b32 s11, s16, s11
	s_add_i32 s15, s10, 1
	s_cmp_ge_u32 s11, s9
	s_cselect_b32 s10, s15, s10
.LBB48_3:
	s_add_i32 s11, s6, 1
	s_mov_b32 s16, 0
	s_mul_hi_i32 s17, s3, s11
	s_mul_i32 s11, s3, s11
	s_cmp_lg_u64 s[16:17], 0
	s_cbranch_scc0 .LBB48_22
; %bb.4:
	s_add_u32 s18, s9, 0
	s_addc_u32 s19, 0, 0
	s_xor_b64 s[18:19], s[18:19], 0
	v_cvt_f32_u32_e32 v1, s18
	v_cvt_f32_u32_e32 v2, s19
	s_sub_u32 s21, 0, s18
	s_subb_u32 s22, 0, s19
	v_fmamk_f32 v1, v2, 0x4f800000, v1
	v_rcp_f32_e32 v1, v1
	v_mul_f32_e32 v1, 0x5f7ffffc, v1
	v_mul_f32_e32 v2, 0x2f800000, v1
	v_trunc_f32_e32 v2, v2
	v_fmamk_f32 v1, v2, 0xcf800000, v1
	v_cvt_u32_f32_e32 v2, v2
	v_cvt_u32_f32_e32 v1, v1
	s_waitcnt lgkmcnt(0)
	v_readfirstlane_b32 s15, v2
	v_readfirstlane_b32 s20, v1
	s_mul_i32 s23, s21, s15
	s_mul_hi_u32 s25, s21, s20
	s_mul_i32 s24, s22, s20
	s_add_i32 s23, s25, s23
	s_mul_i32 s26, s21, s20
	s_add_i32 s23, s23, s24
	s_mul_hi_u32 s25, s20, s26
	s_mul_i32 s28, s20, s23
	s_mul_hi_u32 s27, s15, s26
	s_mul_i32 s24, s15, s26
	s_mul_hi_u32 s26, s20, s23
	s_add_u32 s25, s25, s28
	s_addc_u32 s26, 0, s26
	s_mul_hi_u32 s29, s15, s23
	s_add_u32 s24, s25, s24
	s_mul_i32 s23, s15, s23
	s_addc_u32 s24, s26, s27
	s_addc_u32 s25, s29, 0
	s_add_u32 s23, s24, s23
	s_addc_u32 s24, 0, s25
	s_add_u32 s20, s20, s23
	s_cselect_b32 s23, -1, 0
	s_mul_hi_u32 s25, s21, s20
	s_cmp_lg_u32 s23, 0
	s_mul_i32 s23, s21, s20
	s_addc_u32 s15, s15, s24
	s_mul_i32 s22, s22, s20
	s_mul_i32 s21, s21, s15
	s_mul_hi_u32 s24, s20, s23
	s_add_i32 s21, s25, s21
	s_mul_hi_u32 s25, s15, s23
	s_add_i32 s21, s21, s22
	s_mul_i32 s22, s15, s23
	s_mul_i32 s27, s20, s21
	s_mul_hi_u32 s26, s20, s21
	s_add_u32 s24, s24, s27
	s_addc_u32 s26, 0, s26
	s_mul_hi_u32 s23, s15, s21
	s_add_u32 s22, s24, s22
	s_mul_i32 s21, s15, s21
	s_addc_u32 s22, s26, s25
	s_addc_u32 s23, s23, 0
	s_add_u32 s21, s22, s21
	s_addc_u32 s22, 0, s23
	s_add_u32 s24, s20, s21
	s_cselect_b32 s20, -1, 0
	s_cmp_lg_u32 s20, 0
	s_addc_u32 s15, s15, s22
	s_ashr_i32 s20, s17, 31
	s_add_u32 s22, s11, s20
	s_mov_b32 s21, s20
	s_addc_u32 s23, s17, s20
	s_xor_b64 s[22:23], s[22:23], s[20:21]
	s_mul_i32 s25, s22, s15
	s_mul_hi_u32 s26, s22, s24
	s_mul_hi_u32 s17, s22, s15
	;; [unrolled: 1-line block ×3, first 2 shown]
	s_mul_i32 s24, s23, s24
	s_add_u32 s25, s26, s25
	s_addc_u32 s17, 0, s17
	s_mul_hi_u32 s27, s23, s15
	s_add_u32 s24, s25, s24
	s_mul_i32 s15, s23, s15
	s_addc_u32 s17, s17, s28
	s_addc_u32 s24, s27, 0
	s_add_u32 s15, s17, s15
	s_addc_u32 s17, 0, s24
	s_mul_hi_u32 s24, s18, s15
	s_mul_i32 s25, s18, s17
	s_mul_i32 s26, s19, s15
	s_add_i32 s24, s24, s25
	s_mul_i32 s25, s18, s15
	s_add_i32 s24, s24, s26
	s_sub_i32 s26, s23, s24
	s_sub_u32 s22, s22, s25
	s_cselect_b32 s25, -1, 0
	s_cmp_lg_u32 s25, 0
	s_subb_u32 s26, s26, s19
	s_sub_u32 s27, s22, s18
	s_cselect_b32 s28, -1, 0
	s_cmp_lg_u32 s28, 0
	s_subb_u32 s26, s26, 0
	s_cmp_ge_u32 s26, s19
	s_cselect_b32 s28, -1, 0
	s_cmp_ge_u32 s27, s18
	s_cselect_b32 s27, -1, 0
	s_cmp_eq_u32 s26, s19
	s_cselect_b32 s26, s27, s28
	s_add_u32 s27, s15, 1
	s_addc_u32 s28, s17, 0
	s_add_u32 s29, s15, 2
	s_addc_u32 s30, s17, 0
	s_cmp_lg_u32 s26, 0
	s_cselect_b32 s26, s29, s27
	s_cselect_b32 s27, s30, s28
	s_cmp_lg_u32 s25, 0
	s_subb_u32 s23, s23, s24
	s_cmp_ge_u32 s23, s19
	s_cselect_b32 s24, -1, 0
	s_cmp_ge_u32 s22, s18
	s_cselect_b32 s18, -1, 0
	s_cmp_eq_u32 s23, s19
	s_cselect_b32 s18, s18, s24
	s_cmp_lg_u32 s18, 0
	s_cselect_b32 s19, s27, s17
	s_cselect_b32 s18, s26, s15
	s_xor_b64 s[20:21], s[20:21], 0
	s_xor_b64 s[18:19], s[18:19], s[20:21]
	s_sub_u32 s18, s18, s20
	s_andn2_b32 vcc_lo, exec_lo, s16
	s_cbranch_vccnz .LBB48_6
.LBB48_5:
	v_cvt_f32_u32_e32 v1, s9
	s_sub_i32 s16, 0, s9
	v_rcp_iflag_f32_e32 v1, v1
	v_mul_f32_e32 v1, 0x4f7ffffe, v1
	v_cvt_u32_f32_e32 v1, v1
	s_waitcnt lgkmcnt(0)
	v_readfirstlane_b32 s15, v1
	s_mul_i32 s16, s16, s15
	s_mul_hi_u32 s16, s15, s16
	s_add_i32 s15, s15, s16
	s_mul_hi_u32 s15, s11, s15
	s_mul_i32 s16, s15, s9
	s_sub_i32 s11, s11, s16
	s_add_i32 s16, s15, 1
	s_sub_i32 s17, s11, s9
	s_cmp_ge_u32 s11, s9
	s_cselect_b32 s15, s16, s15
	s_cselect_b32 s11, s17, s11
	s_add_i32 s16, s15, 1
	s_cmp_ge_u32 s11, s9
	s_cselect_b32 s18, s16, s15
.LBB48_6:
	s_cmp_eq_u32 s10, s18
	s_waitcnt lgkmcnt(0)
	s_mul_hi_u32 s11, s10, s12
	s_cselect_b32 s15, -1, 0
	s_add_i32 s11, s11, s10
	s_lshr_b32 s11, s11, s13
	s_mul_i32 s16, s11, s14
	s_cmp_eq_u32 s16, s10
	s_mul_hi_u32 s16, s18, s12
	s_cselect_b32 s17, -1, 0
	s_add_i32 s16, s16, s18
	s_lshr_b32 s16, s16, s13
	s_cmp_eq_u32 s11, s16
	s_mul_i32 s16, s16, s14
	s_cselect_b32 s19, -1, 0
	s_cmp_lg_u32 s16, s18
	s_cselect_b32 s16, -1, 0
	s_or_b32 s15, s15, s17
	s_and_b32 s16, s19, s16
	s_or_b32 s15, s15, s16
	s_and_b32 vcc_lo, exec_lo, s15
	s_cbranch_vccnz .LBB48_24
; %bb.7:
	s_clause 0x1
	s_load_dwordx8 s[20:27], s[4:5], 0x20
	s_load_dword s16, s[4:5], 0x40
	s_waitcnt lgkmcnt(0)
	s_mul_hi_u32 s15, s10, s20
	s_add_i32 s15, s15, s10
	s_lshr_b32 s15, s15, s21
	s_mul_i32 s17, s15, s22
	s_sub_i32 s17, s10, s17
	s_mul_hi_u32 s18, s17, s23
	s_add_i32 s18, s17, s18
	s_lshr_b32 s22, s18, s24
	s_mul_i32 s18, s22, s25
	s_sub_i32 s17, s17, s18
	s_mul_hi_u32 s18, s17, s26
	s_add_i32 s18, s17, s18
	s_lshr_b32 s18, s18, s27
	s_mul_i32 s16, s18, s16
	s_lshl_b32 s24, s18, 1
	s_sub_i32 s16, s17, s16
	s_mul_hi_u32 s17, s16, s12
	s_add_i32 s16, s16, s17
	s_lshr_b32 s23, s16, s13
	s_lshl_b32 s16, s23, 1
	s_add_i32 s16, s16, s7
	s_cmp_lt_i32 s16, s0
	s_cselect_b32 s16, -1, 0
	s_add_i32 s17, s24, s8
	s_cmp_lt_i32 s17, s2
	s_cselect_b32 s17, -1, 0
	s_and_b32 s16, s16, s17
	s_andn2_b32 vcc_lo, exec_lo, s16
	s_cbranch_vccnz .LBB48_24
; %bb.8:
	s_load_dwordx4 s[16:19], s[4:5], 0x0
	s_mov_b32 s4, 0
	s_lshl_b32 s20, s9, 4
	s_mov_b32 s21, s4
	s_lshl_b32 s5, s7, 1
	s_lshl_b64 s[20:21], s[20:21], 2
	s_mul_i32 s0, s15, s0
	s_add_i32 s15, s5, s8
	s_mul_i32 s22, s22, s2
	v_cvt_f32_u32_e32 v4, s9
	v_rcp_iflag_f32_e32 v4, v4
	s_waitcnt lgkmcnt(0)
	s_add_u32 s20, s18, s20
	s_addc_u32 s21, s19, s21
	s_add_i32 s0, s0, s7
	s_mul_i32 s0, s0, s1
	s_mul_i32 s1, s1, s23
	s_add_i32 s0, s0, s8
	s_lshl_b32 s1, s1, 7
	s_add_i32 s0, s0, s22
	v_mul_f32_e32 v4, 0x4f7ffffe, v4
	s_add_i32 s0, s0, s24
	s_lshl_b32 s0, s0, 6
	s_add_i32 s1, s1, s0
	s_lshl_b32 s0, s6, 2
	v_or_b32_e32 v1, s1, v0
	s_add_i32 s0, s15, s0
	v_lshl_or_b32 v0, s15, 6, v0
	s_ashr_i32 s1, s0, 31
	v_cvt_u32_f32_e32 v4, v4
	v_ashrrev_i32_e32 v2, 31, v1
	s_lshl_b64 s[0:1], s[0:1], 3
	s_add_u32 s0, s18, s0
	s_addc_u32 s1, s19, s1
	v_lshlrev_b64 v[1:2], 2, v[1:2]
	s_load_dwordx2 s[0:1], s[0:1], 0x0
	s_add_i32 s8, s6, -1
	s_sub_i32 s2, 0, s9
	v_add_co_u32 v1, vcc_lo, s16, v1
	v_add_co_ci_u32_e64 v2, null, s17, v2, vcc_lo
	global_load_dword v3, v[1:2], off
	s_waitcnt lgkmcnt(0)
	v_mov_b32_e32 v5, s1
	v_mov_b32_e32 v6, s0
.LBB48_9:                               ; =>This Inner Loop Header: Depth=1
	s_mul_hi_i32 s5, s8, s3
	s_mul_i32 s6, s8, s3
	s_cmp_lg_u64 s[4:5], 0
	s_mov_b32 s7, -1
                                        ; implicit-def: $sgpr0_sgpr1
	s_cbranch_scc0 .LBB48_11
; %bb.10:                               ;   in Loop: Header=BB48_9 Depth=1
	s_add_u32 s0, s9, 0
	s_addc_u32 s1, 0, 0
	s_xor_b64 s[0:1], s[0:1], 0
	v_cvt_f32_u32_e32 v7, s0
	v_cvt_f32_u32_e32 v8, s1
	s_sub_u32 s17, 0, s0
	s_subb_u32 s22, 0, s1
	v_fmac_f32_e32 v7, 0x4f800000, v8
	v_rcp_f32_e32 v7, v7
	v_mul_f32_e32 v7, 0x5f7ffffc, v7
	v_mul_f32_e32 v8, 0x2f800000, v7
	v_trunc_f32_e32 v8, v8
	v_fmac_f32_e32 v7, 0xcf800000, v8
	v_cvt_u32_f32_e32 v8, v8
	v_cvt_u32_f32_e32 v7, v7
	v_readfirstlane_b32 s7, v8
	v_readfirstlane_b32 s16, v7
	s_mul_i32 s23, s17, s7
	s_mul_hi_u32 s25, s17, s16
	s_mul_i32 s24, s22, s16
	s_add_i32 s23, s25, s23
	s_mul_i32 s26, s17, s16
	s_add_i32 s23, s23, s24
	s_mul_hi_u32 s25, s16, s26
	s_mul_i32 s28, s16, s23
	s_mul_hi_u32 s27, s7, s26
	s_mul_i32 s24, s7, s26
	s_mul_hi_u32 s26, s16, s23
	s_add_u32 s25, s25, s28
	s_addc_u32 s26, 0, s26
	s_mul_hi_u32 s29, s7, s23
	s_add_u32 s24, s25, s24
	s_mul_i32 s23, s7, s23
	s_addc_u32 s24, s26, s27
	s_addc_u32 s25, s29, 0
	s_add_u32 s23, s24, s23
	s_addc_u32 s24, 0, s25
	s_add_u32 s16, s16, s23
	s_cselect_b32 s23, -1, 0
	s_mul_hi_u32 s25, s17, s16
	s_cmp_lg_u32 s23, 0
	s_mul_i32 s23, s17, s16
	s_addc_u32 s7, s7, s24
	s_mul_i32 s22, s22, s16
	s_mul_i32 s17, s17, s7
	s_mul_hi_u32 s24, s16, s23
	s_add_i32 s17, s25, s17
	s_mul_hi_u32 s25, s7, s23
	s_add_i32 s17, s17, s22
	s_mul_i32 s22, s7, s23
	s_mul_i32 s27, s16, s17
	s_mul_hi_u32 s26, s16, s17
	s_add_u32 s24, s24, s27
	s_addc_u32 s26, 0, s26
	s_mul_hi_u32 s23, s7, s17
	s_add_u32 s22, s24, s22
	s_mul_i32 s17, s7, s17
	s_addc_u32 s22, s26, s25
	s_addc_u32 s23, s23, 0
	s_add_u32 s17, s22, s17
	s_addc_u32 s22, 0, s23
	s_add_u32 s24, s16, s17
	s_cselect_b32 s16, -1, 0
	s_cmp_lg_u32 s16, 0
	s_addc_u32 s7, s7, s22
	s_ashr_i32 s16, s5, 31
	s_add_u32 s22, s6, s16
	s_mov_b32 s17, s16
	s_addc_u32 s23, s5, s16
	s_xor_b64 s[22:23], s[22:23], s[16:17]
	s_mul_i32 s25, s22, s7
	s_mul_hi_u32 s26, s22, s24
	s_mul_hi_u32 s5, s22, s7
	;; [unrolled: 1-line block ×3, first 2 shown]
	s_mul_i32 s24, s23, s24
	s_add_u32 s25, s26, s25
	s_addc_u32 s5, 0, s5
	s_mul_hi_u32 s27, s23, s7
	s_add_u32 s24, s25, s24
	s_mul_i32 s7, s23, s7
	s_addc_u32 s5, s5, s28
	s_addc_u32 s24, s27, 0
	s_add_u32 s5, s5, s7
	s_addc_u32 s7, 0, s24
	s_mul_hi_u32 s24, s0, s5
	s_mul_i32 s25, s0, s7
	s_mul_i32 s26, s1, s5
	s_add_i32 s24, s24, s25
	s_mul_i32 s25, s0, s5
	s_add_i32 s24, s24, s26
	s_sub_i32 s26, s23, s24
	s_sub_u32 s22, s22, s25
	s_cselect_b32 s25, -1, 0
	s_cmp_lg_u32 s25, 0
	s_subb_u32 s26, s26, s1
	s_sub_u32 s27, s22, s0
	s_cselect_b32 s28, -1, 0
	s_cmp_lg_u32 s28, 0
	s_subb_u32 s26, s26, 0
	s_cmp_ge_u32 s26, s1
	s_cselect_b32 s28, -1, 0
	s_cmp_ge_u32 s27, s0
	s_cselect_b32 s27, -1, 0
	s_cmp_eq_u32 s26, s1
	s_cselect_b32 s26, s27, s28
	s_add_u32 s27, s5, 1
	s_addc_u32 s28, s7, 0
	s_add_u32 s29, s5, 2
	s_addc_u32 s30, s7, 0
	s_cmp_lg_u32 s26, 0
	s_cselect_b32 s26, s29, s27
	s_cselect_b32 s27, s30, s28
	s_cmp_lg_u32 s25, 0
	s_subb_u32 s23, s23, s24
	s_cmp_ge_u32 s23, s1
	s_cselect_b32 s24, -1, 0
	s_cmp_ge_u32 s22, s0
	s_cselect_b32 s0, -1, 0
	s_cmp_eq_u32 s23, s1
	s_cselect_b32 s0, s0, s24
	s_cmp_lg_u32 s0, 0
	s_cselect_b32 s1, s27, s7
	s_cselect_b32 s0, s26, s5
	s_xor_b64 s[16:17], s[16:17], 0
	s_mov_b32 s7, 0
	s_xor_b64 s[0:1], s[0:1], s[16:17]
	s_sub_u32 s0, s0, s16
.LBB48_11:                              ;   in Loop: Header=BB48_9 Depth=1
	s_andn2_b32 vcc_lo, exec_lo, s7
	s_cbranch_vccnz .LBB48_13
; %bb.12:                               ;   in Loop: Header=BB48_9 Depth=1
	v_readfirstlane_b32 s0, v4
	s_mul_i32 s1, s2, s0
	s_mul_hi_u32 s1, s0, s1
	s_add_i32 s0, s0, s1
	s_mul_hi_u32 s0, s6, s0
	s_mul_i32 s1, s0, s9
	s_add_i32 s5, s0, 1
	s_sub_i32 s1, s6, s1
	s_sub_i32 s6, s1, s9
	s_cmp_ge_u32 s1, s9
	s_cselect_b32 s0, s5, s0
	s_cselect_b32 s1, s6, s1
	s_add_i32 s5, s0, 1
	s_cmp_ge_u32 s1, s9
	s_cselect_b32 s0, s5, s0
.LBB48_13:                              ;   in Loop: Header=BB48_9 Depth=1
	s_cmp_lg_u32 s10, s0
	s_mov_b32 s6, -1
                                        ; implicit-def: $sgpr5
                                        ; implicit-def: $vgpr8
                                        ; implicit-def: $vgpr7
                                        ; implicit-def: $vgpr9
                                        ; implicit-def: $sgpr1
                                        ; implicit-def: $sgpr16
	s_cbranch_scc0 .LBB48_18
; %bb.14:                               ;   in Loop: Header=BB48_9 Depth=1
	s_add_i32 s1, s8, s9
	s_mov_b32 s7, s4
	s_lshl_b32 s1, s1, 2
	s_mov_b32 s16, s10
	s_add_i32 s6, s1, s15
	s_mul_hi_u32 s1, s0, s12
	s_lshl_b64 s[6:7], s[6:7], 3
	s_add_u32 s6, s18, s6
	s_addc_u32 s7, s19, s7
	s_add_i32 s1, s1, s0
	s_lshr_b32 s1, s1, s13
	s_mul_i32 s5, s1, s14
	s_cmp_eq_u32 s5, s0
	s_cselect_b32 s5, -1, 0
	s_cmp_lt_u32 s1, s11
	s_cselect_b32 s1, -1, 0
	s_or_b32 s1, s1, s5
	s_mov_b32 s5, -1
	s_and_b32 vcc_lo, exec_lo, s1
	s_mov_b32 s1, s8
	s_cbranch_vccnz .LBB48_16
; %bb.15:                               ;   in Loop: Header=BB48_9 Depth=1
	s_add_i32 s1, s8, -1
	s_mov_b32 s5, 0
	s_mov_b32 s16, s0
.LBB48_16:                              ;   in Loop: Header=BB48_9 Depth=1
	v_lshl_add_u32 v7, s8, 8, v0
	s_load_dwordx2 s[6:7], s[6:7], 0x0
	v_ashrrev_i32_e32 v8, 31, v7
	v_lshlrev_b64 v[7:8], 2, v[7:8]
	v_add_co_u32 v7, vcc_lo, s20, v7
	v_add_co_ci_u32_e64 v8, null, s21, v8, vcc_lo
	s_waitcnt lgkmcnt(0)
	v_max_f32_e64 v9, s6, s6
	global_load_dword v8, v[7:8], off
	v_max_f32_e32 v7, v6, v6
	v_max_f32_e32 v7, v7, v9
	v_sub_f32_e32 v9, s6, v7
	v_sub_f32_e32 v10, v6, v7
	v_mul_f32_e32 v11, 0x3fb8aa3b, v9
	v_mul_f32_e32 v12, 0x3fb8aa3b, v10
	v_cmp_ngt_f32_e32 vcc_lo, 0xc2ce8ed0, v9
	v_fma_f32 v13, 0x3fb8aa3b, v9, -v11
	v_rndne_f32_e32 v14, v11
	v_fma_f32 v15, 0x3fb8aa3b, v10, -v12
	v_rndne_f32_e32 v16, v12
	v_fmac_f32_e32 v13, 0x32a5705f, v9
	v_sub_f32_e32 v11, v11, v14
	v_fmac_f32_e32 v15, 0x32a5705f, v10
	v_sub_f32_e32 v12, v12, v16
	v_add_f32_e32 v11, v11, v13
	v_cvt_i32_f32_e32 v13, v14
	v_add_f32_e32 v12, v12, v15
	v_cvt_i32_f32_e32 v14, v16
	v_exp_f32_e32 v11, v11
	v_exp_f32_e32 v12, v12
	v_ldexp_f32 v11, v11, v13
	v_ldexp_f32 v12, v12, v14
	v_cndmask_b32_e32 v11, 0, v11, vcc_lo
	v_cmp_ngt_f32_e32 vcc_lo, 0xc2ce8ed0, v10
	v_cndmask_b32_e32 v12, 0, v12, vcc_lo
	v_cmp_nlt_f32_e32 vcc_lo, 0x42b17218, v9
	v_cndmask_b32_e32 v11, 0x7f800000, v11, vcc_lo
	v_cmp_nlt_f32_e32 vcc_lo, 0x42b17218, v10
	v_cndmask_b32_e32 v12, 0x7f800000, v12, vcc_lo
	v_cmp_le_f32_e32 vcc_lo, 0xc1a00000, v9
	v_cndmask_b32_e32 v9, 0, v11, vcc_lo
	v_cmp_le_f32_e32 vcc_lo, 0xc1a00000, v10
	v_cndmask_b32_e32 v10, 0, v12, vcc_lo
	s_waitcnt vmcnt(0)
	v_mul_f32_e32 v8, v8, v9
	v_mul_f32_e32 v9, s7, v9
	v_fmac_f32_e32 v8, v3, v10
	v_fmac_f32_e32 v9, v5, v10
	s_cbranch_execz .LBB48_19
.LBB48_17:                              ;   in Loop: Header=BB48_9 Depth=1
	s_andn2_b32 vcc_lo, exec_lo, s5
	s_cbranch_vccnz .LBB48_20
	s_branch .LBB48_23
.LBB48_18:                              ;   in Loop: Header=BB48_9 Depth=1
	s_andn2_b32 vcc_lo, exec_lo, s6
	s_cbranch_vccnz .LBB48_17
.LBB48_19:                              ;   in Loop: Header=BB48_9 Depth=1
	v_mov_b32_e32 v9, v5
	v_mov_b32_e32 v7, v6
	s_waitcnt vmcnt(0)
	v_mov_b32_e32 v8, v3
	s_add_i32 s1, s8, -1
	s_mov_b32 s16, s10
	s_cbranch_execz .LBB48_23
.LBB48_20:                              ;   in Loop: Header=BB48_9 Depth=1
	v_mov_b32_e32 v5, v9
	v_mov_b32_e32 v6, v7
	s_waitcnt vmcnt(0)
	v_mov_b32_e32 v3, v8
	s_mov_b32 s10, s16
	s_mov_b32 s8, s1
	s_branch .LBB48_9
.LBB48_21:
                                        ; implicit-def: $sgpr10_sgpr11
	s_load_dwordx4 s[12:15], s[4:5], 0x44
	s_branch .LBB48_2
.LBB48_22:
                                        ; implicit-def: $sgpr18_sgpr19
	s_branch .LBB48_5
.LBB48_23:
	v_div_scale_f32 v0, null, v9, v9, v8
	s_waitcnt vmcnt(0)
	v_rcp_f32_e32 v3, v0
	v_fma_f32 v4, -v0, v3, 1.0
	v_fmac_f32_e32 v3, v4, v3
	v_div_scale_f32 v4, vcc_lo, v8, v9, v8
	v_mul_f32_e32 v5, v4, v3
	v_fma_f32 v6, -v0, v5, v4
	v_fmac_f32_e32 v5, v6, v3
	v_fma_f32 v0, -v0, v5, v4
	v_div_fmas_f32 v0, v0, v3, v5
	v_div_fixup_f32 v0, v0, v9, v8
	global_store_dword v[1:2], v0, off
.LBB48_24:
	s_endpgm
	.section	.rodata,"a",@progbits
	.p2align	6, 0x0
	.amdhsa_kernel _ZL33flash_attn_stream_k_fixup_generalILi64ELi2ELi2EEvPfPK15HIP_vector_typeIfLj2EEiiiiS1_IjLj3EES5_S5_S5_
		.amdhsa_group_segment_fixed_size 0
		.amdhsa_private_segment_fixed_size 0
		.amdhsa_kernarg_size 336
		.amdhsa_user_sgpr_count 6
		.amdhsa_user_sgpr_private_segment_buffer 1
		.amdhsa_user_sgpr_dispatch_ptr 0
		.amdhsa_user_sgpr_queue_ptr 0
		.amdhsa_user_sgpr_kernarg_segment_ptr 1
		.amdhsa_user_sgpr_dispatch_id 0
		.amdhsa_user_sgpr_flat_scratch_init 0
		.amdhsa_user_sgpr_private_segment_size 0
		.amdhsa_wavefront_size32 1
		.amdhsa_uses_dynamic_stack 0
		.amdhsa_system_sgpr_private_segment_wavefront_offset 0
		.amdhsa_system_sgpr_workgroup_id_x 1
		.amdhsa_system_sgpr_workgroup_id_y 1
		.amdhsa_system_sgpr_workgroup_id_z 1
		.amdhsa_system_sgpr_workgroup_info 0
		.amdhsa_system_vgpr_workitem_id 0
		.amdhsa_next_free_vgpr 17
		.amdhsa_next_free_sgpr 31
		.amdhsa_reserve_vcc 1
		.amdhsa_reserve_flat_scratch 0
		.amdhsa_float_round_mode_32 0
		.amdhsa_float_round_mode_16_64 0
		.amdhsa_float_denorm_mode_32 3
		.amdhsa_float_denorm_mode_16_64 3
		.amdhsa_dx10_clamp 1
		.amdhsa_ieee_mode 1
		.amdhsa_fp16_overflow 0
		.amdhsa_workgroup_processor_mode 1
		.amdhsa_memory_ordered 1
		.amdhsa_forward_progress 1
		.amdhsa_shared_vgpr_count 0
		.amdhsa_exception_fp_ieee_invalid_op 0
		.amdhsa_exception_fp_denorm_src 0
		.amdhsa_exception_fp_ieee_div_zero 0
		.amdhsa_exception_fp_ieee_overflow 0
		.amdhsa_exception_fp_ieee_underflow 0
		.amdhsa_exception_fp_ieee_inexact 0
		.amdhsa_exception_int_div_zero 0
	.end_amdhsa_kernel
	.section	.text._ZL33flash_attn_stream_k_fixup_generalILi64ELi2ELi2EEvPfPK15HIP_vector_typeIfLj2EEiiiiS1_IjLj3EES5_S5_S5_,"axG",@progbits,_ZL33flash_attn_stream_k_fixup_generalILi64ELi2ELi2EEvPfPK15HIP_vector_typeIfLj2EEiiiiS1_IjLj3EES5_S5_S5_,comdat
.Lfunc_end48:
	.size	_ZL33flash_attn_stream_k_fixup_generalILi64ELi2ELi2EEvPfPK15HIP_vector_typeIfLj2EEiiiiS1_IjLj3EES5_S5_S5_, .Lfunc_end48-_ZL33flash_attn_stream_k_fixup_generalILi64ELi2ELi2EEvPfPK15HIP_vector_typeIfLj2EEiiiiS1_IjLj3EES5_S5_S5_
                                        ; -- End function
	.set _ZL33flash_attn_stream_k_fixup_generalILi64ELi2ELi2EEvPfPK15HIP_vector_typeIfLj2EEiiiiS1_IjLj3EES5_S5_S5_.num_vgpr, 17
	.set _ZL33flash_attn_stream_k_fixup_generalILi64ELi2ELi2EEvPfPK15HIP_vector_typeIfLj2EEiiiiS1_IjLj3EES5_S5_S5_.num_agpr, 0
	.set _ZL33flash_attn_stream_k_fixup_generalILi64ELi2ELi2EEvPfPK15HIP_vector_typeIfLj2EEiiiiS1_IjLj3EES5_S5_S5_.numbered_sgpr, 31
	.set _ZL33flash_attn_stream_k_fixup_generalILi64ELi2ELi2EEvPfPK15HIP_vector_typeIfLj2EEiiiiS1_IjLj3EES5_S5_S5_.num_named_barrier, 0
	.set _ZL33flash_attn_stream_k_fixup_generalILi64ELi2ELi2EEvPfPK15HIP_vector_typeIfLj2EEiiiiS1_IjLj3EES5_S5_S5_.private_seg_size, 0
	.set _ZL33flash_attn_stream_k_fixup_generalILi64ELi2ELi2EEvPfPK15HIP_vector_typeIfLj2EEiiiiS1_IjLj3EES5_S5_S5_.uses_vcc, 1
	.set _ZL33flash_attn_stream_k_fixup_generalILi64ELi2ELi2EEvPfPK15HIP_vector_typeIfLj2EEiiiiS1_IjLj3EES5_S5_S5_.uses_flat_scratch, 0
	.set _ZL33flash_attn_stream_k_fixup_generalILi64ELi2ELi2EEvPfPK15HIP_vector_typeIfLj2EEiiiiS1_IjLj3EES5_S5_S5_.has_dyn_sized_stack, 0
	.set _ZL33flash_attn_stream_k_fixup_generalILi64ELi2ELi2EEvPfPK15HIP_vector_typeIfLj2EEiiiiS1_IjLj3EES5_S5_S5_.has_recursion, 0
	.set _ZL33flash_attn_stream_k_fixup_generalILi64ELi2ELi2EEvPfPK15HIP_vector_typeIfLj2EEiiiiS1_IjLj3EES5_S5_S5_.has_indirect_call, 0
	.section	.AMDGPU.csdata,"",@progbits
; Kernel info:
; codeLenInByte = 2944
; TotalNumSgprs: 33
; NumVgprs: 17
; ScratchSize: 0
; MemoryBound: 0
; FloatMode: 240
; IeeeMode: 1
; LDSByteSize: 0 bytes/workgroup (compile time only)
; SGPRBlocks: 0
; VGPRBlocks: 2
; NumSGPRsForWavesPerEU: 33
; NumVGPRsForWavesPerEU: 17
; Occupancy: 16
; WaveLimiterHint : 0
; COMPUTE_PGM_RSRC2:SCRATCH_EN: 0
; COMPUTE_PGM_RSRC2:USER_SGPR: 6
; COMPUTE_PGM_RSRC2:TRAP_HANDLER: 0
; COMPUTE_PGM_RSRC2:TGID_X_EN: 1
; COMPUTE_PGM_RSRC2:TGID_Y_EN: 1
; COMPUTE_PGM_RSRC2:TGID_Z_EN: 1
; COMPUTE_PGM_RSRC2:TIDIG_COMP_CNT: 0
	.section	.text._ZL15flash_attn_tileILi64ELi64ELi1ELi2ELb0EEvPKcS1_S1_S1_S1_PKiPfP15HIP_vector_typeIfLj2EEffffjfiS5_IjLj3EEiiiiiiiiiiiliiliiiiil,"axG",@progbits,_ZL15flash_attn_tileILi64ELi64ELi1ELi2ELb0EEvPKcS1_S1_S1_S1_PKiPfP15HIP_vector_typeIfLj2EEffffjfiS5_IjLj3EEiiiiiiiiiiiliiliiiiil,comdat
	.globl	_ZL15flash_attn_tileILi64ELi64ELi1ELi2ELb0EEvPKcS1_S1_S1_S1_PKiPfP15HIP_vector_typeIfLj2EEffffjfiS5_IjLj3EEiiiiiiiiiiiliiliiiiil ; -- Begin function _ZL15flash_attn_tileILi64ELi64ELi1ELi2ELb0EEvPKcS1_S1_S1_S1_PKiPfP15HIP_vector_typeIfLj2EEffffjfiS5_IjLj3EEiiiiiiiiiiiliiliiiiil
	.p2align	8
	.type	_ZL15flash_attn_tileILi64ELi64ELi1ELi2ELb0EEvPKcS1_S1_S1_S1_PKiPfP15HIP_vector_typeIfLj2EEffffjfiS5_IjLj3EEiiiiiiiiiiiliiliiiiil,@function
_ZL15flash_attn_tileILi64ELi64ELi1ELi2ELb0EEvPKcS1_S1_S1_S1_PKiPfP15HIP_vector_typeIfLj2EEffffjfiS5_IjLj3EEiiiiiiiiiiiliiliiiiil: ; @_ZL15flash_attn_tileILi64ELi64ELi1ELi2ELb0EEvPKcS1_S1_S1_S1_PKiPfP15HIP_vector_typeIfLj2EEffffjfiS5_IjLj3EEiiiiiiiiiiiliiliiiiil
; %bb.0:
	s_clause 0x1
	s_load_dwordx4 s[24:27], s[4:5], 0x5c
	s_load_dwordx2 s[30:31], s[4:5], 0x80
	s_mov_b32 s28, s7
	s_mov_b64 s[34:35], 0
	s_waitcnt lgkmcnt(0)
	s_lshr_b32 s0, s27, 31
	s_add_i32 s0, s27, s0
	s_ashr_i32 s0, s0, 1
	v_cvt_f32_u32_e32 v2, s0
	s_sub_i32 s2, 0, s0
	v_rcp_iflag_f32_e32 v2, v2
	v_mul_f32_e32 v2, 0x4f7ffffe, v2
	v_cvt_u32_f32_e32 v2, v2
	v_readfirstlane_b32 s1, v2
	s_mul_i32 s2, s2, s1
	s_mul_hi_u32 s2, s1, s2
	s_add_i32 s1, s1, s2
	s_mul_hi_u32 s1, s8, s1
	s_mul_i32 s2, s1, s0
	s_add_i32 s3, s1, 1
	s_sub_i32 s2, s8, s2
	s_sub_i32 s7, s2, s0
	s_cmp_ge_u32 s2, s0
	s_cselect_b32 s1, s3, s1
	s_cselect_b32 s2, s7, s2
	s_add_i32 s3, s1, 1
	s_cmp_ge_u32 s2, s0
	s_cselect_b32 s29, s3, s1
	s_abs_i32 s0, s31
	s_lshl_b32 s3, s8, 1
	v_cvt_f32_u32_e32 v2, s0
	s_sub_i32 s2, 0, s0
	s_abs_i32 s8, s27
	s_mul_i32 s7, s29, s27
	v_rcp_iflag_f32_e32 v2, v2
	s_sub_i32 s33, s3, s7
	v_mul_f32_e32 v2, 0x4f7ffffe, v2
	v_cvt_u32_f32_e32 v2, v2
	v_readfirstlane_b32 s1, v2
	s_mul_i32 s2, s2, s1
	s_mul_hi_u32 s2, s1, s2
	s_add_i32 s1, s1, s2
	s_xor_b32 s2, s27, s31
	s_mul_hi_u32 s1, s8, s1
	s_ashr_i32 s2, s2, 31
	s_mul_i32 s3, s1, s0
	s_add_i32 s7, s1, 1
	s_sub_i32 s3, s8, s3
	s_sub_i32 s8, s3, s0
	s_cmp_ge_u32 s3, s0
	s_cselect_b32 s1, s7, s1
	s_cselect_b32 s3, s8, s3
	s_add_i32 s7, s1, 1
	s_cmp_ge_u32 s3, s0
	s_clause 0x1
	s_load_dwordx16 s[8:23], s[4:5], 0x0
	s_load_dwordx2 s[36:37], s[4:5], 0xb8
	s_cselect_b32 s0, s7, s1
	s_xor_b32 s0, s0, s2
	s_sub_i32 s31, s0, s2
	s_abs_i32 s7, s31
	v_cvt_f32_u32_e32 v2, s7
	v_rcp_iflag_f32_e32 v2, v2
	s_waitcnt lgkmcnt(0)
	s_cmp_eq_u64 s[14:15], 0
	v_mul_f32_e32 v2, 0x4f7ffffe, v2
	v_cvt_u32_f32_e32 v2, v2
	v_readfirstlane_b32 s38, v2
	s_cbranch_scc1 .LBB49_2
; %bb.1:
	s_abs_i32 s2, s36
	s_abs_i32 s3, s29
	v_cvt_f32_u32_e32 v2, s2
	s_sub_i32 s1, 0, s2
	v_rcp_iflag_f32_e32 v2, v2
	v_mul_f32_e32 v2, 0x4f7ffffe, v2
	v_cvt_u32_f32_e32 v2, v2
	v_readfirstlane_b32 s0, v2
	s_mul_i32 s1, s1, s0
	s_mul_hi_u32 s1, s0, s1
	s_add_i32 s0, s0, s1
	s_mul_hi_u32 s34, s3, s0
	s_load_dwordx2 s[0:1], s[4:5], 0xc8
	s_mul_i32 s34, s34, s2
	s_sub_i32 s3, s3, s34
	s_ashr_i32 s34, s29, 31
	s_sub_i32 s35, s3, s2
	s_cmp_ge_u32 s3, s2
	s_cselect_b32 s3, s35, s3
	s_sub_i32 s35, s3, s2
	s_cmp_ge_u32 s3, s2
	s_cselect_b32 s2, s35, s3
	s_xor_b32 s2, s2, s34
	s_sub_i32 s2, s2, s34
	s_ashr_i32 s3, s2, 31
	s_waitcnt lgkmcnt(0)
	s_mul_hi_u32 s34, s0, s2
	s_mul_i32 s3, s0, s3
	s_mul_i32 s1, s1, s2
	s_add_i32 s3, s34, s3
	s_mul_i32 s0, s0, s2
	s_add_i32 s3, s3, s1
	s_add_u32 s34, s14, s0
	s_addc_u32 s35, s15, s3
.LBB49_2:
	v_lshrrev_b32_e32 v2, 1, v1
	s_load_dwordx4 s[0:3], s[4:5], 0x70
	v_and_b32_e32 v21, 1, v1
	v_lshlrev_b32_e32 v8, 3, v0
	v_lshl_add_u32 v22, v1, 7, 0x1200
	v_add_nc_u32_e32 v2, s6, v2
	v_mul_hi_u32 v3, s24, v2
	v_add_nc_u32_e32 v3, v2, v3
	s_waitcnt lgkmcnt(0)
	s_mul_i32 s3, s29, s2
	s_mul_i32 s14, s33, s1
	v_lshrrev_b32_e32 v3, s25, v3
	s_ashr_i32 s15, s3, 31
	s_add_u32 s3, s8, s3
	s_addc_u32 s8, s9, s15
	s_ashr_i32 s9, s14, 31
	v_mul_lo_u32 v3, v3, s26
	s_add_u32 s14, s3, s14
	s_mov_b32 s2, s1
	s_addc_u32 s15, s8, s9
	s_ashr_i32 s3, s1, 31
	s_ashr_i32 s1, s0, 31
	s_lshr_b64 s[8:9], s[0:1], 2
	v_sub_nc_u32_e32 v3, v2, v3
	s_lshr_b32 s1, s1, 2
	s_lshr_b32 s0, s3, 2
	v_mul_lo_u32 v7, s0, v21
	v_mad_u64_u32 v[4:5], null, s8, v3, 0
	s_lshr_b64 s[8:9], s[2:3], 2
	s_load_dword s0, s[4:5], 0x40
	s_cmp_eq_u64 s[18:19], 0
	v_mad_u64_u32 v[5:6], null, s1, v3, v[5:6]
	v_mul_lo_u32 v6, s8, v21
	v_lshlrev_b64 v[4:5], 2, v[4:5]
	v_lshlrev_b64 v[6:7], 2, v[6:7]
	v_add_co_u32 v6, vcc_lo, s14, v6
	v_add_co_ci_u32_e64 v7, null, s15, v7, vcc_lo
	v_add_co_u32 v4, vcc_lo, v6, v4
	v_add_co_ci_u32_e64 v5, null, v7, v5, vcc_lo
	v_lshl_add_u32 v6, v0, 2, v22
	v_add_co_u32 v4, vcc_lo, v4, v8
	v_add_co_ci_u32_e64 v5, null, 0, v5, vcc_lo
	global_load_dwordx2 v[4:5], v[4:5], off
	s_waitcnt vmcnt(0) lgkmcnt(0)
	v_fma_mixlo_f16 v5, s0, v5, 0
	v_fma_mixlo_f16 v4, s0, v4, 0
	v_lshlrev_b32_e32 v5, 16, v5
	v_or_b32_sdwa v4, v5, v4 dst_sel:DWORD dst_unused:UNUSED_PAD src0_sel:DWORD src1_sel:WORD_0
	ds_write_b32 v6, v4
	s_waitcnt lgkmcnt(0)
	s_barrier
	buffer_gl0_inv
	s_cbranch_scc1 .LBB49_4
; %bb.3:
	s_load_dword s0, s[4:5], 0xd0
	s_mov_b32 s1, 0
	s_waitcnt lgkmcnt(0)
	s_mul_i32 s0, s0, s29
	s_add_i32 s0, s0, s6
	s_lshl_b64 s[0:1], s[0:1], 2
	s_add_u32 s0, s18, s0
	s_addc_u32 s1, s19, s1
	s_load_dword s30, s[0:1], 0x0
.LBB49_4:
	v_mbcnt_lo_u32_b32 v23, -1, 0
	s_lshl_b32 s8, s28, 5
	s_waitcnt lgkmcnt(0)
	s_cmp_lt_i32 s8, s30
	s_cbranch_scc1 .LBB49_7
; %bb.5:
	v_mbcnt_lo_u32_b32 v4, -1, 0
	v_mov_b32_e32 v25, 32
	v_xor_b32_e32 v31, 16, v4
	v_xor_b32_e32 v30, 8, v4
	;; [unrolled: 1-line block ×5, first 2 shown]
	s_cbranch_execz .LBB49_8
; %bb.6:
	v_mov_b32_e32 v1, 0
	v_mov_b32_e32 v3, 0xfeffffff
	;; [unrolled: 1-line block ×3, first 2 shown]
	s_branch .LBB49_11
.LBB49_7:
                                        ; implicit-def: $vgpr4
                                        ; implicit-def: $vgpr25
                                        ; implicit-def: $vgpr31
                                        ; implicit-def: $vgpr30
                                        ; implicit-def: $vgpr29
                                        ; implicit-def: $vgpr28
                                        ; implicit-def: $vgpr27
.LBB49_8:
	s_clause 0x1
	s_load_dwordx4 s[0:3], s[4:5], 0x98
	s_load_dwordx2 s[14:15], s[4:5], 0x8c
	s_sub_i32 s6, 0, s7
	s_abs_i32 s24, s33
	s_mul_i32 s6, s6, s38
	s_ashr_i32 s25, s33, 31
	s_mul_hi_u32 s6, s38, s6
	s_ashr_i32 s31, s31, 31
	s_add_i32 s38, s38, s6
	s_ashr_i32 s6, s37, 1
	s_ashr_i32 s37, s29, 31
	s_mul_hi_u32 s36, s24, s38
	s_load_dwordx2 s[18:19], s[4:5], 0xa8
	s_mul_i32 s38, s36, s7
	v_lshrrev_b32_e32 v4, 3, v0
	v_lshlrev_b32_e32 v26, 2, v0
	v_lshl_add_u32 v37, v1, 6, 0x1300
	v_mov_b32_e32 v24, 0
	v_mul_u32_u24_e32 v36, 0x90, v0
	v_lshl_add_u32 v4, v1, 2, v4
	s_waitcnt lgkmcnt(0)
	s_ashr_i32 s9, s2, 2
	s_mul_hi_u32 s2, s0, s29
	s_mul_i32 s39, s0, s37
	s_mul_i32 s1, s1, s29
	s_add_i32 s2, s2, s39
	s_mul_i32 s0, s0, s29
	s_ashr_i32 s14, s14, 2
	s_add_i32 s2, s2, s1
	s_add_u32 s0, s10, s0
	s_addc_u32 s1, s11, s2
	s_sub_i32 s10, s24, s38
	s_xor_b32 s2, s25, s31
	s_add_i32 s11, s36, 1
	s_sub_i32 s24, s10, s7
	s_cmp_ge_u32 s10, s7
	v_mul_lo_u32 v6, s14, v4
	s_cselect_b32 s11, s11, s36
	s_cselect_b32 s10, s24, s10
	s_add_i32 s24, s11, 1
	s_cmp_ge_u32 s10, s7
	v_mul_lo_u32 v13, s9, v4
	s_cselect_b32 s7, s24, s11
	s_mul_hi_u32 s24, s18, s29
	s_xor_b32 s7, s7, s2
	v_and_b32_e32 v12, 28, v26
	s_sub_i32 s2, s7, s2
	s_mul_i32 s7, s18, s37
	s_mul_i32 s10, s2, s15
	;; [unrolled: 1-line block ×3, first 2 shown]
	s_ashr_i32 s11, s10, 31
	s_add_u32 s10, s0, s10
	s_addc_u32 s11, s1, s11
	s_add_i32 s0, s24, s7
	s_mul_i32 s1, s18, s29
	s_add_i32 s0, s0, s15
	s_mul_i32 s2, s2, s3
	s_add_u32 s1, s12, s1
	s_addc_u32 s0, s13, s0
	s_ashr_i32 s7, s2, 31
	s_add_u32 s3, s1, s2
	s_addc_u32 s12, s0, s7
	s_lshl_b32 s0, s14, 3
	v_lshlrev_b32_e32 v5, 2, v12
	v_add_nc_u32_e32 v8, s0, v6
	v_ashrrev_i32_e32 v7, 31, v6
	v_ashrrev_i32_e32 v14, 31, v13
	v_lshlrev_b32_e32 v43, 2, v12
	v_mad_u32_u24 v32, 0x90, v4, v5
	v_add_nc_u32_e32 v10, s0, v8
	v_ashrrev_i32_e32 v9, 31, v8
	v_lshl_or_b32 v38, v4, 7, v5
	v_mad_u64_u32 v[4:5], null, v3, s6, v[0:1]
	v_add_nc_u32_e32 v15, s0, v10
	s_lshl_b32 s0, s9, 3
	v_ashrrev_i32_e32 v11, 31, v10
	v_add_nc_u32_e32 v17, s0, v13
	v_lshlrev_b64 v[5:6], 2, v[6:7]
	v_ashrrev_i32_e32 v16, 31, v15
	v_lshlrev_b64 v[7:8], 2, v[8:9]
	v_lshlrev_b64 v[9:10], 2, v[10:11]
	v_add_nc_u32_e32 v19, s0, v17
	v_ashrrev_i32_e32 v18, 31, v17
	v_lshlrev_b64 v[11:12], 2, v[15:16]
	v_lshlrev_b64 v[13:14], 2, v[13:14]
	v_add_nc_u32_e32 v33, 0x480, v32
	v_add_nc_u32_e32 v44, s0, v19
	v_ashrrev_i32_e32 v20, 31, v19
	v_lshlrev_b64 v[15:16], 2, v[17:18]
	v_add_nc_u32_e32 v34, 0x900, v32
	v_add_nc_u32_e32 v35, 0xd80, v32
	v_ashrrev_i32_e32 v45, 31, v44
	v_lshlrev_b64 v[17:18], 2, v[19:20]
	v_lshl_add_u32 v39, v0, 1, v37
	v_add_nc_u32_e32 v40, 0x400, v38
	v_add_nc_u32_e32 v41, 0x800, v38
	v_lshlrev_b64 v[19:20], 2, v[44:45]
	v_add_nc_u32_e32 v42, 0xc00, v38
	v_mov_b32_e32 v3, 0xfeffffff
	v_mov_b32_e32 v25, 32
	v_xor_b32_e32 v31, 16, v23
	v_xor_b32_e32 v30, 8, v23
	;; [unrolled: 1-line block ×5, first 2 shown]
	v_mov_b32_e32 v44, 0x10001
	v_add_nc_u32_e32 v45, 0x400, v26
	v_add_nc_u32_e32 v46, 0x800, v26
	v_add_nc_u32_e32 v47, 0xc00, v26
	v_mov_b32_e32 v1, 0
	s_add_u32 s6, s4, 0xd0
	s_addc_u32 s7, s5, 0
.LBB49_9:                               ; =>This Inner Loop Header: Depth=1
	s_mul_hi_i32 s1, s8, s14
	s_mul_i32 s0, s8, s14
	v_mov_b32_e32 v64, 0
	s_lshl_b64 s[0:1], s[0:1], 2
	v_mov_b32_e32 v66, v3
	s_add_u32 s2, s10, s0
	s_addc_u32 s13, s11, s1
	v_add_co_u32 v48, vcc_lo, s2, v7
	v_add_co_u32 v49, s0, s2, v11
	v_add_co_u32 v50, s1, s2, v9
	;; [unrolled: 1-line block ×3, first 2 shown]
	v_add_co_ci_u32_e64 v53, null, s13, v6, s2
	v_add_co_ci_u32_e64 v54, null, s13, v8, vcc_lo
	v_add_co_ci_u32_e64 v55, null, s13, v10, s1
	v_add_co_ci_u32_e64 v58, null, s13, v12, s0
	v_add_co_u32 v52, vcc_lo, v48, v43
	v_add_co_u32 v48, s2, v51, v43
	v_add_co_u32 v56, s0, v50, v43
	;; [unrolled: 1-line block ×3, first 2 shown]
	v_add_co_ci_u32_e64 v49, null, 0, v53, s2
	v_add_co_ci_u32_e64 v53, null, 0, v54, vcc_lo
	v_add_co_ci_u32_e64 v57, null, 0, v55, s0
	v_add_co_ci_u32_e64 v61, null, 0, v58, s1
	s_clause 0x3
	global_load_dwordx4 v[48:51], v[48:49], off
	global_load_dwordx4 v[52:55], v[52:53], off
	global_load_dwordx4 v[56:59], v[56:57], off
	global_load_dwordx4 v[60:63], v[60:61], off
	s_mul_hi_i32 s1, s8, s9
	s_mul_i32 s0, s8, s9
	v_max_f32_e32 v67, v66, v66
	s_lshl_b64 s[0:1], s[0:1], 2
	s_waitcnt vmcnt(3)
	ds_write_b128 v32, v[48:51]
	s_waitcnt vmcnt(2)
	ds_write_b128 v33, v[52:55]
	;; [unrolled: 2-line block ×4, first 2 shown]
	s_waitcnt lgkmcnt(0)
	s_barrier
	buffer_gl0_inv
	ds_read_b128 v[48:51], v36
	ds_read_b128 v[52:55], v22
	s_waitcnt lgkmcnt(0)
	;;#ASMSTART
	v_dot2_f32_f16 v64, v48, v52, v64
	;;#ASMEND
	;;#ASMSTART
	v_dot2_f32_f16 v64, v49, v53, v64
	;;#ASMEND
	;;#ASMSTART
	v_dot2_f32_f16 v64, v50, v54, v64
	;;#ASMEND
	;;#ASMSTART
	v_dot2_f32_f16 v64, v51, v55, v64
	;;#ASMEND
	ds_read_b128 v[48:51], v36 offset:16
	ds_read_b128 v[52:55], v22 offset:16
	s_waitcnt lgkmcnt(0)
	;;#ASMSTART
	v_dot2_f32_f16 v64, v48, v52, v64
	;;#ASMEND
	;;#ASMSTART
	v_dot2_f32_f16 v64, v49, v53, v64
	;;#ASMEND
	;;#ASMSTART
	v_dot2_f32_f16 v64, v50, v54, v64
	;;#ASMEND
	;;#ASMSTART
	v_dot2_f32_f16 v64, v51, v55, v64
	;;#ASMEND
	ds_read_b128 v[48:51], v36 offset:32
	ds_read_b128 v[52:55], v22 offset:32
	s_waitcnt lgkmcnt(0)
	;;#ASMSTART
	v_dot2_f32_f16 v64, v48, v52, v64
	;;#ASMEND
	;;#ASMSTART
	v_dot2_f32_f16 v64, v49, v53, v64
	;;#ASMEND
	;;#ASMSTART
	v_dot2_f32_f16 v64, v50, v54, v64
	;;#ASMEND
	;;#ASMSTART
	v_dot2_f32_f16 v64, v51, v55, v64
	;;#ASMEND
	ds_read_b128 v[48:51], v36 offset:48
	ds_read_b128 v[52:55], v22 offset:48
	s_waitcnt lgkmcnt(0)
	;;#ASMSTART
	v_dot2_f32_f16 v64, v48, v52, v64
	;;#ASMEND
	;;#ASMSTART
	v_dot2_f32_f16 v64, v49, v53, v64
	;;#ASMEND
	;;#ASMSTART
	v_dot2_f32_f16 v64, v50, v54, v64
	;;#ASMEND
	;;#ASMSTART
	v_dot2_f32_f16 v64, v51, v55, v64
	;;#ASMEND
	ds_read_b128 v[48:51], v36 offset:64
	ds_read_b128 v[52:55], v22 offset:64
	s_waitcnt lgkmcnt(0)
	;;#ASMSTART
	v_dot2_f32_f16 v64, v48, v52, v64
	;;#ASMEND
	;;#ASMSTART
	v_dot2_f32_f16 v64, v49, v53, v64
	;;#ASMEND
	;;#ASMSTART
	v_dot2_f32_f16 v64, v50, v54, v64
	;;#ASMEND
	;;#ASMSTART
	v_dot2_f32_f16 v64, v51, v55, v64
	;;#ASMEND
	ds_read_b128 v[48:51], v36 offset:80
	ds_read_b128 v[52:55], v22 offset:80
	s_waitcnt lgkmcnt(0)
	;;#ASMSTART
	v_dot2_f32_f16 v64, v48, v52, v64
	;;#ASMEND
	;;#ASMSTART
	v_dot2_f32_f16 v64, v49, v53, v64
	;;#ASMEND
	;;#ASMSTART
	v_dot2_f32_f16 v64, v50, v54, v64
	;;#ASMEND
	;;#ASMSTART
	v_dot2_f32_f16 v64, v51, v55, v64
	;;#ASMEND
	ds_read_b128 v[48:51], v36 offset:96
	ds_read_b128 v[52:55], v22 offset:96
	s_waitcnt lgkmcnt(0)
	;;#ASMSTART
	v_dot2_f32_f16 v64, v48, v52, v64
	;;#ASMEND
	;;#ASMSTART
	v_dot2_f32_f16 v64, v49, v53, v64
	;;#ASMEND
	;; [unrolled: 3-line block ×3, first 2 shown]
	v_add_nc_u32_e32 v56, s8, v4
	;;#ASMSTART
	v_dot2_f32_f16 v64, v51, v55, v64
	;;#ASMEND
	ds_read_b128 v[48:51], v36 offset:112
	ds_read_b128 v[52:55], v22 offset:112
	s_waitcnt lgkmcnt(0)
	;;#ASMSTART
	v_dot2_f32_f16 v64, v48, v52, v64
	;;#ASMEND
	v_ashrrev_i32_e32 v57, 31, v56
	;;#ASMSTART
	v_dot2_f32_f16 v64, v49, v53, v64
	;;#ASMEND
	;;#ASMSTART
	v_dot2_f32_f16 v64, v50, v54, v64
	;;#ASMEND
	;; [unrolled: 3-line block ×3, first 2 shown]
	s_add_u32 s2, s3, s0
	v_lshlrev_b64 v[56:57], 1, v[56:57]
	s_addc_u32 s13, s12, s1
	v_add_co_u32 v49, s0, s2, v17
	v_add_co_u32 v50, s1, s2, v19
	v_add_co_u32 v56, vcc_lo, s34, v56
	v_add_co_ci_u32_e64 v57, null, s35, v57, vcc_lo
	v_add_co_u32 v48, vcc_lo, s2, v15
	v_add_co_u32 v51, s2, s2, v13
	global_load_ushort v65, v[56:57], off
	v_add_co_ci_u32_e64 v53, null, s13, v14, s2
	v_add_co_ci_u32_e64 v54, null, s13, v16, vcc_lo
	v_add_co_ci_u32_e64 v55, null, s13, v18, s0
	v_add_co_ci_u32_e64 v58, null, s13, v20, s1
	v_add_co_u32 v52, vcc_lo, v48, v43
	v_add_co_u32 v48, s2, v51, v43
	v_add_co_u32 v56, s0, v49, v43
	v_add_co_ci_u32_e64 v49, null, 0, v53, s2
	v_add_co_u32 v60, s1, v50, v43
	v_add_co_ci_u32_e64 v53, null, 0, v54, vcc_lo
	v_add_co_ci_u32_e64 v57, null, 0, v55, s0
	v_add_co_ci_u32_e64 v61, null, 0, v58, s1
	s_waitcnt vmcnt(0)
	s_barrier
	buffer_gl0_inv
	s_clause 0x3
	global_load_dwordx4 v[48:51], v[48:49], off
	global_load_dwordx4 v[52:55], v[52:53], off
	global_load_dwordx4 v[56:59], v[56:57], off
	global_load_dwordx4 v[60:63], v[60:61], off
	v_cmp_gt_i32_e32 vcc_lo, 32, v31
	v_cndmask_b32_e32 v3, v23, v31, vcc_lo
	v_cmp_gt_i32_e32 vcc_lo, 32, v30
	v_lshlrev_b32_e32 v3, 2, v3
	v_cvt_f32_f16_e32 v65, v65
	v_add_f32_e32 v64, v64, v65
	v_add_f32_e32 v65, 0x40051340, v64
	v_max_f32_e32 v65, v67, v65
	v_cndmask_b32_e32 v67, v23, v30, vcc_lo
	v_cmp_gt_i32_e32 vcc_lo, 32, v29
	ds_bpermute_b32 v3, v3, v65
	v_lshlrev_b32_e32 v67, 2, v67
	s_waitcnt lgkmcnt(0)
	v_max_f32_e32 v3, v3, v3
	v_max_f32_e32 v3, v65, v3
	ds_bpermute_b32 v65, v67, v3
	v_cndmask_b32_e32 v67, v23, v29, vcc_lo
	v_cmp_gt_i32_e32 vcc_lo, 32, v28
	v_lshlrev_b32_e32 v67, 2, v67
	s_waitcnt lgkmcnt(0)
	v_max_f32_e32 v65, v65, v65
	v_max_f32_e32 v3, v3, v65
	ds_bpermute_b32 v65, v67, v3
	v_cndmask_b32_e32 v67, v23, v28, vcc_lo
	v_cmp_gt_i32_e32 vcc_lo, 32, v27
	v_lshlrev_b32_e32 v67, 2, v67
	s_waitcnt lgkmcnt(0)
	v_max_f32_e32 v65, v65, v65
	v_max_f32_e32 v3, v3, v65
	ds_bpermute_b32 v65, v67, v3
	v_cndmask_b32_e32 v67, v23, v27, vcc_lo
	v_lshlrev_b32_e32 v67, 2, v67
	s_waitcnt lgkmcnt(0)
	v_max_f32_e32 v65, v65, v65
	v_max_f32_e32 v3, v3, v65
	ds_bpermute_b32 v65, v67, v3
	s_waitcnt lgkmcnt(0)
	v_max_f32_e32 v65, v65, v65
	v_max_f32_e32 v3, v3, v65
	v_sub_f32_e32 v64, v64, v3
	v_sub_f32_e32 v65, v66, v3
	v_mul_f32_e32 v66, 0x3fb8aa3b, v64
	v_mul_f32_e32 v67, 0x3fb8aa3b, v65
	v_cmp_ngt_f32_e32 vcc_lo, 0xc2ce8ed0, v64
	v_fma_f32 v68, 0x3fb8aa3b, v64, -v66
	v_rndne_f32_e32 v69, v66
	v_fma_f32 v70, 0x3fb8aa3b, v65, -v67
	v_rndne_f32_e32 v71, v67
	v_fmac_f32_e32 v68, 0x32a5705f, v64
	v_sub_f32_e32 v66, v66, v69
	v_cvt_i32_f32_e32 v69, v69
	v_fmac_f32_e32 v70, 0x32a5705f, v65
	v_sub_f32_e32 v67, v67, v71
	v_cvt_i32_f32_e32 v71, v71
	v_add_f32_e32 v66, v66, v68
	v_add_f32_e32 v67, v67, v70
	v_exp_f32_e32 v66, v66
	v_exp_f32_e32 v67, v67
	v_ldexp_f32 v66, v66, v69
	v_cndmask_b32_e32 v66, 0, v66, vcc_lo
	v_cmp_nlt_f32_e32 vcc_lo, 0x42b17218, v64
	v_cndmask_b32_e32 v64, 0x7f800000, v66, vcc_lo
	v_cmp_ngt_f32_e32 vcc_lo, 0xc2ce8ed0, v65
	v_cvt_f16_f32_e32 v66, v64
	ds_write_b16 v39, v66
	s_waitcnt vmcnt(3)
	ds_write_b128 v38, v[48:51]
	s_waitcnt vmcnt(2)
	ds_write_b128 v40, v[52:55]
	;; [unrolled: 2-line block ×4, first 2 shown]
	s_waitcnt lgkmcnt(0)
	s_barrier
	buffer_gl0_inv
	ds_read_b128 v[48:51], v37
	v_ldexp_f32 v52, v67, v71
	ds_read2_b32 v[56:57], v26 offset1:32
	v_cndmask_b32_e32 v52, 0, v52, vcc_lo
	v_cmp_nlt_f32_e32 vcc_lo, 0x42b17218, v65
	v_cndmask_b32_e32 v62, 0x7f800000, v52, vcc_lo
	ds_read2_b32 v[58:59], v26 offset0:64 offset1:96
	ds_read_b128 v[52:55], v37 offset:16
	v_cvt_f16_f32_e32 v60, v62
	s_waitcnt lgkmcnt(3)
	v_mul_u32_u24_sdwa v61, v48, v44 dst_sel:DWORD dst_unused:UNUSED_PAD src0_sel:WORD_0 src1_sel:DWORD
	v_mul_u32_u24_sdwa v48, v48, v44 dst_sel:DWORD dst_unused:UNUSED_PAD src0_sel:WORD_1 src1_sel:DWORD
	v_mul_u32_u24_sdwa v63, v60, v44 dst_sel:DWORD dst_unused:UNUSED_PAD src0_sel:WORD_0 src1_sel:DWORD
	s_waitcnt lgkmcnt(2)
	v_pk_mul_f16 v56, v56, v61
	ds_read2_b32 v[60:61], v26 offset0:128 offset1:160
	v_pk_fma_f16 v24, v24, v63, v56
	v_mul_u32_u24_sdwa v63, v49, v44 dst_sel:DWORD dst_unused:UNUSED_PAD src0_sel:WORD_0 src1_sel:DWORD
	v_pk_fma_f16 v24, v57, v48, v24
	ds_read2_b32 v[56:57], v26 offset0:192 offset1:224
	v_mul_u32_u24_sdwa v48, v49, v44 dst_sel:DWORD dst_unused:UNUSED_PAD src0_sel:WORD_1 src1_sel:DWORD
	s_waitcnt lgkmcnt(3)
	v_pk_fma_f16 v24, v58, v63, v24
	v_mul_u32_u24_sdwa v58, v50, v44 dst_sel:DWORD dst_unused:UNUSED_PAD src0_sel:WORD_0 src1_sel:DWORD
	v_mul_u32_u24_sdwa v50, v50, v44 dst_sel:DWORD dst_unused:UNUSED_PAD src0_sel:WORD_1 src1_sel:DWORD
	s_waitcnt lgkmcnt(2)
	v_mul_u32_u24_sdwa v63, v55, v44 dst_sel:DWORD dst_unused:UNUSED_PAD src0_sel:WORD_1 src1_sel:DWORD
	v_pk_fma_f16 v24, v59, v48, v24
	ds_read2_b32 v[48:49], v45 offset1:32
	s_waitcnt lgkmcnt(2)
	v_pk_fma_f16 v24, v60, v58, v24
	v_mul_u32_u24_sdwa v60, v51, v44 dst_sel:DWORD dst_unused:UNUSED_PAD src0_sel:WORD_0 src1_sel:DWORD
	ds_read2_b32 v[58:59], v45 offset0:64 offset1:96
	v_pk_fma_f16 v24, v61, v50, v24
	v_mul_u32_u24_sdwa v50, v51, v44 dst_sel:DWORD dst_unused:UNUSED_PAD src0_sel:WORD_1 src1_sel:DWORD
	v_mul_u32_u24_sdwa v51, v52, v44 dst_sel:DWORD dst_unused:UNUSED_PAD src0_sel:WORD_0 src1_sel:DWORD
	s_waitcnt lgkmcnt(2)
	v_pk_fma_f16 v24, v56, v60, v24
	ds_read2_b32 v[60:61], v45 offset0:192 offset1:224
	v_pk_fma_f16 v24, v57, v50, v24
	ds_read2_b32 v[56:57], v45 offset0:128 offset1:160
	v_mul_u32_u24_sdwa v50, v52, v44 dst_sel:DWORD dst_unused:UNUSED_PAD src0_sel:WORD_1 src1_sel:DWORD
	v_mul_u32_u24_sdwa v52, v53, v44 dst_sel:DWORD dst_unused:UNUSED_PAD src0_sel:WORD_1 src1_sel:DWORD
	s_waitcnt lgkmcnt(3)
	v_pk_fma_f16 v24, v48, v51, v24
	v_mul_u32_u24_sdwa v48, v53, v44 dst_sel:DWORD dst_unused:UNUSED_PAD src0_sel:WORD_0 src1_sel:DWORD
	v_mul_u32_u24_sdwa v53, v54, v44 dst_sel:DWORD dst_unused:UNUSED_PAD src0_sel:WORD_0 src1_sel:DWORD
	v_pk_fma_f16 v24, v49, v50, v24
	s_waitcnt lgkmcnt(2)
	v_pk_fma_f16 v24, v58, v48, v24
	ds_read_b128 v[48:51], v37 offset:32
	v_pk_fma_f16 v24, v59, v52, v24
	ds_read2_b32 v[58:59], v46 offset1:32
	v_mul_u32_u24_sdwa v52, v54, v44 dst_sel:DWORD dst_unused:UNUSED_PAD src0_sel:WORD_1 src1_sel:DWORD
	s_waitcnt lgkmcnt(2)
	v_pk_fma_f16 v24, v56, v53, v24
	v_mul_u32_u24_sdwa v53, v55, v44 dst_sel:DWORD dst_unused:UNUSED_PAD src0_sel:WORD_0 src1_sel:DWORD
	v_pk_fma_f16 v24, v57, v52, v24
	ds_read2_b32 v[56:57], v46 offset0:64 offset1:96
	v_pk_fma_f16 v24, v60, v53, v24
	ds_read_b128 v[52:55], v37 offset:48
	s_waitcnt lgkmcnt(3)
	v_mul_u32_u24_sdwa v65, v48, v44 dst_sel:DWORD dst_unused:UNUSED_PAD src0_sel:WORD_0 src1_sel:DWORD
	v_mul_u32_u24_sdwa v48, v48, v44 dst_sel:DWORD dst_unused:UNUSED_PAD src0_sel:WORD_1 src1_sel:DWORD
	v_pk_fma_f16 v24, v61, v63, v24
	ds_read2_b32 v[60:61], v46 offset0:128 offset1:160
	v_mul_u32_u24_sdwa v63, v49, v44 dst_sel:DWORD dst_unused:UNUSED_PAD src0_sel:WORD_0 src1_sel:DWORD
	s_waitcnt lgkmcnt(3)
	v_pk_fma_f16 v24, v58, v65, v24
	v_pk_fma_f16 v24, v59, v48, v24
	ds_read2_b32 v[58:59], v46 offset0:192 offset1:224
	v_mul_u32_u24_sdwa v48, v49, v44 dst_sel:DWORD dst_unused:UNUSED_PAD src0_sel:WORD_1 src1_sel:DWORD
	s_waitcnt lgkmcnt(3)
	v_pk_fma_f16 v24, v56, v63, v24
	v_mul_u32_u24_sdwa v56, v50, v44 dst_sel:DWORD dst_unused:UNUSED_PAD src0_sel:WORD_0 src1_sel:DWORD
	v_mul_u32_u24_sdwa v50, v50, v44 dst_sel:DWORD dst_unused:UNUSED_PAD src0_sel:WORD_1 src1_sel:DWORD
	v_pk_fma_f16 v24, v57, v48, v24
	ds_read2_b32 v[48:49], v47 offset1:32
	s_waitcnt lgkmcnt(2)
	v_pk_fma_f16 v24, v60, v56, v24
	v_mul_u32_u24_sdwa v60, v51, v44 dst_sel:DWORD dst_unused:UNUSED_PAD src0_sel:WORD_0 src1_sel:DWORD
	ds_read2_b32 v[56:57], v47 offset0:64 offset1:96
	v_pk_fma_f16 v24, v61, v50, v24
	v_mul_u32_u24_sdwa v50, v51, v44 dst_sel:DWORD dst_unused:UNUSED_PAD src0_sel:WORD_1 src1_sel:DWORD
	s_waitcnt lgkmcnt(2)
	v_pk_fma_f16 v24, v58, v60, v24
	v_mul_u32_u24_sdwa v58, v52, v44 dst_sel:DWORD dst_unused:UNUSED_PAD src0_sel:WORD_0 src1_sel:DWORD
	v_mul_u32_u24_sdwa v52, v52, v44 dst_sel:DWORD dst_unused:UNUSED_PAD src0_sel:WORD_1 src1_sel:DWORD
	v_pk_fma_f16 v24, v59, v50, v24
	ds_read2_b32 v[50:51], v47 offset0:128 offset1:160
	s_waitcnt lgkmcnt(2)
	v_pk_fma_f16 v24, v48, v58, v24
	v_mul_u32_u24_sdwa v58, v53, v44 dst_sel:DWORD dst_unused:UNUSED_PAD src0_sel:WORD_0 src1_sel:DWORD
	v_pk_fma_f16 v24, v49, v52, v24
	ds_read2_b32 v[48:49], v47 offset0:192 offset1:224
	v_mul_u32_u24_sdwa v52, v53, v44 dst_sel:DWORD dst_unused:UNUSED_PAD src0_sel:WORD_1 src1_sel:DWORD
	s_waitcnt lgkmcnt(0)
	s_barrier
	v_pk_fma_f16 v24, v56, v58, v24
	buffer_gl0_inv
	s_load_dword s0, s[6:7], 0x4
	v_mul_u32_u24_sdwa v53, v54, v44 dst_sel:DWORD dst_unused:UNUSED_PAD src0_sel:WORD_0 src1_sel:DWORD
	v_pk_fma_f16 v24, v57, v52, v24
	v_mul_u32_u24_sdwa v52, v54, v44 dst_sel:DWORD dst_unused:UNUSED_PAD src0_sel:WORD_1 src1_sel:DWORD
	v_pk_fma_f16 v24, v50, v53, v24
	v_mul_u32_u24_sdwa v53, v55, v44 dst_sel:DWORD dst_unused:UNUSED_PAD src0_sel:WORD_0 src1_sel:DWORD
	v_mov_b32_e32 v50, v1
	v_mov_b32_e32 v1, v64
	v_pk_fma_f16 v24, v51, v52, v24
	v_mul_u32_u24_sdwa v51, v55, v44 dst_sel:DWORD dst_unused:UNUSED_PAD src0_sel:WORD_1 src1_sel:DWORD
	v_fmac_f32_e32 v1, v50, v62
	v_pk_fma_f16 v24, v48, v53, v24
	s_waitcnt lgkmcnt(0)
	s_lshl_b32 s0, s0, 5
	s_add_i32 s8, s0, s8
	v_pk_fma_f16 v24, v49, v51, v24
	s_cmp_ge_i32 s8, s30
	s_cbranch_scc0 .LBB49_9
; %bb.10:
	v_mov_b32_e32 v4, v23
.LBB49_11:
	v_lshlrev_b32_e32 v7, 1, v0
	v_cmp_lt_i32_e32 vcc_lo, v31, v25
	s_cmp_lg_u64 s[16:17], 0
	s_cselect_b32 s0, -1, 0
	s_cmp_eq_u32 s28, 0
	v_cndmask_b32_e32 v5, v4, v31, vcc_lo
	v_cmp_lt_i32_e32 vcc_lo, v30, v25
	s_cselect_b32 s1, -1, 0
	s_and_b32 s0, s1, s0
	v_lshlrev_b32_e32 v5, 2, v5
	v_cndmask_b32_e32 v6, v4, v30, vcc_lo
	v_cmp_lt_i32_e32 vcc_lo, v29, v25
	ds_bpermute_b32 v5, v5, v1
	v_lshlrev_b32_e32 v6, 2, v6
	s_waitcnt lgkmcnt(0)
	v_add_f32_e32 v1, v1, v5
	ds_bpermute_b32 v5, v6, v1
	v_cndmask_b32_e32 v6, v4, v29, vcc_lo
	v_cmp_lt_i32_e32 vcc_lo, v28, v25
	v_lshlrev_b32_e32 v6, 2, v6
	s_waitcnt lgkmcnt(0)
	v_add_f32_e32 v1, v1, v5
	ds_bpermute_b32 v5, v6, v1
	v_cndmask_b32_e32 v6, v4, v28, vcc_lo
	v_cmp_lt_i32_e32 vcc_lo, v27, v25
	v_lshlrev_b32_e32 v6, 2, v6
	v_cndmask_b32_e32 v4, v4, v27, vcc_lo
	s_and_b32 vcc_lo, exec_lo, s0
	v_lshlrev_b32_e32 v4, 2, v4
	s_waitcnt lgkmcnt(0)
	v_add_f32_e32 v1, v1, v5
	ds_bpermute_b32 v5, v6, v1
	s_waitcnt lgkmcnt(0)
	v_add_f32_e32 v1, v1, v5
	v_add_nc_u32_e32 v5, s33, v21
	ds_bpermute_b32 v4, v4, v1
	s_waitcnt lgkmcnt(0)
	v_add_f32_e32 v4, v1, v4
	s_cbranch_vccz .LBB49_13
; %bb.12:
	v_ashrrev_i32_e32 v6, 31, v5
	v_lshlrev_b64 v[8:9], 2, v[5:6]
	v_max_f32_e32 v6, v3, v3
	v_add_co_u32 v8, vcc_lo, s16, v8
	v_add_co_ci_u32_e64 v9, null, s17, v9, vcc_lo
	global_load_dword v1, v[8:9], off
	s_waitcnt vmcnt(0)
	v_max_f32_e32 v8, v1, v1
	v_max_f32_e32 v6, v6, v8
	v_sub_f32_e32 v3, v3, v6
	v_sub_f32_e32 v1, v1, v6
	v_mul_f32_e32 v8, 0x3fb8aa3b, v3
	v_mul_f32_e32 v9, 0x3fb8aa3b, v1
	v_cmp_ngt_f32_e32 vcc_lo, 0xc2ce8ed0, v3
	v_fma_f32 v10, 0x3fb8aa3b, v3, -v8
	v_rndne_f32_e32 v11, v8
	v_fma_f32 v12, 0x3fb8aa3b, v1, -v9
	v_rndne_f32_e32 v13, v9
	v_fmac_f32_e32 v10, 0x32a5705f, v3
	v_sub_f32_e32 v8, v8, v11
	v_fmac_f32_e32 v12, 0x32a5705f, v1
	v_sub_f32_e32 v9, v9, v13
	v_add_f32_e32 v8, v8, v10
	v_cvt_i32_f32_e32 v10, v11
	v_add_f32_e32 v9, v9, v12
	v_cvt_i32_f32_e32 v11, v13
	v_exp_f32_e32 v8, v8
	v_exp_f32_e32 v9, v9
	v_ldexp_f32 v8, v8, v10
	v_ldexp_f32 v9, v9, v11
	v_cndmask_b32_e32 v8, 0, v8, vcc_lo
	v_cmp_ngt_f32_e32 vcc_lo, 0xc2ce8ed0, v1
	v_cndmask_b32_e32 v9, 0, v9, vcc_lo
	v_cmp_nlt_f32_e32 vcc_lo, 0x42b17218, v3
	v_cndmask_b32_e32 v3, 0x7f800000, v8, vcc_lo
	v_cmp_nlt_f32_e32 vcc_lo, 0x42b17218, v1
	v_mov_b32_e32 v8, 0x10001
	v_cndmask_b32_e32 v1, 0x7f800000, v9, vcc_lo
	v_cvt_f16_f32_e32 v9, v3
	v_fmac_f32_e32 v1, v4, v3
	v_mul_u32_u24_sdwa v3, v9, v8 dst_sel:DWORD dst_unused:UNUSED_PAD src0_sel:WORD_0 src1_sel:DWORD
	v_mov_b32_e32 v4, v1
	v_pk_mul_f16 v24, v24, v3
	v_mov_b32_e32 v3, v6
.LBB49_13:
	v_div_scale_f32 v6, null, v4, v4, 1.0
	s_load_dword s0, s[4:5], 0xd4
	v_div_scale_f32 v9, vcc_lo, 1.0, v4, 1.0
	v_rcp_f32_e32 v8, v6
	v_fma_f32 v1, -v6, v8, 1.0
	v_fmac_f32_e32 v8, v1, v8
	v_mad_u64_u32 v[1:2], null, s29, s26, v[2:3]
	s_waitcnt lgkmcnt(0)
	s_cmp_lg_u32 s0, 1
	s_cselect_b32 s1, -1, 0
	v_mul_f32_e32 v10, v9, v8
	v_mad_u64_u32 v[1:2], null, v1, s27, v[5:6]
	v_fma_f32 v11, -v6, v10, v9
	v_fmac_f32_e32 v10, v11, v8
	v_mad_u64_u32 v[1:2], null, s0, v1, s[28:29]
	v_fma_f32 v5, -v6, v10, v9
	v_mov_b32_e32 v6, 0
	v_div_fmas_f32 v2, v5, v8, v10
	v_lshl_add_u32 v5, v1, 6, v7
	v_cvt_f32_f16_e32 v7, v24
	v_cvt_f32_f16_sdwa v8, v24 dst_sel:DWORD dst_unused:UNUSED_PAD src0_sel:WORD_1
	v_cmp_eq_u32_e32 vcc_lo, 0, v0
	v_div_fixup_f32 v2, v2, v4, 1.0
	v_lshlrev_b64 v[5:6], 2, v[5:6]
	v_cndmask_b32_e64 v2, v2, 1.0, s1
	v_add_co_u32 v5, s0, s20, v5
	v_add_co_ci_u32_e64 v6, null, s21, v6, s0
	v_mul_f32_e32 v7, v2, v7
	v_mul_f32_e32 v8, v2, v8
	s_and_b32 s0, vcc_lo, s1
	global_store_dwordx2 v[5:6], v[7:8], off
	s_and_saveexec_b32 s1, s0
	s_cbranch_execz .LBB49_15
; %bb.14:
	v_ashrrev_i32_e32 v2, 31, v1
	v_lshlrev_b64 v[0:1], 3, v[1:2]
	v_add_co_u32 v0, vcc_lo, s22, v0
	v_add_co_ci_u32_e64 v1, null, s23, v1, vcc_lo
	global_store_dwordx2 v[0:1], v[3:4], off
.LBB49_15:
	s_endpgm
	.section	.rodata,"a",@progbits
	.p2align	6, 0x0
	.amdhsa_kernel _ZL15flash_attn_tileILi64ELi64ELi1ELi2ELb0EEvPKcS1_S1_S1_S1_PKiPfP15HIP_vector_typeIfLj2EEffffjfiS5_IjLj3EEiiiiiiiiiiiliiliiiiil
		.amdhsa_group_segment_fixed_size 4992
		.amdhsa_private_segment_fixed_size 0
		.amdhsa_kernarg_size 464
		.amdhsa_user_sgpr_count 6
		.amdhsa_user_sgpr_private_segment_buffer 1
		.amdhsa_user_sgpr_dispatch_ptr 0
		.amdhsa_user_sgpr_queue_ptr 0
		.amdhsa_user_sgpr_kernarg_segment_ptr 1
		.amdhsa_user_sgpr_dispatch_id 0
		.amdhsa_user_sgpr_flat_scratch_init 0
		.amdhsa_user_sgpr_private_segment_size 0
		.amdhsa_wavefront_size32 1
		.amdhsa_uses_dynamic_stack 0
		.amdhsa_system_sgpr_private_segment_wavefront_offset 0
		.amdhsa_system_sgpr_workgroup_id_x 1
		.amdhsa_system_sgpr_workgroup_id_y 1
		.amdhsa_system_sgpr_workgroup_id_z 1
		.amdhsa_system_sgpr_workgroup_info 0
		.amdhsa_system_vgpr_workitem_id 1
		.amdhsa_next_free_vgpr 72
		.amdhsa_next_free_sgpr 40
		.amdhsa_reserve_vcc 1
		.amdhsa_reserve_flat_scratch 0
		.amdhsa_float_round_mode_32 0
		.amdhsa_float_round_mode_16_64 0
		.amdhsa_float_denorm_mode_32 3
		.amdhsa_float_denorm_mode_16_64 3
		.amdhsa_dx10_clamp 1
		.amdhsa_ieee_mode 1
		.amdhsa_fp16_overflow 0
		.amdhsa_workgroup_processor_mode 1
		.amdhsa_memory_ordered 1
		.amdhsa_forward_progress 1
		.amdhsa_shared_vgpr_count 0
		.amdhsa_exception_fp_ieee_invalid_op 0
		.amdhsa_exception_fp_denorm_src 0
		.amdhsa_exception_fp_ieee_div_zero 0
		.amdhsa_exception_fp_ieee_overflow 0
		.amdhsa_exception_fp_ieee_underflow 0
		.amdhsa_exception_fp_ieee_inexact 0
		.amdhsa_exception_int_div_zero 0
	.end_amdhsa_kernel
	.section	.text._ZL15flash_attn_tileILi64ELi64ELi1ELi2ELb0EEvPKcS1_S1_S1_S1_PKiPfP15HIP_vector_typeIfLj2EEffffjfiS5_IjLj3EEiiiiiiiiiiiliiliiiiil,"axG",@progbits,_ZL15flash_attn_tileILi64ELi64ELi1ELi2ELb0EEvPKcS1_S1_S1_S1_PKiPfP15HIP_vector_typeIfLj2EEffffjfiS5_IjLj3EEiiiiiiiiiiiliiliiiiil,comdat
.Lfunc_end49:
	.size	_ZL15flash_attn_tileILi64ELi64ELi1ELi2ELb0EEvPKcS1_S1_S1_S1_PKiPfP15HIP_vector_typeIfLj2EEffffjfiS5_IjLj3EEiiiiiiiiiiiliiliiiiil, .Lfunc_end49-_ZL15flash_attn_tileILi64ELi64ELi1ELi2ELb0EEvPKcS1_S1_S1_S1_PKiPfP15HIP_vector_typeIfLj2EEffffjfiS5_IjLj3EEiiiiiiiiiiiliiliiiiil
                                        ; -- End function
	.set _ZL15flash_attn_tileILi64ELi64ELi1ELi2ELb0EEvPKcS1_S1_S1_S1_PKiPfP15HIP_vector_typeIfLj2EEffffjfiS5_IjLj3EEiiiiiiiiiiiliiliiiiil.num_vgpr, 72
	.set _ZL15flash_attn_tileILi64ELi64ELi1ELi2ELb0EEvPKcS1_S1_S1_S1_PKiPfP15HIP_vector_typeIfLj2EEffffjfiS5_IjLj3EEiiiiiiiiiiiliiliiiiil.num_agpr, 0
	.set _ZL15flash_attn_tileILi64ELi64ELi1ELi2ELb0EEvPKcS1_S1_S1_S1_PKiPfP15HIP_vector_typeIfLj2EEffffjfiS5_IjLj3EEiiiiiiiiiiiliiliiiiil.numbered_sgpr, 40
	.set _ZL15flash_attn_tileILi64ELi64ELi1ELi2ELb0EEvPKcS1_S1_S1_S1_PKiPfP15HIP_vector_typeIfLj2EEffffjfiS5_IjLj3EEiiiiiiiiiiiliiliiiiil.num_named_barrier, 0
	.set _ZL15flash_attn_tileILi64ELi64ELi1ELi2ELb0EEvPKcS1_S1_S1_S1_PKiPfP15HIP_vector_typeIfLj2EEffffjfiS5_IjLj3EEiiiiiiiiiiiliiliiiiil.private_seg_size, 0
	.set _ZL15flash_attn_tileILi64ELi64ELi1ELi2ELb0EEvPKcS1_S1_S1_S1_PKiPfP15HIP_vector_typeIfLj2EEffffjfiS5_IjLj3EEiiiiiiiiiiiliiliiiiil.uses_vcc, 1
	.set _ZL15flash_attn_tileILi64ELi64ELi1ELi2ELb0EEvPKcS1_S1_S1_S1_PKiPfP15HIP_vector_typeIfLj2EEffffjfiS5_IjLj3EEiiiiiiiiiiiliiliiiiil.uses_flat_scratch, 0
	.set _ZL15flash_attn_tileILi64ELi64ELi1ELi2ELb0EEvPKcS1_S1_S1_S1_PKiPfP15HIP_vector_typeIfLj2EEffffjfiS5_IjLj3EEiiiiiiiiiiiliiliiiiil.has_dyn_sized_stack, 0
	.set _ZL15flash_attn_tileILi64ELi64ELi1ELi2ELb0EEvPKcS1_S1_S1_S1_PKiPfP15HIP_vector_typeIfLj2EEffffjfiS5_IjLj3EEiiiiiiiiiiiliiliiiiil.has_recursion, 0
	.set _ZL15flash_attn_tileILi64ELi64ELi1ELi2ELb0EEvPKcS1_S1_S1_S1_PKiPfP15HIP_vector_typeIfLj2EEffffjfiS5_IjLj3EEiiiiiiiiiiiliiliiiiil.has_indirect_call, 0
	.section	.AMDGPU.csdata,"",@progbits
; Kernel info:
; codeLenInByte = 4708
; TotalNumSgprs: 42
; NumVgprs: 72
; ScratchSize: 0
; MemoryBound: 0
; FloatMode: 240
; IeeeMode: 1
; LDSByteSize: 4992 bytes/workgroup (compile time only)
; SGPRBlocks: 0
; VGPRBlocks: 8
; NumSGPRsForWavesPerEU: 42
; NumVGPRsForWavesPerEU: 72
; Occupancy: 12
; WaveLimiterHint : 1
; COMPUTE_PGM_RSRC2:SCRATCH_EN: 0
; COMPUTE_PGM_RSRC2:USER_SGPR: 6
; COMPUTE_PGM_RSRC2:TRAP_HANDLER: 0
; COMPUTE_PGM_RSRC2:TGID_X_EN: 1
; COMPUTE_PGM_RSRC2:TGID_Y_EN: 1
; COMPUTE_PGM_RSRC2:TGID_Z_EN: 1
; COMPUTE_PGM_RSRC2:TIDIG_COMP_CNT: 1
	.section	.text._ZL33flash_attn_stream_k_fixup_uniformILi64ELi1ELi2EEvPfPK15HIP_vector_typeIfLj2EEiiiiiiS1_IjLj3EES5_S5_,"axG",@progbits,_ZL33flash_attn_stream_k_fixup_uniformILi64ELi1ELi2EEvPfPK15HIP_vector_typeIfLj2EEiiiiiiS1_IjLj3EES5_S5_,comdat
	.globl	_ZL33flash_attn_stream_k_fixup_uniformILi64ELi1ELi2EEvPfPK15HIP_vector_typeIfLj2EEiiiiiiS1_IjLj3EES5_S5_ ; -- Begin function _ZL33flash_attn_stream_k_fixup_uniformILi64ELi1ELi2EEvPfPK15HIP_vector_typeIfLj2EEiiiiiiS1_IjLj3EES5_S5_
	.p2align	8
	.type	_ZL33flash_attn_stream_k_fixup_uniformILi64ELi1ELi2EEvPfPK15HIP_vector_typeIfLj2EEiiiiiiS1_IjLj3EES5_S5_,@function
_ZL33flash_attn_stream_k_fixup_uniformILi64ELi1ELi2EEvPfPK15HIP_vector_typeIfLj2EEiiiiiiS1_IjLj3EES5_S5_: ; @_ZL33flash_attn_stream_k_fixup_uniformILi64ELi1ELi2EEvPfPK15HIP_vector_typeIfLj2EEiiiiiiS1_IjLj3EES5_S5_
; %bb.0:
	s_clause 0x1
	s_load_dwordx8 s[12:19], s[4:5], 0x1c
	s_load_dwordx4 s[0:3], s[4:5], 0x3c
	s_waitcnt lgkmcnt(0)
	s_mul_hi_u32 s9, s15, s6
	s_add_i32 s9, s6, s9
	s_lshr_b32 s9, s9, s16
	s_mul_i32 s10, s9, s17
	s_sub_i32 s16, s6, s10
	s_load_dwordx2 s[10:11], s[4:5], 0x10
	s_mul_hi_u32 s15, s16, s18
	s_add_i32 s15, s16, s15
	s_lshr_b32 s15, s15, s19
	s_mul_i32 s0, s15, s0
	s_sub_i32 s0, s16, s0
	s_mul_hi_u32 s1, s0, s1
	s_add_i32 s1, s0, s1
	s_lshr_b32 s1, s1, s2
	s_mul_i32 s2, s1, s3
	s_lshl_b32 s17, s1, 1
	s_sub_i32 s16, s0, s2
	s_add_i32 s16, s16, s7
	s_waitcnt lgkmcnt(0)
	s_cmp_lt_i32 s16, s10
	s_cselect_b32 s0, -1, 0
	s_add_i32 s17, s17, s8
	s_cmp_lt_i32 s17, s13
	s_cselect_b32 s1, -1, 0
	s_and_b32 s0, s0, s1
	s_andn2_b32 vcc_lo, exec_lo, s0
	s_cbranch_vccnz .LBB50_6
; %bb.1:
	s_mul_i32 s9, s9, s10
	s_load_dwordx4 s[0:3], s[4:5], 0x0
	s_mul_i32 s15, s15, s13
	s_add_i32 s4, s16, s9
	s_add_i32 s5, s17, s15
	s_mul_i32 s4, s4, s11
	s_add_i32 s5, s5, s4
	s_mul_i32 s4, s14, s6
	v_lshl_or_b32 v1, s5, 6, v0
	s_add_i32 s10, s4, s14
	v_ashrrev_i32_e32 v2, 31, v1
	v_lshlrev_b64 v[1:2], 2, v[1:2]
	s_waitcnt lgkmcnt(0)
	v_add_co_u32 v1, vcc_lo, s0, v1
	v_add_co_ci_u32_e64 v2, null, s1, v2, vcc_lo
	s_add_i32 s0, s7, s10
	s_lshl_b32 s0, s0, 1
	global_load_dword v5, v[1:2], off
	s_add_i32 s0, s0, s8
	s_add_i32 s0, s0, -2
	s_ashr_i32 s1, s0, 31
	s_lshl_b64 s[0:1], s[0:1], 3
	s_add_u32 s0, s2, s0
	s_addc_u32 s1, s3, s1
	s_add_i32 s5, s10, -2
	s_load_dword s11, s[0:1], 0x4
	s_cmp_lt_i32 s5, s4
	s_cbranch_scc1 .LBB50_4
; %bb.2:
	s_lshl_b32 s16, s12, 3
	s_load_dword s13, s[0:1], 0x0
	s_ashr_i32 s17, s16, 31
	s_waitcnt lgkmcnt(0)
	v_mov_b32_e32 v6, s11
	s_lshl_b64 s[0:1], s[16:17], 2
	s_add_u32 s5, s2, s0
	s_addc_u32 s9, s3, s1
	s_add_i32 s6, s6, 1
	s_lshl_b32 s0, s8, 6
	s_lshl_b32 s1, s7, 7
	s_mul_i32 s6, s14, s6
	s_add_i32 s0, s0, s1
	s_lshl_b32 s1, s6, 7
	s_add_i32 s6, s10, -1
	s_add_i32 s0, s0, s1
	s_add_i32 s1, s7, s12
	v_or_b32_e32 v0, s0, v0
	s_add_i32 s1, s1, s10
	s_lshl_b32 s0, s1, 1
	v_add_nc_u32_e32 v3, 0xffffff00, v0
	v_mov_b32_e32 v0, s13
	s_add_i32 s0, s8, s0
	s_add_i32 s0, s0, -4
.LBB50_3:                               ; =>This Inner Loop Header: Depth=1
	v_ashrrev_i32_e32 v4, 31, v3
	s_ashr_i32 s1, s0, 31
	s_lshl_b64 s[10:11], s[0:1], 3
	s_add_u32 s10, s2, s10
	v_lshlrev_b64 v[7:8], 2, v[3:4]
	s_addc_u32 s11, s3, s11
	v_add_nc_u32_e32 v3, 0xffffff80, v3
	s_add_i32 s6, s6, -1
	s_add_i32 s0, s0, -2
	s_cmp_le_i32 s6, s4
	v_add_co_u32 v7, vcc_lo, s5, v7
	v_add_co_ci_u32_e64 v8, null, s9, v8, vcc_lo
	s_load_dwordx2 s[10:11], s[10:11], 0x0
	global_load_dword v4, v[7:8], off
	v_max_f32_e32 v7, v0, v0
	s_waitcnt lgkmcnt(0)
	v_max_f32_e64 v8, s10, s10
	v_max_f32_e32 v7, v7, v8
	v_sub_f32_e32 v8, s10, v7
	v_sub_f32_e32 v0, v0, v7
	v_mul_f32_e32 v9, 0x3fb8aa3b, v8
	v_mul_f32_e32 v12, 0x3fb8aa3b, v0
	v_cmp_ngt_f32_e32 vcc_lo, 0xc2ce8ed0, v8
	v_fma_f32 v10, 0x3fb8aa3b, v8, -v9
	v_rndne_f32_e32 v11, v9
	v_fma_f32 v13, 0x3fb8aa3b, v0, -v12
	v_rndne_f32_e32 v14, v12
	v_fmac_f32_e32 v10, 0x32a5705f, v8
	v_sub_f32_e32 v9, v9, v11
	v_fmac_f32_e32 v13, 0x32a5705f, v0
	v_cvt_i32_f32_e32 v11, v11
	v_add_f32_e32 v9, v9, v10
	v_sub_f32_e32 v10, v12, v14
	v_exp_f32_e32 v9, v9
	v_add_f32_e32 v10, v10, v13
	v_exp_f32_e32 v10, v10
	v_ldexp_f32 v9, v9, v11
	v_cvt_i32_f32_e32 v11, v14
	v_cndmask_b32_e32 v9, 0, v9, vcc_lo
	v_cmp_nlt_f32_e32 vcc_lo, 0x42b17218, v8
	v_ldexp_f32 v10, v10, v11
	v_mov_b32_e32 v11, v6
	v_cndmask_b32_e32 v9, 0x7f800000, v9, vcc_lo
	v_cmp_ngt_f32_e32 vcc_lo, 0xc2ce8ed0, v0
	v_cndmask_b32_e32 v10, 0, v10, vcc_lo
	v_cmp_le_f32_e32 vcc_lo, 0xc1a00000, v8
	v_cndmask_b32_e32 v8, 0, v9, vcc_lo
	v_cmp_nlt_f32_e32 vcc_lo, 0x42b17218, v0
	s_waitcnt vmcnt(1)
	v_mov_b32_e32 v9, v5
	v_cndmask_b32_e32 v5, 0x7f800000, v10, vcc_lo
	v_mul_f32_e32 v10, s11, v8
	v_cmp_le_f32_e32 vcc_lo, 0xc1a00000, v0
	v_mov_b32_e32 v0, v7
	v_mov_b32_e32 v6, v10
	v_cndmask_b32_e32 v12, 0, v5, vcc_lo
	v_fmac_f32_e32 v6, v11, v12
	s_waitcnt vmcnt(0)
	v_mul_f32_e32 v5, v4, v8
	v_fmac_f32_e32 v5, v9, v12
	s_cbranch_scc0 .LBB50_3
	s_branch .LBB50_5
.LBB50_4:
	s_waitcnt lgkmcnt(0)
	v_mov_b32_e32 v6, s11
.LBB50_5:
	s_waitcnt vmcnt(0)
	v_div_scale_f32 v0, null, v6, v6, v5
	v_rcp_f32_e32 v3, v0
	v_fma_f32 v4, -v0, v3, 1.0
	v_fmac_f32_e32 v3, v4, v3
	v_div_scale_f32 v4, vcc_lo, v5, v6, v5
	v_mul_f32_e32 v7, v4, v3
	v_fma_f32 v8, -v0, v7, v4
	v_fmac_f32_e32 v7, v8, v3
	v_fma_f32 v0, -v0, v7, v4
	v_div_fmas_f32 v0, v0, v3, v7
	v_div_fixup_f32 v0, v0, v6, v5
	global_store_dword v[1:2], v0, off
.LBB50_6:
	s_endpgm
	.section	.rodata,"a",@progbits
	.p2align	6, 0x0
	.amdhsa_kernel _ZL33flash_attn_stream_k_fixup_uniformILi64ELi1ELi2EEvPfPK15HIP_vector_typeIfLj2EEiiiiiiS1_IjLj3EES5_S5_
		.amdhsa_group_segment_fixed_size 0
		.amdhsa_private_segment_fixed_size 0
		.amdhsa_kernarg_size 76
		.amdhsa_user_sgpr_count 6
		.amdhsa_user_sgpr_private_segment_buffer 1
		.amdhsa_user_sgpr_dispatch_ptr 0
		.amdhsa_user_sgpr_queue_ptr 0
		.amdhsa_user_sgpr_kernarg_segment_ptr 1
		.amdhsa_user_sgpr_dispatch_id 0
		.amdhsa_user_sgpr_flat_scratch_init 0
		.amdhsa_user_sgpr_private_segment_size 0
		.amdhsa_wavefront_size32 1
		.amdhsa_uses_dynamic_stack 0
		.amdhsa_system_sgpr_private_segment_wavefront_offset 0
		.amdhsa_system_sgpr_workgroup_id_x 1
		.amdhsa_system_sgpr_workgroup_id_y 1
		.amdhsa_system_sgpr_workgroup_id_z 1
		.amdhsa_system_sgpr_workgroup_info 0
		.amdhsa_system_vgpr_workitem_id 0
		.amdhsa_next_free_vgpr 15
		.amdhsa_next_free_sgpr 20
		.amdhsa_reserve_vcc 1
		.amdhsa_reserve_flat_scratch 0
		.amdhsa_float_round_mode_32 0
		.amdhsa_float_round_mode_16_64 0
		.amdhsa_float_denorm_mode_32 3
		.amdhsa_float_denorm_mode_16_64 3
		.amdhsa_dx10_clamp 1
		.amdhsa_ieee_mode 1
		.amdhsa_fp16_overflow 0
		.amdhsa_workgroup_processor_mode 1
		.amdhsa_memory_ordered 1
		.amdhsa_forward_progress 1
		.amdhsa_shared_vgpr_count 0
		.amdhsa_exception_fp_ieee_invalid_op 0
		.amdhsa_exception_fp_denorm_src 0
		.amdhsa_exception_fp_ieee_div_zero 0
		.amdhsa_exception_fp_ieee_overflow 0
		.amdhsa_exception_fp_ieee_underflow 0
		.amdhsa_exception_fp_ieee_inexact 0
		.amdhsa_exception_int_div_zero 0
	.end_amdhsa_kernel
	.section	.text._ZL33flash_attn_stream_k_fixup_uniformILi64ELi1ELi2EEvPfPK15HIP_vector_typeIfLj2EEiiiiiiS1_IjLj3EES5_S5_,"axG",@progbits,_ZL33flash_attn_stream_k_fixup_uniformILi64ELi1ELi2EEvPfPK15HIP_vector_typeIfLj2EEiiiiiiS1_IjLj3EES5_S5_,comdat
.Lfunc_end50:
	.size	_ZL33flash_attn_stream_k_fixup_uniformILi64ELi1ELi2EEvPfPK15HIP_vector_typeIfLj2EEiiiiiiS1_IjLj3EES5_S5_, .Lfunc_end50-_ZL33flash_attn_stream_k_fixup_uniformILi64ELi1ELi2EEvPfPK15HIP_vector_typeIfLj2EEiiiiiiS1_IjLj3EES5_S5_
                                        ; -- End function
	.set _ZL33flash_attn_stream_k_fixup_uniformILi64ELi1ELi2EEvPfPK15HIP_vector_typeIfLj2EEiiiiiiS1_IjLj3EES5_S5_.num_vgpr, 15
	.set _ZL33flash_attn_stream_k_fixup_uniformILi64ELi1ELi2EEvPfPK15HIP_vector_typeIfLj2EEiiiiiiS1_IjLj3EES5_S5_.num_agpr, 0
	.set _ZL33flash_attn_stream_k_fixup_uniformILi64ELi1ELi2EEvPfPK15HIP_vector_typeIfLj2EEiiiiiiS1_IjLj3EES5_S5_.numbered_sgpr, 20
	.set _ZL33flash_attn_stream_k_fixup_uniformILi64ELi1ELi2EEvPfPK15HIP_vector_typeIfLj2EEiiiiiiS1_IjLj3EES5_S5_.num_named_barrier, 0
	.set _ZL33flash_attn_stream_k_fixup_uniformILi64ELi1ELi2EEvPfPK15HIP_vector_typeIfLj2EEiiiiiiS1_IjLj3EES5_S5_.private_seg_size, 0
	.set _ZL33flash_attn_stream_k_fixup_uniformILi64ELi1ELi2EEvPfPK15HIP_vector_typeIfLj2EEiiiiiiS1_IjLj3EES5_S5_.uses_vcc, 1
	.set _ZL33flash_attn_stream_k_fixup_uniformILi64ELi1ELi2EEvPfPK15HIP_vector_typeIfLj2EEiiiiiiS1_IjLj3EES5_S5_.uses_flat_scratch, 0
	.set _ZL33flash_attn_stream_k_fixup_uniformILi64ELi1ELi2EEvPfPK15HIP_vector_typeIfLj2EEiiiiiiS1_IjLj3EES5_S5_.has_dyn_sized_stack, 0
	.set _ZL33flash_attn_stream_k_fixup_uniformILi64ELi1ELi2EEvPfPK15HIP_vector_typeIfLj2EEiiiiiiS1_IjLj3EES5_S5_.has_recursion, 0
	.set _ZL33flash_attn_stream_k_fixup_uniformILi64ELi1ELi2EEvPfPK15HIP_vector_typeIfLj2EEiiiiiiS1_IjLj3EES5_S5_.has_indirect_call, 0
	.section	.AMDGPU.csdata,"",@progbits
; Kernel info:
; codeLenInByte = 824
; TotalNumSgprs: 22
; NumVgprs: 15
; ScratchSize: 0
; MemoryBound: 0
; FloatMode: 240
; IeeeMode: 1
; LDSByteSize: 0 bytes/workgroup (compile time only)
; SGPRBlocks: 0
; VGPRBlocks: 1
; NumSGPRsForWavesPerEU: 22
; NumVGPRsForWavesPerEU: 15
; Occupancy: 16
; WaveLimiterHint : 0
; COMPUTE_PGM_RSRC2:SCRATCH_EN: 0
; COMPUTE_PGM_RSRC2:USER_SGPR: 6
; COMPUTE_PGM_RSRC2:TRAP_HANDLER: 0
; COMPUTE_PGM_RSRC2:TGID_X_EN: 1
; COMPUTE_PGM_RSRC2:TGID_Y_EN: 1
; COMPUTE_PGM_RSRC2:TGID_Z_EN: 1
; COMPUTE_PGM_RSRC2:TIDIG_COMP_CNT: 0
	.section	.text._ZL33flash_attn_stream_k_fixup_generalILi64ELi1ELi2EEvPfPK15HIP_vector_typeIfLj2EEiiiiS1_IjLj3EES5_S5_S5_,"axG",@progbits,_ZL33flash_attn_stream_k_fixup_generalILi64ELi1ELi2EEvPfPK15HIP_vector_typeIfLj2EEiiiiS1_IjLj3EES5_S5_S5_,comdat
	.globl	_ZL33flash_attn_stream_k_fixup_generalILi64ELi1ELi2EEvPfPK15HIP_vector_typeIfLj2EEiiiiS1_IjLj3EES5_S5_S5_ ; -- Begin function _ZL33flash_attn_stream_k_fixup_generalILi64ELi1ELi2EEvPfPK15HIP_vector_typeIfLj2EEiiiiS1_IjLj3EES5_S5_S5_
	.p2align	8
	.type	_ZL33flash_attn_stream_k_fixup_generalILi64ELi1ELi2EEvPfPK15HIP_vector_typeIfLj2EEiiiiS1_IjLj3EES5_S5_S5_,@function
_ZL33flash_attn_stream_k_fixup_generalILi64ELi1ELi2EEvPfPK15HIP_vector_typeIfLj2EEiiiiS1_IjLj3EES5_S5_S5_: ; @_ZL33flash_attn_stream_k_fixup_generalILi64ELi1ELi2EEvPfPK15HIP_vector_typeIfLj2EEiiiiS1_IjLj3EES5_S5_S5_
; %bb.0:
	s_clause 0x1
	s_load_dwordx4 s[0:3], s[4:5], 0x10
	s_load_dword s9, s[4:5], 0x50
	s_mov_b32 s16, 0
	s_waitcnt lgkmcnt(0)
	s_mul_hi_i32 s17, s3, s6
	s_mul_i32 s18, s3, s6
	s_cmp_lg_u64 s[16:17], 0
	s_cbranch_scc0 .LBB51_21
; %bb.1:
	s_add_u32 s10, s9, 0
	s_addc_u32 s11, 0, 0
	s_xor_b64 s[10:11], s[10:11], 0
	v_cvt_f32_u32_e32 v1, s10
	v_cvt_f32_u32_e32 v2, s11
	s_sub_u32 s14, 0, s10
	s_subb_u32 s15, 0, s11
	v_fmamk_f32 v1, v2, 0x4f800000, v1
	v_rcp_f32_e32 v1, v1
	v_mul_f32_e32 v1, 0x5f7ffffc, v1
	v_mul_f32_e32 v2, 0x2f800000, v1
	v_trunc_f32_e32 v2, v2
	v_fmamk_f32 v1, v2, 0xcf800000, v1
	v_cvt_u32_f32_e32 v2, v2
	v_cvt_u32_f32_e32 v1, v1
	v_readfirstlane_b32 s12, v2
	v_readfirstlane_b32 s13, v1
	s_mul_i32 s19, s14, s12
	s_mul_hi_u32 s21, s14, s13
	s_mul_i32 s20, s15, s13
	s_add_i32 s19, s21, s19
	s_mul_i32 s22, s14, s13
	s_add_i32 s19, s19, s20
	s_mul_hi_u32 s21, s13, s22
	s_mul_i32 s24, s13, s19
	s_mul_hi_u32 s23, s12, s22
	s_mul_i32 s20, s12, s22
	s_mul_hi_u32 s22, s13, s19
	s_add_u32 s21, s21, s24
	s_addc_u32 s22, 0, s22
	s_mul_hi_u32 s25, s12, s19
	s_add_u32 s20, s21, s20
	s_mul_i32 s19, s12, s19
	s_addc_u32 s20, s22, s23
	s_addc_u32 s21, s25, 0
	s_add_u32 s19, s20, s19
	s_addc_u32 s20, 0, s21
	s_add_u32 s13, s13, s19
	s_cselect_b32 s19, -1, 0
	s_mul_hi_u32 s21, s14, s13
	s_cmp_lg_u32 s19, 0
	s_mul_i32 s19, s14, s13
	s_addc_u32 s12, s12, s20
	s_mul_i32 s15, s15, s13
	s_mul_i32 s14, s14, s12
	s_mul_hi_u32 s20, s13, s19
	s_add_i32 s14, s21, s14
	s_mul_hi_u32 s21, s12, s19
	s_add_i32 s14, s14, s15
	s_mul_i32 s15, s12, s19
	s_mul_i32 s23, s13, s14
	s_mul_hi_u32 s22, s13, s14
	s_add_u32 s20, s20, s23
	s_addc_u32 s22, 0, s22
	s_mul_hi_u32 s19, s12, s14
	s_add_u32 s15, s20, s15
	s_mul_i32 s14, s12, s14
	s_addc_u32 s15, s22, s21
	s_addc_u32 s19, s19, 0
	s_add_u32 s14, s15, s14
	s_addc_u32 s15, 0, s19
	s_add_u32 s19, s13, s14
	s_cselect_b32 s13, -1, 0
	s_cmp_lg_u32 s13, 0
	s_addc_u32 s20, s12, s15
	s_ashr_i32 s12, s17, 31
	s_add_u32 s14, s18, s12
	s_mov_b32 s13, s12
	s_addc_u32 s15, s17, s12
	s_xor_b64 s[14:15], s[14:15], s[12:13]
	s_mul_i32 s21, s14, s20
	s_mul_hi_u32 s22, s14, s19
	s_mul_hi_u32 s17, s14, s20
	;; [unrolled: 1-line block ×3, first 2 shown]
	s_mul_i32 s19, s15, s19
	s_add_u32 s21, s22, s21
	s_addc_u32 s17, 0, s17
	s_mul_hi_u32 s23, s15, s20
	s_add_u32 s19, s21, s19
	s_mul_i32 s20, s15, s20
	s_addc_u32 s17, s17, s24
	s_addc_u32 s19, s23, 0
	s_add_u32 s17, s17, s20
	s_addc_u32 s19, 0, s19
	s_mul_hi_u32 s20, s10, s17
	s_mul_i32 s21, s10, s19
	s_mul_i32 s22, s11, s17
	s_add_i32 s20, s20, s21
	s_mul_i32 s21, s10, s17
	s_add_i32 s20, s20, s22
	s_sub_i32 s22, s15, s20
	s_sub_u32 s14, s14, s21
	s_cselect_b32 s21, -1, 0
	s_cmp_lg_u32 s21, 0
	s_subb_u32 s22, s22, s11
	s_sub_u32 s23, s14, s10
	s_cselect_b32 s24, -1, 0
	s_cmp_lg_u32 s24, 0
	s_subb_u32 s22, s22, 0
	s_cmp_ge_u32 s22, s11
	s_cselect_b32 s24, -1, 0
	s_cmp_ge_u32 s23, s10
	s_cselect_b32 s23, -1, 0
	s_cmp_eq_u32 s22, s11
	s_cselect_b32 s22, s23, s24
	s_add_u32 s23, s17, 1
	s_addc_u32 s24, s19, 0
	s_add_u32 s25, s17, 2
	s_addc_u32 s26, s19, 0
	s_cmp_lg_u32 s22, 0
	s_cselect_b32 s22, s25, s23
	s_cselect_b32 s23, s26, s24
	s_cmp_lg_u32 s21, 0
	s_subb_u32 s15, s15, s20
	s_cmp_ge_u32 s15, s11
	s_cselect_b32 s20, -1, 0
	s_cmp_ge_u32 s14, s10
	s_cselect_b32 s10, -1, 0
	s_cmp_eq_u32 s15, s11
	s_cselect_b32 s10, s10, s20
	s_cmp_lg_u32 s10, 0
	s_cselect_b32 s11, s23, s19
	s_cselect_b32 s10, s22, s17
	s_xor_b64 s[12:13], s[12:13], 0
	s_xor_b64 s[10:11], s[10:11], s[12:13]
	s_sub_u32 s10, s10, s12
	s_load_dwordx4 s[12:15], s[4:5], 0x44
	s_andn2_b32 vcc_lo, exec_lo, s16
	s_cbranch_vccnz .LBB51_3
.LBB51_2:
	v_cvt_f32_u32_e32 v1, s9
	s_sub_i32 s11, 0, s9
	v_rcp_iflag_f32_e32 v1, v1
	v_mul_f32_e32 v1, 0x4f7ffffe, v1
	v_cvt_u32_f32_e32 v1, v1
	v_readfirstlane_b32 s10, v1
	s_mul_i32 s11, s11, s10
	s_mul_hi_u32 s11, s10, s11
	s_add_i32 s10, s10, s11
	s_mul_hi_u32 s10, s18, s10
	s_mul_i32 s11, s10, s9
	s_waitcnt lgkmcnt(0)
	s_add_i32 s15, s10, 1
	s_sub_i32 s11, s18, s11
	s_sub_i32 s16, s11, s9
	s_cmp_ge_u32 s11, s9
	s_cselect_b32 s10, s15, s10
	s_cselect_b32 s11, s16, s11
	s_add_i32 s15, s10, 1
	s_cmp_ge_u32 s11, s9
	s_cselect_b32 s10, s15, s10
.LBB51_3:
	s_add_i32 s11, s6, 1
	s_mov_b32 s16, 0
	s_mul_hi_i32 s17, s3, s11
	s_mul_i32 s11, s3, s11
	s_cmp_lg_u64 s[16:17], 0
	s_cbranch_scc0 .LBB51_22
; %bb.4:
	s_add_u32 s18, s9, 0
	s_addc_u32 s19, 0, 0
	s_xor_b64 s[18:19], s[18:19], 0
	v_cvt_f32_u32_e32 v1, s18
	v_cvt_f32_u32_e32 v2, s19
	s_sub_u32 s21, 0, s18
	s_subb_u32 s22, 0, s19
	v_fmamk_f32 v1, v2, 0x4f800000, v1
	v_rcp_f32_e32 v1, v1
	v_mul_f32_e32 v1, 0x5f7ffffc, v1
	v_mul_f32_e32 v2, 0x2f800000, v1
	v_trunc_f32_e32 v2, v2
	v_fmamk_f32 v1, v2, 0xcf800000, v1
	v_cvt_u32_f32_e32 v2, v2
	v_cvt_u32_f32_e32 v1, v1
	s_waitcnt lgkmcnt(0)
	v_readfirstlane_b32 s15, v2
	v_readfirstlane_b32 s20, v1
	s_mul_i32 s23, s21, s15
	s_mul_hi_u32 s25, s21, s20
	s_mul_i32 s24, s22, s20
	s_add_i32 s23, s25, s23
	s_mul_i32 s26, s21, s20
	s_add_i32 s23, s23, s24
	s_mul_hi_u32 s25, s20, s26
	s_mul_i32 s28, s20, s23
	s_mul_hi_u32 s27, s15, s26
	s_mul_i32 s24, s15, s26
	s_mul_hi_u32 s26, s20, s23
	s_add_u32 s25, s25, s28
	s_addc_u32 s26, 0, s26
	s_mul_hi_u32 s29, s15, s23
	s_add_u32 s24, s25, s24
	s_mul_i32 s23, s15, s23
	s_addc_u32 s24, s26, s27
	s_addc_u32 s25, s29, 0
	s_add_u32 s23, s24, s23
	s_addc_u32 s24, 0, s25
	s_add_u32 s20, s20, s23
	s_cselect_b32 s23, -1, 0
	s_mul_hi_u32 s25, s21, s20
	s_cmp_lg_u32 s23, 0
	s_mul_i32 s23, s21, s20
	s_addc_u32 s15, s15, s24
	s_mul_i32 s22, s22, s20
	s_mul_i32 s21, s21, s15
	s_mul_hi_u32 s24, s20, s23
	s_add_i32 s21, s25, s21
	s_mul_hi_u32 s25, s15, s23
	s_add_i32 s21, s21, s22
	s_mul_i32 s22, s15, s23
	s_mul_i32 s27, s20, s21
	s_mul_hi_u32 s26, s20, s21
	s_add_u32 s24, s24, s27
	s_addc_u32 s26, 0, s26
	s_mul_hi_u32 s23, s15, s21
	s_add_u32 s22, s24, s22
	s_mul_i32 s21, s15, s21
	s_addc_u32 s22, s26, s25
	s_addc_u32 s23, s23, 0
	s_add_u32 s21, s22, s21
	s_addc_u32 s22, 0, s23
	s_add_u32 s24, s20, s21
	s_cselect_b32 s20, -1, 0
	s_cmp_lg_u32 s20, 0
	s_addc_u32 s15, s15, s22
	s_ashr_i32 s20, s17, 31
	s_add_u32 s22, s11, s20
	s_mov_b32 s21, s20
	s_addc_u32 s23, s17, s20
	s_xor_b64 s[22:23], s[22:23], s[20:21]
	s_mul_i32 s25, s22, s15
	s_mul_hi_u32 s26, s22, s24
	s_mul_hi_u32 s17, s22, s15
	;; [unrolled: 1-line block ×3, first 2 shown]
	s_mul_i32 s24, s23, s24
	s_add_u32 s25, s26, s25
	s_addc_u32 s17, 0, s17
	s_mul_hi_u32 s27, s23, s15
	s_add_u32 s24, s25, s24
	s_mul_i32 s15, s23, s15
	s_addc_u32 s17, s17, s28
	s_addc_u32 s24, s27, 0
	s_add_u32 s15, s17, s15
	s_addc_u32 s17, 0, s24
	s_mul_hi_u32 s24, s18, s15
	s_mul_i32 s25, s18, s17
	s_mul_i32 s26, s19, s15
	s_add_i32 s24, s24, s25
	s_mul_i32 s25, s18, s15
	s_add_i32 s24, s24, s26
	s_sub_i32 s26, s23, s24
	s_sub_u32 s22, s22, s25
	s_cselect_b32 s25, -1, 0
	s_cmp_lg_u32 s25, 0
	s_subb_u32 s26, s26, s19
	s_sub_u32 s27, s22, s18
	s_cselect_b32 s28, -1, 0
	s_cmp_lg_u32 s28, 0
	s_subb_u32 s26, s26, 0
	s_cmp_ge_u32 s26, s19
	s_cselect_b32 s28, -1, 0
	s_cmp_ge_u32 s27, s18
	s_cselect_b32 s27, -1, 0
	s_cmp_eq_u32 s26, s19
	s_cselect_b32 s26, s27, s28
	s_add_u32 s27, s15, 1
	s_addc_u32 s28, s17, 0
	s_add_u32 s29, s15, 2
	s_addc_u32 s30, s17, 0
	s_cmp_lg_u32 s26, 0
	s_cselect_b32 s26, s29, s27
	s_cselect_b32 s27, s30, s28
	s_cmp_lg_u32 s25, 0
	s_subb_u32 s23, s23, s24
	s_cmp_ge_u32 s23, s19
	s_cselect_b32 s24, -1, 0
	s_cmp_ge_u32 s22, s18
	s_cselect_b32 s18, -1, 0
	s_cmp_eq_u32 s23, s19
	s_cselect_b32 s18, s18, s24
	s_cmp_lg_u32 s18, 0
	s_cselect_b32 s19, s27, s17
	s_cselect_b32 s18, s26, s15
	s_xor_b64 s[20:21], s[20:21], 0
	s_xor_b64 s[18:19], s[18:19], s[20:21]
	s_sub_u32 s18, s18, s20
	s_andn2_b32 vcc_lo, exec_lo, s16
	s_cbranch_vccnz .LBB51_6
.LBB51_5:
	v_cvt_f32_u32_e32 v1, s9
	s_sub_i32 s16, 0, s9
	v_rcp_iflag_f32_e32 v1, v1
	v_mul_f32_e32 v1, 0x4f7ffffe, v1
	v_cvt_u32_f32_e32 v1, v1
	s_waitcnt lgkmcnt(0)
	v_readfirstlane_b32 s15, v1
	s_mul_i32 s16, s16, s15
	s_mul_hi_u32 s16, s15, s16
	s_add_i32 s15, s15, s16
	s_mul_hi_u32 s15, s11, s15
	s_mul_i32 s16, s15, s9
	s_sub_i32 s11, s11, s16
	s_add_i32 s16, s15, 1
	s_sub_i32 s17, s11, s9
	s_cmp_ge_u32 s11, s9
	s_cselect_b32 s15, s16, s15
	s_cselect_b32 s11, s17, s11
	s_add_i32 s16, s15, 1
	s_cmp_ge_u32 s11, s9
	s_cselect_b32 s18, s16, s15
.LBB51_6:
	s_cmp_eq_u32 s10, s18
	s_waitcnt lgkmcnt(0)
	s_mul_hi_u32 s11, s10, s12
	s_cselect_b32 s15, -1, 0
	s_add_i32 s11, s11, s10
	s_lshr_b32 s11, s11, s13
	s_mul_i32 s16, s11, s14
	s_cmp_eq_u32 s16, s10
	s_mul_hi_u32 s16, s18, s12
	s_cselect_b32 s17, -1, 0
	s_add_i32 s16, s16, s18
	s_lshr_b32 s16, s16, s13
	s_cmp_eq_u32 s11, s16
	s_mul_i32 s16, s16, s14
	s_cselect_b32 s19, -1, 0
	s_cmp_lg_u32 s16, s18
	s_cselect_b32 s16, -1, 0
	s_or_b32 s15, s15, s17
	s_and_b32 s16, s19, s16
	s_or_b32 s15, s15, s16
	s_and_b32 vcc_lo, exec_lo, s15
	s_cbranch_vccnz .LBB51_24
; %bb.7:
	s_load_dwordx8 s[16:23], s[4:5], 0x20
	s_waitcnt lgkmcnt(0)
	s_mul_hi_u32 s15, s10, s16
	s_load_dword s16, s[4:5], 0x40
	s_add_i32 s15, s15, s10
	s_lshr_b32 s15, s15, s17
	s_mul_i32 s17, s15, s18
	s_sub_i32 s17, s10, s17
	s_mul_hi_u32 s18, s17, s19
	s_add_i32 s18, s17, s18
	s_lshr_b32 s20, s18, s20
	s_mul_i32 s18, s20, s21
	s_sub_i32 s17, s17, s18
	s_mul_hi_u32 s18, s17, s22
	s_add_i32 s18, s17, s18
	s_lshr_b32 s18, s18, s23
	s_waitcnt lgkmcnt(0)
	s_mul_i32 s16, s18, s16
	s_lshl_b32 s22, s18, 1
	s_sub_i32 s16, s17, s16
	s_mul_hi_u32 s17, s16, s12
	s_add_i32 s16, s16, s17
	s_lshr_b32 s21, s16, s13
	s_add_i32 s21, s21, s7
	s_cmp_lt_i32 s21, s0
	s_cselect_b32 s16, -1, 0
	s_add_i32 s22, s22, s8
	s_cmp_lt_i32 s22, s2
	s_cselect_b32 s17, -1, 0
	s_and_b32 s16, s16, s17
	s_andn2_b32 vcc_lo, exec_lo, s16
	s_cbranch_vccnz .LBB51_24
; %bb.8:
	s_load_dwordx4 s[16:19], s[4:5], 0x0
	s_mov_b32 s4, 0
	s_lshl_b32 s24, s9, 3
	s_mov_b32 s25, s4
	s_mul_i32 s0, s15, s0
	s_lshl_b64 s[24:25], s[24:25], 2
	s_mul_i32 s20, s20, s2
	v_cvt_f32_u32_e32 v4, s9
	v_rcp_iflag_f32_e32 v4, v4
	s_waitcnt lgkmcnt(0)
	s_add_u32 s2, s18, s24
	s_addc_u32 s15, s19, s25
	s_add_i32 s0, s21, s0
	s_add_i32 s5, s22, s20
	s_mul_i32 s0, s0, s1
	v_mul_f32_e32 v4, 0x4f7ffffe, v4
	s_add_i32 s5, s5, s0
	s_add_i32 s0, s7, s6
	v_lshl_or_b32 v1, s5, 6, v0
	s_lshl_b32 s0, s0, 1
	v_lshl_or_b32 v0, s8, 6, v0
	s_add_i32 s0, s0, s8
	v_cvt_u32_f32_e32 v4, v4
	v_ashrrev_i32_e32 v2, 31, v1
	s_ashr_i32 s1, s0, 31
	s_lshl_b64 s[0:1], s[0:1], 3
	v_lshlrev_b64 v[1:2], 2, v[1:2]
	s_add_u32 s0, s18, s0
	s_addc_u32 s1, s19, s1
	s_add_i32 s20, s6, -1
	s_load_dwordx2 s[0:1], s[0:1], 0x0
	s_sub_i32 s6, 0, s9
	v_add_co_u32 v1, vcc_lo, s16, v1
	v_add_co_ci_u32_e64 v2, null, s17, v2, vcc_lo
	global_load_dword v3, v[1:2], off
	s_waitcnt lgkmcnt(0)
	v_mov_b32_e32 v5, s1
	v_mov_b32_e32 v6, s0
.LBB51_9:                               ; =>This Inner Loop Header: Depth=1
	s_mul_hi_i32 s5, s20, s3
	s_mul_i32 s16, s20, s3
	s_cmp_lg_u64 s[4:5], 0
	s_mov_b32 s17, -1
                                        ; implicit-def: $sgpr0_sgpr1
	s_cbranch_scc0 .LBB51_11
; %bb.10:                               ;   in Loop: Header=BB51_9 Depth=1
	s_add_u32 s0, s9, 0
	s_addc_u32 s1, 0, 0
	s_xor_b64 s[0:1], s[0:1], 0
	v_cvt_f32_u32_e32 v7, s0
	v_cvt_f32_u32_e32 v8, s1
	s_sub_u32 s22, 0, s0
	s_subb_u32 s23, 0, s1
	v_fmac_f32_e32 v7, 0x4f800000, v8
	v_rcp_f32_e32 v7, v7
	v_mul_f32_e32 v7, 0x5f7ffffc, v7
	v_mul_f32_e32 v8, 0x2f800000, v7
	v_trunc_f32_e32 v8, v8
	v_fmac_f32_e32 v7, 0xcf800000, v8
	v_cvt_u32_f32_e32 v8, v8
	v_cvt_u32_f32_e32 v7, v7
	v_readfirstlane_b32 s17, v8
	v_readfirstlane_b32 s21, v7
	s_mul_i32 s24, s22, s17
	s_mul_hi_u32 s26, s22, s21
	s_mul_i32 s25, s23, s21
	s_add_i32 s24, s26, s24
	s_mul_i32 s27, s22, s21
	s_add_i32 s24, s24, s25
	s_mul_hi_u32 s26, s21, s27
	s_mul_i32 s29, s21, s24
	s_mul_hi_u32 s28, s17, s27
	s_mul_i32 s25, s17, s27
	s_mul_hi_u32 s27, s21, s24
	s_add_u32 s26, s26, s29
	s_addc_u32 s27, 0, s27
	s_mul_hi_u32 s30, s17, s24
	s_add_u32 s25, s26, s25
	s_mul_i32 s24, s17, s24
	s_addc_u32 s25, s27, s28
	s_addc_u32 s26, s30, 0
	s_add_u32 s24, s25, s24
	s_addc_u32 s25, 0, s26
	s_add_u32 s21, s21, s24
	s_cselect_b32 s24, -1, 0
	s_mul_hi_u32 s26, s22, s21
	s_cmp_lg_u32 s24, 0
	s_mul_i32 s24, s22, s21
	s_addc_u32 s17, s17, s25
	s_mul_i32 s23, s23, s21
	s_mul_i32 s22, s22, s17
	s_mul_hi_u32 s25, s21, s24
	s_add_i32 s22, s26, s22
	s_mul_hi_u32 s26, s17, s24
	s_add_i32 s22, s22, s23
	s_mul_i32 s23, s17, s24
	s_mul_i32 s28, s21, s22
	s_mul_hi_u32 s27, s21, s22
	s_add_u32 s25, s25, s28
	s_addc_u32 s27, 0, s27
	s_mul_hi_u32 s24, s17, s22
	s_add_u32 s23, s25, s23
	s_mul_i32 s22, s17, s22
	s_addc_u32 s23, s27, s26
	s_addc_u32 s24, s24, 0
	s_add_u32 s22, s23, s22
	s_addc_u32 s23, 0, s24
	s_add_u32 s21, s21, s22
	s_cselect_b32 s22, -1, 0
	s_cmp_lg_u32 s22, 0
	s_addc_u32 s17, s17, s23
	s_ashr_i32 s22, s5, 31
	s_add_u32 s24, s16, s22
	s_mov_b32 s23, s22
	s_addc_u32 s25, s5, s22
	s_xor_b64 s[24:25], s[24:25], s[22:23]
	s_mul_i32 s26, s24, s17
	s_mul_hi_u32 s27, s24, s21
	s_mul_hi_u32 s5, s24, s17
	;; [unrolled: 1-line block ×3, first 2 shown]
	s_mul_i32 s21, s25, s21
	s_add_u32 s26, s27, s26
	s_addc_u32 s5, 0, s5
	s_mul_hi_u32 s28, s25, s17
	s_add_u32 s21, s26, s21
	s_mul_i32 s17, s25, s17
	s_addc_u32 s5, s5, s29
	s_addc_u32 s21, s28, 0
	s_add_u32 s5, s5, s17
	s_addc_u32 s17, 0, s21
	s_mul_hi_u32 s21, s0, s5
	s_mul_i32 s26, s0, s17
	s_mul_i32 s27, s1, s5
	s_add_i32 s21, s21, s26
	s_mul_i32 s26, s0, s5
	s_add_i32 s21, s21, s27
	s_sub_i32 s27, s25, s21
	s_sub_u32 s24, s24, s26
	s_cselect_b32 s26, -1, 0
	s_cmp_lg_u32 s26, 0
	s_subb_u32 s27, s27, s1
	s_sub_u32 s28, s24, s0
	s_cselect_b32 s29, -1, 0
	s_cmp_lg_u32 s29, 0
	s_subb_u32 s27, s27, 0
	s_cmp_ge_u32 s27, s1
	s_cselect_b32 s29, -1, 0
	s_cmp_ge_u32 s28, s0
	s_cselect_b32 s28, -1, 0
	s_cmp_eq_u32 s27, s1
	s_cselect_b32 s27, s28, s29
	s_add_u32 s28, s5, 1
	s_addc_u32 s29, s17, 0
	s_add_u32 s30, s5, 2
	s_addc_u32 s31, s17, 0
	s_cmp_lg_u32 s27, 0
	s_cselect_b32 s27, s30, s28
	s_cselect_b32 s28, s31, s29
	s_cmp_lg_u32 s26, 0
	s_subb_u32 s21, s25, s21
	s_cmp_ge_u32 s21, s1
	s_cselect_b32 s25, -1, 0
	s_cmp_ge_u32 s24, s0
	s_cselect_b32 s0, -1, 0
	s_cmp_eq_u32 s21, s1
	s_cselect_b32 s0, s0, s25
	s_cmp_lg_u32 s0, 0
	s_cselect_b32 s1, s28, s17
	s_cselect_b32 s0, s27, s5
	s_xor_b64 s[22:23], s[22:23], 0
	s_mov_b32 s17, 0
	s_xor_b64 s[0:1], s[0:1], s[22:23]
	s_sub_u32 s0, s0, s22
.LBB51_11:                              ;   in Loop: Header=BB51_9 Depth=1
	s_andn2_b32 vcc_lo, exec_lo, s17
	s_cbranch_vccnz .LBB51_13
; %bb.12:                               ;   in Loop: Header=BB51_9 Depth=1
	v_readfirstlane_b32 s0, v4
	s_mul_i32 s1, s6, s0
	s_mul_hi_u32 s1, s0, s1
	s_add_i32 s0, s0, s1
	s_mul_hi_u32 s0, s16, s0
	s_mul_i32 s1, s0, s9
	s_add_i32 s5, s0, 1
	s_sub_i32 s1, s16, s1
	s_sub_i32 s16, s1, s9
	s_cmp_ge_u32 s1, s9
	s_cselect_b32 s0, s5, s0
	s_cselect_b32 s1, s16, s1
	s_add_i32 s5, s0, 1
	s_cmp_ge_u32 s1, s9
	s_cselect_b32 s0, s5, s0
.LBB51_13:                              ;   in Loop: Header=BB51_9 Depth=1
	s_cmp_lg_u32 s10, s0
	s_mov_b32 s16, -1
                                        ; implicit-def: $sgpr5
                                        ; implicit-def: $vgpr8
                                        ; implicit-def: $vgpr7
                                        ; implicit-def: $vgpr9
                                        ; implicit-def: $sgpr1
                                        ; implicit-def: $sgpr21
	s_cbranch_scc0 .LBB51_18
; %bb.14:                               ;   in Loop: Header=BB51_9 Depth=1
	s_add_i32 s22, s20, s7
	s_mov_b32 s17, s4
	s_add_i32 s1, s22, s9
	s_mov_b32 s21, s10
	s_lshl_b32 s1, s1, 1
	s_add_i32 s16, s1, s8
	s_mul_hi_u32 s1, s0, s12
	s_lshl_b64 s[16:17], s[16:17], 3
	s_add_u32 s16, s18, s16
	s_addc_u32 s17, s19, s17
	s_add_i32 s1, s1, s0
	s_lshr_b32 s1, s1, s13
	s_mul_i32 s5, s1, s14
	s_cmp_eq_u32 s5, s0
	s_cselect_b32 s5, -1, 0
	s_cmp_lt_u32 s1, s11
	s_cselect_b32 s1, -1, 0
	s_or_b32 s1, s1, s5
	s_mov_b32 s5, -1
	s_and_b32 vcc_lo, exec_lo, s1
	s_mov_b32 s1, s20
	s_cbranch_vccnz .LBB51_16
; %bb.15:                               ;   in Loop: Header=BB51_9 Depth=1
	s_add_i32 s1, s20, -1
	s_mov_b32 s5, 0
	s_mov_b32 s21, s0
.LBB51_16:                              ;   in Loop: Header=BB51_9 Depth=1
	v_lshl_add_u32 v7, s22, 7, v0
	s_load_dwordx2 s[16:17], s[16:17], 0x0
	v_ashrrev_i32_e32 v8, 31, v7
	v_lshlrev_b64 v[7:8], 2, v[7:8]
	v_add_co_u32 v7, vcc_lo, s2, v7
	v_add_co_ci_u32_e64 v8, null, s15, v8, vcc_lo
	s_waitcnt lgkmcnt(0)
	v_max_f32_e64 v9, s16, s16
	global_load_dword v8, v[7:8], off
	v_max_f32_e32 v7, v6, v6
	v_max_f32_e32 v7, v7, v9
	v_sub_f32_e32 v9, s16, v7
	v_sub_f32_e32 v10, v6, v7
	v_mul_f32_e32 v11, 0x3fb8aa3b, v9
	v_mul_f32_e32 v12, 0x3fb8aa3b, v10
	v_cmp_ngt_f32_e32 vcc_lo, 0xc2ce8ed0, v9
	v_fma_f32 v13, 0x3fb8aa3b, v9, -v11
	v_rndne_f32_e32 v14, v11
	v_fma_f32 v15, 0x3fb8aa3b, v10, -v12
	v_rndne_f32_e32 v16, v12
	v_fmac_f32_e32 v13, 0x32a5705f, v9
	v_sub_f32_e32 v11, v11, v14
	v_fmac_f32_e32 v15, 0x32a5705f, v10
	v_sub_f32_e32 v12, v12, v16
	v_add_f32_e32 v11, v11, v13
	v_cvt_i32_f32_e32 v13, v14
	v_add_f32_e32 v12, v12, v15
	v_cvt_i32_f32_e32 v14, v16
	v_exp_f32_e32 v11, v11
	v_exp_f32_e32 v12, v12
	v_ldexp_f32 v11, v11, v13
	v_ldexp_f32 v12, v12, v14
	v_cndmask_b32_e32 v11, 0, v11, vcc_lo
	v_cmp_ngt_f32_e32 vcc_lo, 0xc2ce8ed0, v10
	v_cndmask_b32_e32 v12, 0, v12, vcc_lo
	v_cmp_nlt_f32_e32 vcc_lo, 0x42b17218, v9
	v_cndmask_b32_e32 v11, 0x7f800000, v11, vcc_lo
	v_cmp_nlt_f32_e32 vcc_lo, 0x42b17218, v10
	v_cndmask_b32_e32 v12, 0x7f800000, v12, vcc_lo
	v_cmp_le_f32_e32 vcc_lo, 0xc1a00000, v9
	v_cndmask_b32_e32 v9, 0, v11, vcc_lo
	v_cmp_le_f32_e32 vcc_lo, 0xc1a00000, v10
	v_cndmask_b32_e32 v10, 0, v12, vcc_lo
	s_waitcnt vmcnt(0)
	v_mul_f32_e32 v8, v8, v9
	v_mul_f32_e32 v9, s17, v9
	v_fmac_f32_e32 v8, v3, v10
	v_fmac_f32_e32 v9, v5, v10
	s_cbranch_execz .LBB51_19
.LBB51_17:                              ;   in Loop: Header=BB51_9 Depth=1
	s_andn2_b32 vcc_lo, exec_lo, s5
	s_cbranch_vccnz .LBB51_20
	s_branch .LBB51_23
.LBB51_18:                              ;   in Loop: Header=BB51_9 Depth=1
	s_andn2_b32 vcc_lo, exec_lo, s16
	s_cbranch_vccnz .LBB51_17
.LBB51_19:                              ;   in Loop: Header=BB51_9 Depth=1
	v_mov_b32_e32 v9, v5
	v_mov_b32_e32 v7, v6
	s_waitcnt vmcnt(0)
	v_mov_b32_e32 v8, v3
	s_add_i32 s1, s20, -1
	s_mov_b32 s21, s10
	s_cbranch_execz .LBB51_23
.LBB51_20:                              ;   in Loop: Header=BB51_9 Depth=1
	v_mov_b32_e32 v5, v9
	v_mov_b32_e32 v6, v7
	s_waitcnt vmcnt(0)
	v_mov_b32_e32 v3, v8
	s_mov_b32 s10, s21
	s_mov_b32 s20, s1
	s_branch .LBB51_9
.LBB51_21:
                                        ; implicit-def: $sgpr10_sgpr11
	s_load_dwordx4 s[12:15], s[4:5], 0x44
	s_branch .LBB51_2
.LBB51_22:
                                        ; implicit-def: $sgpr18_sgpr19
	s_branch .LBB51_5
.LBB51_23:
	v_div_scale_f32 v0, null, v9, v9, v8
	s_waitcnt vmcnt(0)
	v_rcp_f32_e32 v3, v0
	v_fma_f32 v4, -v0, v3, 1.0
	v_fmac_f32_e32 v3, v4, v3
	v_div_scale_f32 v4, vcc_lo, v8, v9, v8
	v_mul_f32_e32 v5, v4, v3
	v_fma_f32 v6, -v0, v5, v4
	v_fmac_f32_e32 v5, v6, v3
	v_fma_f32 v0, -v0, v5, v4
	v_div_fmas_f32 v0, v0, v3, v5
	v_div_fixup_f32 v0, v0, v9, v8
	global_store_dword v[1:2], v0, off
.LBB51_24:
	s_endpgm
	.section	.rodata,"a",@progbits
	.p2align	6, 0x0
	.amdhsa_kernel _ZL33flash_attn_stream_k_fixup_generalILi64ELi1ELi2EEvPfPK15HIP_vector_typeIfLj2EEiiiiS1_IjLj3EES5_S5_S5_
		.amdhsa_group_segment_fixed_size 0
		.amdhsa_private_segment_fixed_size 0
		.amdhsa_kernarg_size 336
		.amdhsa_user_sgpr_count 6
		.amdhsa_user_sgpr_private_segment_buffer 1
		.amdhsa_user_sgpr_dispatch_ptr 0
		.amdhsa_user_sgpr_queue_ptr 0
		.amdhsa_user_sgpr_kernarg_segment_ptr 1
		.amdhsa_user_sgpr_dispatch_id 0
		.amdhsa_user_sgpr_flat_scratch_init 0
		.amdhsa_user_sgpr_private_segment_size 0
		.amdhsa_wavefront_size32 1
		.amdhsa_uses_dynamic_stack 0
		.amdhsa_system_sgpr_private_segment_wavefront_offset 0
		.amdhsa_system_sgpr_workgroup_id_x 1
		.amdhsa_system_sgpr_workgroup_id_y 1
		.amdhsa_system_sgpr_workgroup_id_z 1
		.amdhsa_system_sgpr_workgroup_info 0
		.amdhsa_system_vgpr_workitem_id 0
		.amdhsa_next_free_vgpr 17
		.amdhsa_next_free_sgpr 32
		.amdhsa_reserve_vcc 1
		.amdhsa_reserve_flat_scratch 0
		.amdhsa_float_round_mode_32 0
		.amdhsa_float_round_mode_16_64 0
		.amdhsa_float_denorm_mode_32 3
		.amdhsa_float_denorm_mode_16_64 3
		.amdhsa_dx10_clamp 1
		.amdhsa_ieee_mode 1
		.amdhsa_fp16_overflow 0
		.amdhsa_workgroup_processor_mode 1
		.amdhsa_memory_ordered 1
		.amdhsa_forward_progress 1
		.amdhsa_shared_vgpr_count 0
		.amdhsa_exception_fp_ieee_invalid_op 0
		.amdhsa_exception_fp_denorm_src 0
		.amdhsa_exception_fp_ieee_div_zero 0
		.amdhsa_exception_fp_ieee_overflow 0
		.amdhsa_exception_fp_ieee_underflow 0
		.amdhsa_exception_fp_ieee_inexact 0
		.amdhsa_exception_int_div_zero 0
	.end_amdhsa_kernel
	.section	.text._ZL33flash_attn_stream_k_fixup_generalILi64ELi1ELi2EEvPfPK15HIP_vector_typeIfLj2EEiiiiS1_IjLj3EES5_S5_S5_,"axG",@progbits,_ZL33flash_attn_stream_k_fixup_generalILi64ELi1ELi2EEvPfPK15HIP_vector_typeIfLj2EEiiiiS1_IjLj3EES5_S5_S5_,comdat
.Lfunc_end51:
	.size	_ZL33flash_attn_stream_k_fixup_generalILi64ELi1ELi2EEvPfPK15HIP_vector_typeIfLj2EEiiiiS1_IjLj3EES5_S5_S5_, .Lfunc_end51-_ZL33flash_attn_stream_k_fixup_generalILi64ELi1ELi2EEvPfPK15HIP_vector_typeIfLj2EEiiiiS1_IjLj3EES5_S5_S5_
                                        ; -- End function
	.set _ZL33flash_attn_stream_k_fixup_generalILi64ELi1ELi2EEvPfPK15HIP_vector_typeIfLj2EEiiiiS1_IjLj3EES5_S5_S5_.num_vgpr, 17
	.set _ZL33flash_attn_stream_k_fixup_generalILi64ELi1ELi2EEvPfPK15HIP_vector_typeIfLj2EEiiiiS1_IjLj3EES5_S5_S5_.num_agpr, 0
	.set _ZL33flash_attn_stream_k_fixup_generalILi64ELi1ELi2EEvPfPK15HIP_vector_typeIfLj2EEiiiiS1_IjLj3EES5_S5_S5_.numbered_sgpr, 32
	.set _ZL33flash_attn_stream_k_fixup_generalILi64ELi1ELi2EEvPfPK15HIP_vector_typeIfLj2EEiiiiS1_IjLj3EES5_S5_S5_.num_named_barrier, 0
	.set _ZL33flash_attn_stream_k_fixup_generalILi64ELi1ELi2EEvPfPK15HIP_vector_typeIfLj2EEiiiiS1_IjLj3EES5_S5_S5_.private_seg_size, 0
	.set _ZL33flash_attn_stream_k_fixup_generalILi64ELi1ELi2EEvPfPK15HIP_vector_typeIfLj2EEiiiiS1_IjLj3EES5_S5_S5_.uses_vcc, 1
	.set _ZL33flash_attn_stream_k_fixup_generalILi64ELi1ELi2EEvPfPK15HIP_vector_typeIfLj2EEiiiiS1_IjLj3EES5_S5_S5_.uses_flat_scratch, 0
	.set _ZL33flash_attn_stream_k_fixup_generalILi64ELi1ELi2EEvPfPK15HIP_vector_typeIfLj2EEiiiiS1_IjLj3EES5_S5_S5_.has_dyn_sized_stack, 0
	.set _ZL33flash_attn_stream_k_fixup_generalILi64ELi1ELi2EEvPfPK15HIP_vector_typeIfLj2EEiiiiS1_IjLj3EES5_S5_S5_.has_recursion, 0
	.set _ZL33flash_attn_stream_k_fixup_generalILi64ELi1ELi2EEvPfPK15HIP_vector_typeIfLj2EEiiiiS1_IjLj3EES5_S5_S5_.has_indirect_call, 0
	.section	.AMDGPU.csdata,"",@progbits
; Kernel info:
; codeLenInByte = 2924
; TotalNumSgprs: 34
; NumVgprs: 17
; ScratchSize: 0
; MemoryBound: 0
; FloatMode: 240
; IeeeMode: 1
; LDSByteSize: 0 bytes/workgroup (compile time only)
; SGPRBlocks: 0
; VGPRBlocks: 2
; NumSGPRsForWavesPerEU: 34
; NumVGPRsForWavesPerEU: 17
; Occupancy: 16
; WaveLimiterHint : 0
; COMPUTE_PGM_RSRC2:SCRATCH_EN: 0
; COMPUTE_PGM_RSRC2:USER_SGPR: 6
; COMPUTE_PGM_RSRC2:TRAP_HANDLER: 0
; COMPUTE_PGM_RSRC2:TGID_X_EN: 1
; COMPUTE_PGM_RSRC2:TGID_Y_EN: 1
; COMPUTE_PGM_RSRC2:TGID_Z_EN: 1
; COMPUTE_PGM_RSRC2:TIDIG_COMP_CNT: 0
	.section	.text._ZL15flash_attn_tileILi64ELi64ELi64ELi1ELb0EEvPKcS1_S1_S1_S1_PKiPfP15HIP_vector_typeIfLj2EEffffjfiS5_IjLj3EEiiiiiiiiiiiliiliiiiil,"axG",@progbits,_ZL15flash_attn_tileILi64ELi64ELi64ELi1ELb0EEvPKcS1_S1_S1_S1_PKiPfP15HIP_vector_typeIfLj2EEffffjfiS5_IjLj3EEiiiiiiiiiiiliiliiiiil,comdat
	.globl	_ZL15flash_attn_tileILi64ELi64ELi64ELi1ELb0EEvPKcS1_S1_S1_S1_PKiPfP15HIP_vector_typeIfLj2EEffffjfiS5_IjLj3EEiiiiiiiiiiiliiliiiiil ; -- Begin function _ZL15flash_attn_tileILi64ELi64ELi64ELi1ELb0EEvPKcS1_S1_S1_S1_PKiPfP15HIP_vector_typeIfLj2EEffffjfiS5_IjLj3EEiiiiiiiiiiiliiliiiiil
	.p2align	8
	.type	_ZL15flash_attn_tileILi64ELi64ELi64ELi1ELb0EEvPKcS1_S1_S1_S1_PKiPfP15HIP_vector_typeIfLj2EEffffjfiS5_IjLj3EEiiiiiiiiiiiliiliiiiil,@function
_ZL15flash_attn_tileILi64ELi64ELi64ELi1ELb0EEvPKcS1_S1_S1_S1_PKiPfP15HIP_vector_typeIfLj2EEffffjfiS5_IjLj3EEiiiiiiiiiiiliiliiiiil: ; @_ZL15flash_attn_tileILi64ELi64ELi64ELi1ELb0EEvPKcS1_S1_S1_S1_PKiPfP15HIP_vector_typeIfLj2EEffffjfiS5_IjLj3EEiiiiiiiiiiiliiliiiiil
; %bb.0:
	s_add_u32 s6, s6, s11
	s_addc_u32 s7, s7, 0
	s_setreg_b32 hwreg(HW_REG_FLAT_SCR_LO), s6
	s_setreg_b32 hwreg(HW_REG_FLAT_SCR_HI), s7
	s_clause 0x1
	s_load_dwordx4 s[28:31], s[4:5], 0x5c
	s_load_dwordx2 s[48:49], s[4:5], 0x80
	v_mov_b32_e32 v190, v0
	s_add_u32 s0, s0, s11
	s_addc_u32 s1, s1, 0
	s_mov_b32 s34, s9
	s_load_dwordx2 s[50:51], s[4:5], 0xb8
	v_mov_b32_e32 v49, v1
	s_mov_b64 s[46:47], 0
	s_waitcnt lgkmcnt(0)
	v_cvt_f32_u32_e32 v0, s31
	s_sub_i32 s7, 0, s31
	v_rcp_iflag_f32_e32 v0, v0
	v_mul_f32_e32 v0, 0x4f7ffffe, v0
	v_cvt_u32_f32_e32 v0, v0
	v_readfirstlane_b32 s6, v0
	s_mul_i32 s7, s7, s6
	s_mul_hi_u32 s7, s6, s7
	s_add_i32 s6, s6, s7
	s_mul_hi_u32 s6, s10, s6
	s_mul_i32 s7, s6, s31
	s_add_i32 s9, s6, 1
	s_sub_i32 s7, s10, s7
	s_sub_i32 s11, s7, s31
	s_cmp_ge_u32 s7, s31
	s_cselect_b32 s6, s9, s6
	s_cselect_b32 s7, s11, s7
	s_add_i32 s9, s6, 1
	s_cmp_ge_u32 s7, s31
	s_cselect_b32 s33, s9, s6
	s_abs_i32 s6, s49
	s_abs_i32 s12, s31
	v_cvt_f32_u32_e32 v0, s6
	s_sub_i32 s9, 0, s6
	s_mul_i32 s11, s33, s31
	s_sub_i32 s44, s10, s11
	v_rcp_iflag_f32_e32 v0, v0
	v_mul_f32_e32 v0, 0x4f7ffffe, v0
	v_cvt_u32_f32_e32 v0, v0
	v_readfirstlane_b32 s7, v0
	s_mul_i32 s9, s9, s7
	s_mul_hi_u32 s9, s7, s9
	s_add_i32 s7, s7, s9
	s_xor_b32 s9, s31, s49
	s_mul_hi_u32 s7, s12, s7
	s_ashr_i32 s9, s9, 31
	s_mul_i32 s10, s7, s6
	s_add_i32 s11, s7, 1
	s_sub_i32 s10, s12, s10
	s_sub_i32 s12, s10, s6
	s_cmp_ge_u32 s10, s6
	s_cselect_b32 s7, s11, s7
	s_cselect_b32 s10, s12, s10
	s_add_i32 s11, s7, 1
	s_cmp_ge_u32 s10, s6
	s_load_dwordx16 s[12:27], s[4:5], 0x0
	s_cselect_b32 s6, s11, s7
	s_abs_i32 s49, s44
	s_xor_b32 s6, s6, s9
	s_sub_i32 s10, s6, s9
	s_abs_i32 s35, s10
	v_cvt_f32_u32_e32 v0, s35
	s_sub_i32 s7, 0, s35
	v_rcp_iflag_f32_e32 v0, v0
	v_mul_f32_e32 v0, 0x4f7ffffe, v0
	v_cvt_u32_f32_e32 v0, v0
	v_readfirstlane_b32 s6, v0
	s_mul_i32 s7, s7, s6
	s_mul_hi_u32 s7, s6, s7
	s_add_i32 s6, s6, s7
	s_waitcnt lgkmcnt(0)
	s_cmp_eq_u64 s[18:19], 0
	s_cbranch_scc1 .LBB52_2
; %bb.1:
	s_abs_i32 s7, s50
	s_abs_i32 s38, s33
	v_cvt_f32_u32_e32 v0, s7
	s_sub_i32 s11, 0, s7
	s_load_dwordx2 s[36:37], s[4:5], 0xc8
	v_rcp_iflag_f32_e32 v0, v0
	v_mul_f32_e32 v0, 0x4f7ffffe, v0
	v_cvt_u32_f32_e32 v0, v0
	v_readfirstlane_b32 s9, v0
	s_mul_i32 s11, s11, s9
	s_mul_hi_u32 s11, s9, s11
	s_add_i32 s9, s9, s11
	s_ashr_i32 s11, s33, 31
	s_mul_hi_u32 s9, s38, s9
	s_mul_i32 s9, s9, s7
	s_sub_i32 s9, s38, s9
	s_sub_i32 s38, s9, s7
	s_cmp_ge_u32 s9, s7
	s_cselect_b32 s9, s38, s9
	s_sub_i32 s38, s9, s7
	s_cmp_ge_u32 s9, s7
	s_cselect_b32 s7, s38, s9
	s_xor_b32 s7, s7, s11
	s_sub_i32 s7, s7, s11
	s_ashr_i32 s9, s7, 31
	s_waitcnt lgkmcnt(0)
	s_mul_hi_u32 s11, s36, s7
	s_mul_i32 s9, s36, s9
	s_add_i32 s9, s11, s9
	s_mul_i32 s11, s37, s7
	s_mul_i32 s7, s36, s7
	s_add_i32 s9, s9, s11
	s_add_u32 s46, s18, s7
	s_addc_u32 s47, s19, s9
.LBB52_2:
	s_clause 0x1
	s_load_dwordx4 s[36:39], s[4:5], 0x40
	s_load_dword s7, s[4:5], 0x50
	v_mov_b32_e32 v141, 1.0
	s_waitcnt lgkmcnt(0)
	v_cmp_le_f32_e64 s9, s37, 0
	s_mul_hi_u32 s37, s49, s6
	s_and_b32 vcc_lo, exec_lo, s9
	s_cbranch_vccnz .LBB52_4
; %bb.3:
	v_sub_co_u32 v1, vcc_lo, s44, s7
	v_mov_b32_e32 v0, s38
	s_add_i32 s6, s44, 1
	v_lshlrev_b32_e32 v1, 1, v1
	v_cndmask_b32_e32 v0, s39, v0, vcc_lo
	v_or_b32_e32 v1, 1, v1
	v_cndmask_b32_e64 v1, v1, s6, vcc_lo
	v_cmp_neq_f32_e32 vcc_lo, 1.0, v0
	s_mov_b32 s6, 0x3e76c4e1
	v_cvt_f32_i32_e32 v1, v1
	v_cndmask_b32_e32 v2, 1.0, v1, vcc_lo
	v_cmp_neq_f32_e32 vcc_lo, 0, v2
	v_cndmask_b32_e32 v3, 1.0, v0, vcc_lo
	v_frexp_mant_f32_e64 v0, |v3|
	v_cmp_eq_f32_e64 s9, 0, v3
	v_cmp_gt_f32_e32 vcc_lo, 0x3f2aaaab, v0
	v_cndmask_b32_e64 v1, 1.0, 2.0, vcc_lo
	v_mul_f32_e32 v0, v0, v1
	v_add_f32_e32 v1, 1.0, v0
	v_add_f32_e32 v5, -1.0, v0
	v_rcp_f32_e32 v4, v1
	v_add_f32_e32 v7, -1.0, v1
	v_sub_f32_e32 v0, v0, v7
	v_mul_f32_e32 v6, v5, v4
	v_mul_f32_e32 v8, v1, v6
	v_fma_f32 v1, v6, v1, -v8
	v_fmac_f32_e32 v1, v6, v0
	v_add_f32_e32 v0, v8, v1
	v_sub_f32_e32 v7, v5, v0
	v_sub_f32_e32 v8, v0, v8
	;; [unrolled: 1-line block ×5, first 2 shown]
	v_add_f32_e32 v0, v1, v0
	v_add_f32_e32 v0, v7, v0
	v_mul_f32_e32 v0, v4, v0
	v_add_f32_e32 v4, v6, v0
	v_sub_f32_e32 v1, v4, v6
	v_mul_f32_e32 v5, v4, v4
	v_sub_f32_e32 v6, v0, v1
	v_fma_f32 v0, v4, v4, -v5
	v_add_f32_e32 v1, v6, v6
	v_fmac_f32_e32 v0, v4, v1
	v_add_f32_e32 v7, v5, v0
	v_fmaak_f32 v1, s6, v7, 0x3e91f4c4
	v_sub_f32_e32 v5, v7, v5
	v_mul_f32_e32 v12, v4, v7
	v_fmaak_f32 v1, v7, v1, 0x3ecccdef
	v_sub_f32_e32 v5, v0, v5
	v_fma_f32 v13, v7, v4, -v12
	v_mul_f32_e32 v8, v7, v1
	v_fmac_f32_e32 v13, v7, v6
	v_ldexp_f32 v6, v6, 1
	v_fma_f32 v9, v7, v1, -v8
	v_fmac_f32_e32 v13, v5, v4
	v_fmac_f32_e32 v9, v5, v1
	v_cvt_f64_f32_e64 v[0:1], |v3|
	v_add_f32_e32 v10, v8, v9
	v_sub_f32_e32 v8, v10, v8
	v_add_f32_e32 v11, 0x3f2aaaaa, v10
	v_sub_f32_e32 v8, v9, v8
	v_add_f32_e32 v9, 0xbf2aaaaa, v11
	v_add_f32_e32 v8, 0x31739010, v8
	v_sub_f32_e32 v9, v10, v9
	v_frexp_exp_i32_f64_e32 v0, v[0:1]
	v_add_f32_e32 v7, v8, v9
	v_add_f32_e32 v8, v12, v13
	;; [unrolled: 1-line block ×3, first 2 shown]
	v_sub_f32_e32 v10, v8, v12
	v_sub_f32_e32 v1, v11, v5
	v_mul_f32_e32 v9, v8, v5
	v_sub_f32_e32 v10, v13, v10
	v_add_f32_e32 v1, v7, v1
	v_fma_f32 v7, v8, v5, -v9
	v_subrev_co_ci_u32_e64 v0, null, 0, v0, vcc_lo
	v_fmac_f32_e32 v7, v8, v1
	v_ldexp_f32 v1, v4, 1
	v_cvt_f32_i32_e32 v0, v0
	v_fmac_f32_e32 v7, v10, v5
	v_add_f32_e32 v4, v9, v7
	v_add_f32_e32 v5, v1, v4
	v_sub_f32_e32 v8, v4, v9
	v_mul_f32_e32 v9, 0x3f317218, v0
	v_sub_f32_e32 v1, v5, v1
	v_sub_f32_e32 v7, v7, v8
	v_fma_f32 v8, 0x3f317218, v0, -v9
	v_sub_f32_e32 v1, v4, v1
	v_add_f32_e32 v4, v6, v7
	v_fmamk_f32 v0, v0, 0xb102e308, v8
	v_add_f32_e32 v1, v4, v1
	v_add_f32_e32 v4, v9, v0
	;; [unrolled: 1-line block ×3, first 2 shown]
	v_sub_f32_e32 v9, v4, v9
	v_add_f32_e32 v7, v4, v6
	v_sub_f32_e32 v5, v6, v5
	v_sub_f32_e32 v0, v0, v9
	;; [unrolled: 1-line block ×6, first 2 shown]
	v_add_f32_e32 v6, v0, v1
	v_sub_f32_e32 v4, v4, v10
	v_add_f32_e32 v4, v5, v4
	v_sub_f32_e32 v5, v6, v0
	;; [unrolled: 2-line block ×3, first 2 shown]
	v_sub_f32_e32 v1, v1, v5
	v_add_f32_e32 v8, v7, v4
	v_sub_f32_e32 v0, v0, v6
	v_sub_f32_e32 v5, v8, v7
	v_add_f32_e32 v0, v1, v0
	v_sub_f32_e32 v1, v4, v5
	v_add_f32_e32 v0, v0, v1
	v_add_f32_e32 v1, v8, v0
	v_sub_f32_e32 v4, v1, v8
	v_mul_f32_e32 v5, v2, v1
	v_sub_f32_e32 v0, v0, v4
	v_fma_f32 v1, v2, v1, -v5
	v_cmp_class_f32_e64 vcc_lo, v5, 0x204
	v_fmac_f32_e32 v1, v2, v0
	v_add_f32_e32 v0, v5, v1
	v_cndmask_b32_e32 v4, v0, v5, vcc_lo
	v_sub_f32_e32 v0, v0, v5
	v_cmp_eq_f32_e32 vcc_lo, 0x42b17218, v4
	v_sub_f32_e32 v0, v1, v0
	v_cndmask_b32_e64 v6, 0, 0x37000000, vcc_lo
	v_cmp_neq_f32_e64 vcc_lo, 0x7f800000, |v4|
	v_sub_f32_e32 v7, v4, v6
	v_cndmask_b32_e32 v0, 0, v0, vcc_lo
	v_trunc_f32_e32 v4, v2
	v_mul_f32_e32 v8, 0x3fb8aa3b, v7
	v_cmp_ngt_f32_e32 vcc_lo, 0xc2ce8ed0, v7
	v_add_f32_e32 v0, v6, v0
	v_fma_f32 v9, 0x3fb8aa3b, v7, -v8
	v_rndne_f32_e32 v10, v8
	v_fmamk_f32 v9, v7, 0x32a5705f, v9
	v_sub_f32_e32 v8, v8, v10
	v_cvt_i32_f32_e32 v5, v10
	v_add_f32_e32 v8, v8, v9
	v_exp_f32_e32 v8, v8
	v_ldexp_f32 v1, v8, v5
	v_mul_f32_e32 v5, 0.5, v2
	v_cndmask_b32_e32 v1, 0, v1, vcc_lo
	v_cmp_nlt_f32_e32 vcc_lo, 0x42b17218, v7
	v_trunc_f32_e32 v8, v5
	v_cndmask_b32_e32 v1, 0x7f800000, v1, vcc_lo
	v_cmp_eq_f32_e32 vcc_lo, v4, v2
	v_cmp_neq_f32_e64 s6, v8, v5
	v_fma_f32 v0, v1, v0, v1
	v_cmp_class_f32_e64 s7, v1, 0x204
	s_and_b32 s6, vcc_lo, s6
	v_cndmask_b32_e64 v4, 1.0, v3, s6
	v_cndmask_b32_e64 v0, v0, v1, s7
	v_cmp_gt_f32_e64 s7, 0, v2
	v_bfi_b32 v0, 0x7fffffff, v0, v4
	s_xor_b32 s7, s7, s9
	v_cndmask_b32_e64 v4, 0, v3, s6
	v_cndmask_b32_e64 v1, 0x7f800000, 0, s7
	v_cmp_class_f32_e64 s6, v3, 0x204
	v_cndmask_b32_e32 v2, 0x7fc00000, v0, vcc_lo
	v_cmp_gt_f32_e32 vcc_lo, 0, v3
	v_bfi_b32 v1, 0x7fffffff, v1, v4
	v_cndmask_b32_e32 v0, v0, v2, vcc_lo
	s_or_b32 vcc_lo, s9, s6
	v_cndmask_b32_e32 v0, v0, v1, vcc_lo
	v_cmp_o_f32_e32 vcc_lo, v3, v3
	v_cndmask_b32_e32 v141, 0x7fc00000, v0, vcc_lo
.LBB52_4:
	v_lshlrev_b32_e32 v30, 4, v49
	s_lshl_b32 s18, s8, 6
	s_load_dwordx4 s[40:43], s[4:5], 0x70
	s_ashr_i32 s45, s44, 31
	s_ashr_i32 s38, s10, 31
	v_or_b32_e32 v45, 1, v30
	v_add_nc_u32_e32 v109, s18, v30
	v_or_b32_e32 v44, 2, v30
	v_or_b32_e32 v43, 3, v30
	;; [unrolled: 1-line block ×3, first 2 shown]
	v_add_nc_u32_e32 v5, s18, v45
	v_mul_hi_u32 v0, v109, s28
	v_add_nc_u32_e32 v7, s18, v44
	v_add_nc_u32_e32 v14, s18, v43
	;; [unrolled: 1-line block ×3, first 2 shown]
	v_mul_hi_u32 v1, v5, s28
	buffer_store_dword v5, off, s[0:3], 0 offset:72 ; 4-byte Folded Spill
	v_mul_hi_u32 v2, v7, s28
	v_mul_hi_u32 v4, v14, s28
	v_add_nc_u32_e32 v0, v109, v0
	v_lshlrev_b32_e32 v10, 3, v190
	buffer_store_dword v7, off, s[0:3], 0 offset:132 ; 4-byte Folded Spill
	s_waitcnt lgkmcnt(0)
	s_mul_i32 s6, s33, s42
	v_add_nc_u32_e32 v1, v5, v1
	v_lshrrev_b32_e32 v0, s29, v0
	v_add_nc_u32_e32 v2, v7, v2
	s_mul_i32 s7, s44, s41
	s_ashr_i32 s9, s6, 31
	v_lshrrev_b32_e32 v1, s29, v1
	v_mul_lo_u32 v0, v0, s30
	s_add_u32 s6, s12, s6
	s_addc_u32 s9, s13, s9
	s_ashr_i32 s10, s7, 31
	v_mul_lo_u32 v3, v1, s30
	s_add_u32 s11, s6, s7
	v_lshrrev_b32_e32 v2, s29, v2
	s_addc_u32 s9, s9, s10
	v_sub_nc_u32_e32 v8, v109, v0
	s_ashr_i32 s41, s40, 31
	v_add_nc_u32_e32 v6, v14, v4
	s_lshr_b64 s[6:7], s[40:41], 2
	v_sub_nc_u32_e32 v3, v5, v3
	v_mad_u64_u32 v[0:1], null, s6, v8, 0
	v_mul_lo_u32 v2, v2, s30
	v_lshrrev_b32_e32 v6, s29, v6
	v_mad_u64_u32 v[4:5], null, s6, v3, 0
	s_lshr_b32 s7, s41, 2
	buffer_store_dword v8, off, s[0:3], 0 offset:16 ; 4-byte Folded Spill
	v_mul_hi_u32 v12, v13, s28
	v_or_b32_e32 v38, 5, v30
	v_sub_nc_u32_e32 v11, v7, v2
	v_mad_u64_u32 v[1:2], null, s7, v8, v[1:2]
	v_mov_b32_e32 v2, v5
	v_mul_lo_u32 v5, v6, s30
	v_mad_u64_u32 v[6:7], null, s6, v11, 0
	v_add_nc_u32_e32 v16, s18, v38
	v_mad_u64_u32 v[8:9], null, s7, v3, v[2:3]
	v_add_co_u32 v2, s10, s11, v10
	v_sub_nc_u32_e32 v10, v14, v5
	v_or_b32_e32 v39, 6, v30
	v_or_b32_e32 v40, 7, v30
	buffer_store_dword v14, off, s[0:3], 0 offset:144 ; 4-byte Folded Spill
	v_mov_b32_e32 v5, v8
	v_mad_u64_u32 v[7:8], null, s7, v11, v[7:8]
	v_add_nc_u32_e32 v11, v13, v12
	v_mad_u64_u32 v[8:9], null, s6, v10, 0
	v_mul_hi_u32 v12, v16, s28
	v_add_nc_u32_e32 v17, s18, v39
	v_lshrrev_b32_e32 v11, s29, v11
	buffer_store_dword v13, off, s[0:3], 0 offset:152 ; 4-byte Folded Spill
	v_add_nc_u32_e32 v19, s18, v40
	buffer_store_dword v16, off, s[0:3], 0 offset:160 ; 4-byte Folded Spill
	v_mad_u64_u32 v[9:10], null, s7, v10, v[9:10]
	v_mul_lo_u32 v10, v11, s30
	v_add_nc_u32_e32 v11, v16, v12
	v_mul_hi_u32 v14, v17, s28
	v_mul_hi_u32 v15, v19, s28
	v_lshlrev_b64 v[0:1], 2, v[0:1]
	v_lshlrev_b64 v[4:5], 2, v[4:5]
	v_or_b32_e32 v41, 8, v30
	v_add_co_ci_u32_e64 v3, null, s9, 0, s10
	v_sub_nc_u32_e32 v12, v13, v10
	v_lshrrev_b32_e32 v13, s29, v11
	v_add_nc_u32_e32 v14, v17, v14
	v_add_nc_u32_e32 v15, v19, v15
	v_lshlrev_b64 v[6:7], 2, v[6:7]
	v_mad_u64_u32 v[10:11], null, s6, v12, 0
	v_mul_lo_u32 v13, v13, s30
	v_lshrrev_b32_e32 v14, s29, v14
	v_lshrrev_b32_e32 v18, s29, v15
	v_add_co_u32 v0, vcc_lo, v2, v0
	v_lshlrev_b64 v[8:9], 2, v[8:9]
	v_mad_u64_u32 v[11:12], null, s7, v12, v[11:12]
	v_sub_nc_u32_e32 v16, v16, v13
	v_mul_lo_u32 v14, v14, s30
	buffer_store_dword v17, off, s[0:3], 0 offset:164 ; 4-byte Folded Spill
	v_add_nc_u32_e32 v22, s18, v41
	v_add_co_ci_u32_e64 v1, null, v3, v1, vcc_lo
	v_mad_u64_u32 v[12:13], null, s6, v16, 0
	v_add_co_u32 v4, vcc_lo, v2, v4
	v_sub_nc_u32_e32 v17, v17, v14
	v_add_co_ci_u32_e64 v5, null, v3, v5, vcc_lo
	v_add_co_u32 v6, vcc_lo, v2, v6
	v_mad_u64_u32 v[13:14], null, s7, v16, v[13:14]
	v_mul_lo_u32 v16, v18, s30
	v_add_co_ci_u32_e64 v7, null, v3, v7, vcc_lo
	v_add_co_u32 v8, vcc_lo, v2, v8
	v_mad_u64_u32 v[14:15], null, s6, v17, 0
	v_mul_hi_u32 v18, v22, s28
	v_add_co_ci_u32_e64 v9, null, v3, v9, vcc_lo
	s_clause 0x3
	global_load_dwordx2 v[0:1], v[0:1], off
	global_load_dwordx2 v[4:5], v[4:5], off
	;; [unrolled: 1-line block ×4, first 2 shown]
	buffer_store_dword v19, off, s[0:3], 0 offset:172 ; 4-byte Folded Spill
	v_sub_nc_u32_e32 v19, v19, v16
	v_or_b32_e32 v42, 9, v30
	v_mad_u64_u32 v[15:16], null, s7, v17, v[15:16]
	v_add_nc_u32_e32 v18, v22, v18
	v_mad_u64_u32 v[16:17], null, s6, v19, 0
	v_add_nc_u32_e32 v23, s18, v42
	v_or_b32_e32 v191, 10, v30
	v_lshrrev_b32_e32 v21, s29, v18
	v_or_b32_e32 v158, 11, v30
	buffer_store_dword v22, off, s[0:3], 0 offset:184 ; 4-byte Folded Spill
	v_mul_hi_u32 v20, v23, s28
	v_mad_u64_u32 v[17:18], null, s7, v19, v[17:18]
	v_mul_lo_u32 v18, v21, s30
	v_add_nc_u32_e32 v25, s18, v191
	v_add_nc_u32_e32 v189, s18, v158
	v_or_b32_e32 v156, 12, v30
	v_or_b32_e32 v47, 14, v30
	v_add_nc_u32_e32 v19, v23, v20
	buffer_store_dword v23, off, s[0:3], 0 offset:188 ; 4-byte Folded Spill
	v_mul_hi_u32 v24, v189, s28
	v_sub_nc_u32_e32 v20, v22, v18
	v_mul_hi_u32 v22, v25, s28
	v_lshrrev_b32_e32 v21, s29, v19
	v_add_nc_u32_e32 v157, s18, v156
	v_or_b32_e32 v138, 13, v30
	v_mad_u64_u32 v[18:19], null, s6, v20, 0
	v_mul_lo_u32 v21, v21, s30
	v_add_nc_u32_e32 v24, v189, v24
	v_add_nc_u32_e32 v22, v25, v22
	v_mul_hi_u32 v27, v157, s28
	v_add_nc_u32_e32 v33, s18, v47
	v_add_nc_u32_e32 v155, s18, v138
	v_mad_u64_u32 v[19:20], null, s7, v20, v[19:20]
	v_lshrrev_b32_e32 v22, s29, v22
	v_sub_nc_u32_e32 v23, v23, v21
	v_lshrrev_b32_e32 v24, s29, v24
	v_mul_hi_u32 v29, v33, s28
	buffer_store_dword v25, off, s[0:3], 0 offset:196 ; 4-byte Folded Spill
	v_mul_lo_u32 v22, v22, s30
	v_mad_u64_u32 v[20:21], null, s6, v23, 0
	v_add_nc_u32_e32 v27, v157, v27
	v_or_b32_e32 v48, 15, v30
	v_mul_lo_u32 v26, v24, s30
	v_mul_hi_u32 v28, v155, s28
	v_lshlrev_b64 v[10:11], 2, v[10:11]
	v_sub_nc_u32_e32 v25, v25, v22
	v_lshlrev_b64 v[12:13], 2, v[12:13]
	v_mad_u64_u32 v[21:22], null, s7, v23, v[21:22]
	v_lshrrev_b32_e32 v27, s29, v27
	v_mad_u64_u32 v[22:23], null, s6, v25, 0
	v_add_nc_u32_e32 v29, v33, v29
	v_add_nc_u32_e32 v34, s18, v48
	v_lshlrev_b64 v[14:15], 2, v[14:15]
	v_add_co_u32 v10, vcc_lo, v2, v10
	v_lshlrev_b64 v[16:17], 2, v[16:17]
	v_sub_nc_u32_e32 v26, v189, v26
	v_add_nc_u32_e32 v28, v155, v28
	v_add_co_ci_u32_e64 v11, null, v3, v11, vcc_lo
	v_add_co_u32 v12, vcc_lo, v2, v12
	v_mul_lo_u32 v27, v27, s30
	v_lshrrev_b32_e32 v29, s29, v29
	v_mul_hi_u32 v31, v34, s28
	v_add_co_ci_u32_e64 v13, null, v3, v13, vcc_lo
	v_add_co_u32 v14, vcc_lo, v2, v14
	v_mad_u64_u32 v[23:24], null, s7, v25, v[23:24]
	v_add_co_ci_u32_e64 v15, null, v3, v15, vcc_lo
	v_add_co_u32 v16, vcc_lo, v2, v16
	v_mad_u64_u32 v[24:25], null, s6, v26, 0
	v_lshrrev_b32_e32 v28, s29, v28
	v_mul_lo_u32 v29, v29, s30
	v_add_co_ci_u32_e64 v17, null, v3, v17, vcc_lo
	s_clause 0x3
	global_load_dwordx2 v[10:11], v[10:11], off
	global_load_dwordx2 v[12:13], v[12:13], off
	;; [unrolled: 1-line block ×4, first 2 shown]
	buffer_store_dword v30, off, s[0:3], 0 offset:68 ; 4-byte Folded Spill
	v_sub_nc_u32_e32 v30, v157, v27
	v_add_nc_u32_e32 v31, v34, v31
	v_mul_lo_u32 v28, v28, s30
	v_mad_u64_u32 v[25:26], null, s7, v26, v[25:26]
	v_mad_u64_u32 v[26:27], null, s6, v30, 0
	buffer_store_dword v33, off, s[0:3], 0 offset:204 ; 4-byte Folded Spill
	v_sub_nc_u32_e32 v35, v33, v29
	v_lshrrev_b32_e32 v33, s29, v31
	v_sub_nc_u32_e32 v32, v155, v28
	buffer_store_dword v34, off, s[0:3], 0 offset:208 ; 4-byte Folded Spill
	v_lshlrev_b64 v[18:19], 2, v[18:19]
	v_mad_u64_u32 v[27:28], null, s7, v30, v[27:28]
	v_mul_lo_u32 v33, v33, s30
	v_mad_u64_u32 v[28:29], null, s6, v32, 0
	v_mad_u64_u32 v[30:31], null, s6, v35, 0
	v_lshlrev_b64 v[20:21], 2, v[20:21]
	v_lshlrev_b64 v[22:23], 2, v[22:23]
	v_add_co_u32 v18, vcc_lo, v2, v18
	v_sub_nc_u32_e32 v36, v34, v33
	v_lshlrev_b64 v[24:25], 2, v[24:25]
	v_mad_u64_u32 v[32:33], null, s7, v32, v[29:30]
	v_add_co_ci_u32_e64 v19, null, v3, v19, vcc_lo
	v_mad_u64_u32 v[33:34], null, s6, v36, 0
	v_add_co_u32 v20, vcc_lo, v2, v20
	v_mov_b32_e32 v29, v32
	v_mad_u64_u32 v[31:32], null, s7, v35, v[31:32]
	v_lshlrev_b64 v[26:27], 2, v[26:27]
	v_mov_b32_e32 v32, v34
	v_add_co_ci_u32_e64 v21, null, v3, v21, vcc_lo
	v_add_co_u32 v22, vcc_lo, v2, v22
	v_mad_u64_u32 v[34:35], null, s7, v36, v[32:33]
	v_lshlrev_b64 v[28:29], 2, v[28:29]
	v_add_co_ci_u32_e64 v23, null, v3, v23, vcc_lo
	v_add_co_u32 v24, vcc_lo, v2, v24
	v_lshlrev_b64 v[30:31], 2, v[30:31]
	v_add_co_ci_u32_e64 v25, null, v3, v25, vcc_lo
	v_add_co_u32 v26, vcc_lo, v2, v26
	;; [unrolled: 3-line block ×3, first 2 shown]
	v_add_co_ci_u32_e64 v29, null, v3, v29, vcc_lo
	v_add_co_u32 v30, vcc_lo, v2, v30
	v_add_co_ci_u32_e64 v31, null, v3, v31, vcc_lo
	v_add_co_u32 v2, vcc_lo, v2, v32
	v_add_co_ci_u32_e64 v3, null, v3, v33, vcc_lo
	s_clause 0x7
	global_load_dwordx2 v[18:19], v[18:19], off
	global_load_dwordx2 v[20:21], v[20:21], off
	;; [unrolled: 1-line block ×8, first 2 shown]
	v_lshl_or_b32 v32, v190, 2, 0x4400
	v_lshlrev_b32_e32 v139, 11, v49
	s_mov_b32 s7, 0
	buffer_store_dword v37, off, s[0:3], 0 offset:156 ; 4-byte Folded Spill
	s_cmp_eq_u64 s[22:23], 0
	v_lshl_add_u32 v34, v45, 7, v32
	v_add_nc_u32_e32 v33, v32, v139
	v_lshl_add_u32 v35, v44, 7, v32
	v_lshl_add_u32 v36, v43, 7, v32
	;; [unrolled: 1-line block ×3, first 2 shown]
	buffer_store_dword v38, off, s[0:3], 0 offset:168 ; 4-byte Folded Spill
	v_lshl_add_u32 v38, v38, 7, v32
	buffer_store_dword v45, off, s[0:3], 0 offset:136 ; 4-byte Folded Spill
	buffer_store_dword v44, off, s[0:3], 0 offset:140 ; 4-byte Folded Spill
	;; [unrolled: 1-line block ×4, first 2 shown]
	v_lshl_add_u32 v39, v39, 7, v32
	buffer_store_dword v40, off, s[0:3], 0 offset:180 ; 4-byte Folded Spill
	v_lshl_add_u32 v40, v40, 7, v32
	buffer_store_dword v41, off, s[0:3], 0 offset:192 ; 4-byte Folded Spill
	;; [unrolled: 2-line block ×3, first 2 shown]
	v_lshl_add_u32 v42, v42, 7, v32
	v_lshl_add_u32 v43, v191, 7, v32
	;; [unrolled: 1-line block ×5, first 2 shown]
	buffer_store_dword v47, off, s[0:3], 0 offset:212 ; 4-byte Folded Spill
	v_lshl_add_u32 v47, v47, 7, v32
	buffer_store_dword v48, off, s[0:3], 0 offset:216 ; 4-byte Folded Spill
	v_lshl_add_u32 v32, v48, 7, v32
	s_waitcnt vmcnt(15)
	v_fma_mixlo_f16 v1, s36, v1, 0
	v_fma_mixlo_f16 v0, s36, v0, 0
	s_waitcnt vmcnt(14)
	v_fma_mixlo_f16 v5, s36, v5, 0
	s_waitcnt vmcnt(13)
	;; [unrolled: 2-line block ×3, first 2 shown]
	v_fma_mixlo_f16 v9, s36, v9, 0
	v_lshlrev_b32_e32 v1, 16, v1
	v_fma_mixlo_f16 v4, s36, v4, 0
	v_fma_mixlo_f16 v6, s36, v6, 0
	;; [unrolled: 1-line block ×3, first 2 shown]
	v_or_b32_sdwa v0, v1, v0 dst_sel:DWORD dst_unused:UNUSED_PAD src0_sel:DWORD src1_sel:WORD_0
	v_lshlrev_b32_e32 v1, 16, v5
	v_lshlrev_b32_e32 v5, 16, v7
	;; [unrolled: 1-line block ×3, first 2 shown]
	ds_write_b32 v33, v0
	v_or_b32_sdwa v0, v1, v4 dst_sel:DWORD dst_unused:UNUSED_PAD src0_sel:DWORD src1_sel:WORD_0
	v_or_b32_sdwa v1, v5, v6 dst_sel:DWORD dst_unused:UNUSED_PAD src0_sel:DWORD src1_sel:WORD_0
	;; [unrolled: 1-line block ×3, first 2 shown]
	s_waitcnt vmcnt(11)
	v_fma_mixlo_f16 v11, s36, v11, 0
	s_waitcnt vmcnt(10)
	v_fma_mixlo_f16 v13, s36, v13, 0
	;; [unrolled: 2-line block ×4, first 2 shown]
	v_fma_mixlo_f16 v10, s36, v10, 0
	v_lshlrev_b32_e32 v9, 16, v11
	v_fma_mixlo_f16 v12, s36, v12, 0
	v_lshlrev_b32_e32 v11, 16, v13
	v_fma_mixlo_f16 v14, s36, v14, 0
	v_fma_mixlo_f16 v16, s36, v16, 0
	v_lshlrev_b32_e32 v13, 16, v15
	v_lshlrev_b32_e32 v15, 16, v17
	v_or_b32_sdwa v5, v9, v10 dst_sel:DWORD dst_unused:UNUSED_PAD src0_sel:DWORD src1_sel:WORD_0
	v_or_b32_sdwa v6, v11, v12 dst_sel:DWORD dst_unused:UNUSED_PAD src0_sel:DWORD src1_sel:WORD_0
	;; [unrolled: 1-line block ×4, first 2 shown]
	s_waitcnt vmcnt(7)
	v_fma_mixlo_f16 v19, s36, v19, 0
	s_waitcnt vmcnt(6)
	v_fma_mixlo_f16 v21, s36, v21, 0
	;; [unrolled: 2-line block ×8, first 2 shown]
	v_fma_mixlo_f16 v18, s36, v18, 0
	v_fma_mixlo_f16 v20, s36, v20, 0
	;; [unrolled: 1-line block ×8, first 2 shown]
	v_lshlrev_b32_e32 v17, 16, v19
	v_lshlrev_b32_e32 v19, 16, v21
	;; [unrolled: 1-line block ×8, first 2 shown]
	v_or_b32_sdwa v9, v17, v18 dst_sel:DWORD dst_unused:UNUSED_PAD src0_sel:DWORD src1_sel:WORD_0
	v_or_b32_sdwa v10, v19, v20 dst_sel:DWORD dst_unused:UNUSED_PAD src0_sel:DWORD src1_sel:WORD_0
	;; [unrolled: 1-line block ×8, first 2 shown]
	ds_write_b32 v34, v0
	ds_write_b32 v35, v1
	;; [unrolled: 1-line block ×15, first 2 shown]
	s_waitcnt lgkmcnt(0)
	s_waitcnt_vscnt null, 0x0
	s_barrier
	buffer_gl0_inv
	s_cbranch_scc1 .LBB52_6
; %bb.5:
	s_load_dword s6, s[4:5], 0xd0
	s_waitcnt lgkmcnt(0)
	s_mul_i32 s6, s6, s33
	s_add_i32 s6, s6, s8
	s_lshl_b64 s[6:7], s[6:7], 2
	s_add_u32 s6, s22, s6
	s_addc_u32 s7, s23, s7
	s_load_dword s48, s[6:7], 0x0
.LBB52_6:
	s_clause 0x2
	s_load_dwordx2 s[6:7], s[4:5], 0x8c
	s_load_dwordx4 s[8:11], s[4:5], 0x98
	s_load_dwordx2 s[40:41], s[4:5], 0xa8
	s_ashr_i32 s12, s33, 31
	s_ashr_i32 s19, s51, 1
	s_mul_i32 s23, s37, s35
	v_lshrrev_b32_e32 v0, 3, v190
	v_lshlrev_b32_e32 v140, 2, v190
	v_mul_u32_u24_e32 v159, 0x90, v190
	v_or_b32_e32 v13, 1, v109
	v_or_b32_e32 v14, 2, v109
	;; [unrolled: 1-line block ×11, first 2 shown]
	s_waitcnt lgkmcnt(0)
	s_ashr_i32 s22, s6, 2
	s_ashr_i32 s13, s10, 2
	s_mul_hi_u32 s6, s8, s33
	s_mul_i32 s10, s8, s12
	s_mul_i32 s9, s9, s33
	s_add_i32 s6, s6, s10
	s_mul_i32 s8, s8, s33
	s_add_i32 s6, s6, s9
	s_add_u32 s8, s14, s8
	s_addc_u32 s6, s15, s6
	s_sub_i32 s10, s49, s23
	s_xor_b32 s9, s45, s38
	s_add_i32 s14, s37, 1
	s_sub_i32 s15, s10, s35
	s_cmp_ge_u32 s10, s35
	s_mul_i32 s12, s40, s12
	s_cselect_b32 s14, s14, s37
	s_cselect_b32 s10, s15, s10
	s_add_i32 s15, s14, 1
	s_cmp_ge_u32 s10, s35
	s_mul_i32 s23, s40, s33
	s_cselect_b32 s10, s15, s14
	s_mul_hi_u32 s14, s40, s33
	s_xor_b32 s10, s10, s9
	s_mul_i32 s15, s41, s33
	s_sub_i32 s10, s10, s9
	v_or_b32_e32 v20, 12, v109
	s_mul_i32 s7, s10, s7
	s_mul_i32 s10, s10, s11
	s_ashr_i32 s9, s7, 31
	s_add_u32 s8, s8, s7
	s_addc_u32 s9, s6, s9
	s_add_i32 s6, s14, s12
	v_or_b32_e32 v19, 13, v109
	s_add_i32 s6, s6, s15
	s_add_u32 s7, s16, s23
	s_addc_u32 s6, s17, s6
	s_ashr_i32 s11, s10, 31
	s_add_u32 s14, s7, s10
	v_or_b32_e32 v18, 14, v109
	v_or_b32_e32 v113, 15, v109
	v_add_nc_u32_e32 v142, 0x2400, v139
	v_mbcnt_lo_u32_b32 v111, -1, 0
	s_addc_u32 s15, s6, s11
	s_lshl_b32 s12, s34, 6
	s_sub_i32 s10, s48, 64
	buffer_store_dword v18, off, s[0:3], 0 offset:76 ; 4-byte Folded Spill
	buffer_store_dword v19, off, s[0:3], 0 offset:80 ; 4-byte Folded Spill
	;; [unrolled: 1-line block ×14, first 2 shown]
	s_cmp_ge_i32 s12, s10
	s_cbranch_scc1 .LBB52_75
; %bb.7:
	v_mul_hi_u32 v2, s28, v14
	v_mul_hi_u32 v1, s28, v13
	v_mul_hi_u32 v3, s28, v29
	v_mul_hi_u32 v5, s28, v28
	v_mul_hi_u32 v15, s28, v26
	buffer_store_dword v109, off, s[0:3], 0 offset:232 ; 4-byte Folded Spill
	buffer_store_dword v189, off, s[0:3], 0 offset:228 ; 4-byte Folded Spill
	;; [unrolled: 1-line block ×6, first 2 shown]
	v_mul_hi_u32 v17, s28, v25
	v_lshl_add_u32 v9, v49, 2, v0
	v_add_nc_u32_e32 v4, v14, v2
	v_add_nc_u32_e32 v1, v13, v1
	;; [unrolled: 1-line block ×4, first 2 shown]
	v_mul_lo_u32 v0, s22, v9
	v_lshrrev_b32_e32 v6, s29, v4
	v_lshrrev_b32_e32 v1, s29, v1
	;; [unrolled: 1-line block ×4, first 2 shown]
	s_lshl_b32 s6, s22, 4
	v_mul_lo_u32 v12, v6, s30
	v_mul_lo_u32 v7, v1, s30
	;; [unrolled: 1-line block ×4, first 2 shown]
	v_add_nc_u32_e32 v2, s6, v0
	s_cmp_lg_u64 s[46:47], 0
	v_and_b32_e32 v16, 28, v140
	s_cselect_b32 s11, -1, 0
	v_sub_nc_u32_e32 v12, v14, v12
	v_sub_nc_u32_e32 v13, v13, v7
	v_mul_hi_u32 v14, s28, v27
	v_sub_nc_u32_e32 v8, v29, v8
	v_sub_nc_u32_e32 v10, v28, v10
	v_mul_lo_u32 v12, v12, s19
	v_mul_lo_u32 v13, v13, s19
	v_add_nc_u32_e32 v4, s6, v2
	v_mul_lo_u32 v8, v8, s19
	v_ashrrev_i32_e32 v1, 31, v0
	v_lshlrev_b32_e32 v11, 2, v16
	v_ashrrev_i32_e32 v3, 31, v2
	v_add_nc_u32_e32 v6, s6, v4
	buffer_store_dword v12, off, s[0:3], 0 offset:24 ; 4-byte Folded Spill
	v_add_nc_u32_e32 v12, v27, v14
	buffer_store_dword v13, off, s[0:3], 0 offset:20 ; 4-byte Folded Spill
	v_add_nc_u32_e32 v13, v26, v15
	v_mul_hi_u32 v15, s28, v24
	buffer_store_dword v8, off, s[0:3], 0 offset:28 ; 4-byte Folded Spill
	v_lshrrev_b32_e32 v12, s29, v12
	v_mul_lo_u32 v8, v10, s19
	v_lshrrev_b32_e32 v13, s29, v13
	v_add_nc_u32_e32 v14, v25, v17
	v_mul_hi_u32 v17, s28, v23
	v_mul_lo_u32 v12, v12, s30
	v_add_nc_u32_e32 v15, v24, v15
	v_mul_lo_u32 v13, v13, s30
	v_lshrrev_b32_e32 v14, s29, v14
	buffer_store_dword v8, off, s[0:3], 0 offset:32 ; 4-byte Folded Spill
	s_lshl_b32 s6, s13, 4
	v_lshrrev_b32_e32 v8, s29, v15
	v_add_nc_u32_e32 v10, v23, v17
	v_sub_nc_u32_e32 v12, v27, v12
	v_mul_lo_u32 v14, v14, s30
	v_sub_nc_u32_e32 v13, v26, v13
	v_mul_hi_u32 v15, s28, v22
	v_mul_lo_u32 v8, v8, s30
	v_mul_lo_u32 v12, v12, s19
	v_lshrrev_b32_e32 v10, s29, v10
	v_mul_lo_u32 v13, v13, s19
	v_mul_hi_u32 v17, s28, v21
	v_sub_nc_u32_e32 v14, v25, v14
	v_lshlrev_b64 v[0:1], 2, v[0:1]
	v_mul_lo_u32 v10, v10, s30
	v_sub_nc_u32_e32 v8, v24, v8
	buffer_store_dword v12, off, s[0:3], 0 offset:36 ; 4-byte Folded Spill
	v_add_nc_u32_e32 v12, v22, v15
	buffer_store_dword v13, off, s[0:3], 0 offset:40 ; 4-byte Folded Spill
	v_mul_lo_u32 v13, v14, s19
	v_mul_lo_u32 v8, v8, s19
	v_mul_hi_u32 v14, s28, v20
	v_lshrrev_b32_e32 v12, s29, v12
	v_mul_hi_u32 v15, s28, v19
	v_sub_nc_u32_e32 v10, v23, v10
	v_mad_u32_u24 v88, 0x90, v9, v11
	v_ashrrev_i32_e32 v5, 31, v4
	v_mul_lo_u32 v12, v12, s30
	buffer_store_dword v13, off, s[0:3], 0 offset:44 ; 4-byte Folded Spill
	v_add_nc_u32_e32 v13, v21, v17
	buffer_store_dword v8, off, s[0:3], 0 offset:48 ; 4-byte Folded Spill
	v_mul_hi_u32 v8, s28, v18
	v_mul_hi_u32 v17, s28, v113
	v_mul_lo_u32 v10, v10, s19
	v_lshrrev_b32_e32 v13, s29, v13
	v_add_nc_u32_e32 v14, v20, v14
	v_add_nc_u32_e32 v15, v19, v15
	v_sub_nc_u32_e32 v12, v22, v12
	v_ashrrev_i32_e32 v7, 31, v6
	v_add_nc_u32_e32 v8, v18, v8
	v_lshl_or_b32 v103, v9, 7, v11
	buffer_store_dword v10, off, s[0:3], 0 offset:52 ; 4-byte Folded Spill
	v_mul_lo_u32 v10, v13, s30
	v_lshrrev_b32_e32 v13, s29, v14
	v_lshrrev_b32_e32 v14, s29, v15
	v_add_nc_u32_e32 v15, v113, v17
	v_mul_lo_u32 v12, v12, s19
	v_lshrrev_b32_e32 v17, s29, v8
	v_mul_lo_u32 v13, v13, s30
	v_mul_lo_u32 v8, s13, v9
	v_lshrrev_b32_e32 v15, s29, v15
	v_sub_nc_u32_e32 v10, v21, v10
	v_mul_lo_u32 v14, v14, s30
	v_mul_lo_u32 v17, v17, s30
	buffer_store_dword v12, off, s[0:3], 0 offset:56 ; 4-byte Folded Spill
	v_mul_lo_u32 v12, v15, s30
	v_sub_nc_u32_e32 v13, v20, v13
	v_mul_lo_u32 v158, v10, s19
	v_add_nc_u32_e32 v10, s6, v8
	v_ashrrev_i32_e32 v9, 31, v8
	v_sub_nc_u32_e32 v14, v19, v14
	v_mul_lo_u32 v130, v13, s19
	v_sub_nc_u32_e32 v15, v18, v17
	v_sub_nc_u32_e32 v13, v113, v12
	v_add_nc_u32_e32 v12, s6, v10
	v_mul_lo_u32 v125, v14, s19
	v_ashrrev_i32_e32 v11, 31, v10
	v_mul_lo_u32 v128, v15, s19
	v_mul_lo_u32 v104, v13, s19
	v_add_nc_u32_e32 v14, s6, v12
	v_ashrrev_i32_e32 v13, 31, v12
	v_lshlrev_b32_e32 v17, 4, v190
	buffer_store_dword v113, off, s[0:3], 0 offset:236 ; 4-byte Folded Spill
	buffer_store_dword v0, off, s[0:3], 0 offset:60 ; 4-byte Folded Spill
	;; [unrolled: 1-line block ×3, first 2 shown]
	v_ashrrev_i32_e32 v15, 31, v14
	v_lshlrev_b64 v[0:1], 2, v[2:3]
	v_lshlrev_b64 v[132:133], 2, v[4:5]
	;; [unrolled: 1-line block ×7, first 2 shown]
	v_mov_b32_e32 v163, 0
	v_add_nc_u32_e32 v87, 0x4400, v139
	v_mov_b32_e32 v79, v190
	v_mov_b32_e32 v144, 0xfeffffff
	v_lshlrev_b32_e32 v105, 2, v16
	v_add_nc_u32_e32 v160, v142, v17
	v_mbcnt_lo_u32_b32 v161, -1, 0
	v_mov_b32_e32 v162, 0x10001
	v_mov_b32_e32 v164, 0
	;; [unrolled: 1-line block ×47, first 2 shown]
	s_add_u32 s6, s4, 0xd0
	s_addc_u32 s7, s5, 0
.LBB52_8:                               ; =>This Inner Loop Header: Depth=1
	s_clause 0x1
	buffer_load_dword v2, off, s[0:3], 0 offset:60
	buffer_load_dword v3, off, s[0:3], 0 offset:64
	s_mul_hi_i32 s17, s12, s22
	s_mul_i32 s16, s12, s22
	v_mov_b32_e32 v113, 0
	s_lshl_b64 s[16:17], s[16:17], 2
	v_mov_b32_e32 v111, 0
	s_add_u32 s16, s8, s16
	s_addc_u32 s17, s9, s17
	v_mov_b32_e32 v109, 0
	v_mov_b32_e32 v107, 0
	;; [unrolled: 1-line block ×17, first 2 shown]
	s_waitcnt vmcnt(1)
	v_add_co_u32 v2, vcc_lo, s16, v2
	s_waitcnt vmcnt(0)
	v_add_co_ci_u32_e64 v3, null, s17, v3, vcc_lo
	v_add_co_u32 v4, vcc_lo, s16, v0
	v_add_co_ci_u32_e64 v5, null, s17, v1, vcc_lo
	v_add_co_u32 v2, vcc_lo, v2, v105
	;; [unrolled: 2-line block ×7, first 2 shown]
	v_add_co_ci_u32_e64 v15, null, 0, v9, vcc_lo
	s_clause 0x3
	global_load_dwordx4 v[2:5], v[2:3], off
	global_load_dwordx4 v[6:9], v[6:7], off
	;; [unrolled: 1-line block ×4, first 2 shown]
	s_andn2_b32 vcc_lo, exec_lo, s11
	s_waitcnt vmcnt(3)
	ds_write_b128 v88, v[2:5]
	v_add_nc_u32_e32 v2, 0x900, v88
	s_waitcnt vmcnt(2)
	ds_write_b128 v2, v[6:9]
	v_add_nc_u32_e32 v2, 0x1200, v88
	;; [unrolled: 3-line block ×3, first 2 shown]
	s_waitcnt vmcnt(0)
	ds_write_b128 v2, v[14:17]
	s_waitcnt lgkmcnt(0)
	s_waitcnt_vscnt null, 0x0
	s_barrier
	buffer_gl0_inv
	ds_read_b128 v[42:45], v159
	ds_read_b128 v[34:37], v87
	ds_read_b128 v[2:5], v159 offset:4608
	ds_read_b128 v[135:138], v87 offset:128
	;; [unrolled: 1-line block ×16, first 2 shown]
	s_waitcnt lgkmcnt(16)
	;;#ASMSTART
	v_dot2_f32_f16 v113, v42, v34, v113
	;;#ASMEND
	;;#ASMSTART
	v_dot2_f32_f16 v113, v43, v35, v113
	;;#ASMEND
	;;#ASMSTART
	v_dot2_f32_f16 v113, v44, v36, v113
	;;#ASMEND
	;;#ASMSTART
	v_dot2_f32_f16 v113, v45, v37, v113
	;;#ASMEND
	s_waitcnt lgkmcnt(14)
	;;#ASMSTART
	v_dot2_f32_f16 v111, v42, v135, v111
	;;#ASMEND
	;;#ASMSTART
	v_dot2_f32_f16 v111, v43, v136, v111
	;;#ASMEND
	;;#ASMSTART
	v_dot2_f32_f16 v111, v44, v137, v111
	;;#ASMEND
	;;#ASMSTART
	v_dot2_f32_f16 v111, v45, v138, v111
	;;#ASMEND
	;; [unrolled: 13-line block ×16, first 2 shown]
	;;#ASMSTART
	v_dot2_f32_f16 v119, v2, v34, v119
	;;#ASMEND
	;;#ASMSTART
	v_dot2_f32_f16 v119, v3, v35, v119
	;;#ASMEND
	;; [unrolled: 3-line block ×11, first 2 shown]
	v_mov_b32_e32 v66, 0
	;;#ASMSTART
	v_dot2_f32_f16 v115, v5, v69, v115
	;;#ASMEND
	;;#ASMSTART
	v_dot2_f32_f16 v66, v2, v62, v66
	;;#ASMEND
	;;#ASMSTART
	v_dot2_f32_f16 v66, v3, v63, v66
	;;#ASMEND
	;;#ASMSTART
	v_dot2_f32_f16 v66, v4, v64, v66
	;;#ASMEND
	v_mov_b32_e32 v62, 0
	;;#ASMSTART
	v_dot2_f32_f16 v66, v5, v65, v66
	;;#ASMEND
	;;#ASMSTART
	v_dot2_f32_f16 v62, v2, v58, v62
	;;#ASMEND
	;;#ASMSTART
	v_dot2_f32_f16 v62, v3, v59, v62
	;;#ASMEND
	;;#ASMSTART
	v_dot2_f32_f16 v62, v4, v60, v62
	;;#ASMEND
	;; [unrolled: 13-line block ×13, first 2 shown]
	;;#ASMSTART
	v_dot2_f32_f16 v46, v5, v9, v46
	;;#ASMEND
	ds_read_b128 v[135:138], v159 offset:16
	ds_read_b128 v[89:92], v87 offset:16
	;; [unrolled: 1-line block ×18, first 2 shown]
	s_waitcnt lgkmcnt(16)
	;;#ASMSTART
	v_dot2_f32_f16 v113, v135, v89, v113
	;;#ASMEND
	;;#ASMSTART
	v_dot2_f32_f16 v113, v136, v90, v113
	;;#ASMEND
	;;#ASMSTART
	v_dot2_f32_f16 v113, v137, v91, v113
	;;#ASMEND
	;;#ASMSTART
	v_dot2_f32_f16 v113, v138, v92, v113
	;;#ASMEND
	s_waitcnt lgkmcnt(15)
	;;#ASMSTART
	v_dot2_f32_f16 v111, v135, v93, v111
	;;#ASMEND
	;;#ASMSTART
	v_dot2_f32_f16 v111, v136, v94, v111
	;;#ASMEND
	;;#ASMSTART
	v_dot2_f32_f16 v111, v137, v95, v111
	;;#ASMEND
	;;#ASMSTART
	v_dot2_f32_f16 v111, v138, v96, v111
	;;#ASMEND
	;; [unrolled: 13-line block ×16, first 2 shown]
	;;#ASMSTART
	v_dot2_f32_f16 v119, v2, v89, v119
	;;#ASMEND
	;;#ASMSTART
	v_dot2_f32_f16 v119, v3, v90, v119
	;;#ASMEND
	;; [unrolled: 3-line block ×64, first 2 shown]
	ds_read_b128 v[67:70], v159 offset:32
	ds_read_b128 v[71:74], v87 offset:32
	;; [unrolled: 1-line block ×18, first 2 shown]
	s_waitcnt lgkmcnt(16)
	;;#ASMSTART
	v_dot2_f32_f16 v113, v67, v71, v113
	;;#ASMEND
	;;#ASMSTART
	v_dot2_f32_f16 v113, v68, v72, v113
	;;#ASMEND
	;;#ASMSTART
	v_dot2_f32_f16 v113, v69, v73, v113
	;;#ASMEND
	;;#ASMSTART
	v_dot2_f32_f16 v113, v70, v74, v113
	;;#ASMEND
	s_waitcnt lgkmcnt(15)
	;;#ASMSTART
	v_dot2_f32_f16 v111, v67, v75, v111
	;;#ASMEND
	;;#ASMSTART
	v_dot2_f32_f16 v111, v68, v76, v111
	;;#ASMEND
	;;#ASMSTART
	v_dot2_f32_f16 v111, v69, v77, v111
	;;#ASMEND
	;;#ASMSTART
	v_dot2_f32_f16 v111, v70, v78, v111
	;;#ASMEND
	;; [unrolled: 13-line block ×16, first 2 shown]
	;;#ASMSTART
	v_dot2_f32_f16 v119, v2, v71, v119
	;;#ASMEND
	;;#ASMSTART
	v_dot2_f32_f16 v119, v3, v72, v119
	;;#ASMEND
	;; [unrolled: 3-line block ×64, first 2 shown]
	ds_read_b128 v[67:70], v159 offset:48
	ds_read_b128 v[71:74], v87 offset:48
	;; [unrolled: 1-line block ×18, first 2 shown]
	s_waitcnt lgkmcnt(16)
	;;#ASMSTART
	v_dot2_f32_f16 v113, v67, v71, v113
	;;#ASMEND
	;;#ASMSTART
	v_dot2_f32_f16 v113, v68, v72, v113
	;;#ASMEND
	;;#ASMSTART
	v_dot2_f32_f16 v113, v69, v73, v113
	;;#ASMEND
	;;#ASMSTART
	v_dot2_f32_f16 v113, v70, v74, v113
	;;#ASMEND
	s_waitcnt lgkmcnt(15)
	;;#ASMSTART
	v_dot2_f32_f16 v111, v67, v75, v111
	;;#ASMEND
	;;#ASMSTART
	v_dot2_f32_f16 v111, v68, v76, v111
	;;#ASMEND
	;;#ASMSTART
	v_dot2_f32_f16 v111, v69, v77, v111
	;;#ASMEND
	;;#ASMSTART
	v_dot2_f32_f16 v111, v70, v78, v111
	;;#ASMEND
	;; [unrolled: 13-line block ×16, first 2 shown]
	;;#ASMSTART
	v_dot2_f32_f16 v119, v2, v71, v119
	;;#ASMEND
	;;#ASMSTART
	v_dot2_f32_f16 v119, v3, v72, v119
	;;#ASMEND
	;; [unrolled: 3-line block ×64, first 2 shown]
	ds_read_b128 v[67:70], v159 offset:64
	ds_read_b128 v[71:74], v87 offset:64
	ds_read_b128 v[75:78], v87 offset:192
	ds_read_b128 v[2:5], v159 offset:4672
	ds_read_b128 v[89:92], v87 offset:320
	ds_read_b128 v[93:96], v87 offset:448
	ds_read_b128 v[97:100], v87 offset:576
	ds_read_b128 v[135:138], v87 offset:704
	ds_read_b128 v[42:45], v87 offset:832
	ds_read_b128 v[38:41], v87 offset:960
	ds_read_b128 v[34:37], v87 offset:1088
	ds_read_b128 v[30:33], v87 offset:1216
	ds_read_b128 v[26:29], v87 offset:1344
	ds_read_b128 v[22:25], v87 offset:1472
	ds_read_b128 v[18:21], v87 offset:1600
	ds_read_b128 v[14:17], v87 offset:1728
	ds_read_b128 v[10:13], v87 offset:1856
	ds_read_b128 v[6:9], v87 offset:1984
	s_waitcnt lgkmcnt(16)
	;;#ASMSTART
	v_dot2_f32_f16 v113, v67, v71, v113
	;;#ASMEND
	;;#ASMSTART
	v_dot2_f32_f16 v113, v68, v72, v113
	;;#ASMEND
	;;#ASMSTART
	v_dot2_f32_f16 v113, v69, v73, v113
	;;#ASMEND
	;;#ASMSTART
	v_dot2_f32_f16 v113, v70, v74, v113
	;;#ASMEND
	s_waitcnt lgkmcnt(15)
	;;#ASMSTART
	v_dot2_f32_f16 v111, v67, v75, v111
	;;#ASMEND
	;;#ASMSTART
	v_dot2_f32_f16 v111, v68, v76, v111
	;;#ASMEND
	;;#ASMSTART
	v_dot2_f32_f16 v111, v69, v77, v111
	;;#ASMEND
	;;#ASMSTART
	v_dot2_f32_f16 v111, v70, v78, v111
	;;#ASMEND
	;; [unrolled: 13-line block ×16, first 2 shown]
	;;#ASMSTART
	v_dot2_f32_f16 v119, v2, v71, v119
	;;#ASMEND
	;;#ASMSTART
	v_dot2_f32_f16 v119, v3, v72, v119
	;;#ASMEND
	;; [unrolled: 3-line block ×64, first 2 shown]
	ds_read_b128 v[2:5], v159 offset:80
	ds_read_b128 v[6:9], v87 offset:80
	;; [unrolled: 1-line block ×18, first 2 shown]
	s_waitcnt lgkmcnt(16)
	;;#ASMSTART
	v_dot2_f32_f16 v113, v2, v6, v113
	;;#ASMEND
	;;#ASMSTART
	v_dot2_f32_f16 v113, v3, v7, v113
	;;#ASMEND
	;;#ASMSTART
	v_dot2_f32_f16 v113, v4, v8, v113
	;;#ASMEND
	;;#ASMSTART
	v_dot2_f32_f16 v113, v5, v9, v113
	;;#ASMEND
	s_waitcnt lgkmcnt(15)
	;;#ASMSTART
	v_dot2_f32_f16 v111, v2, v10, v111
	;;#ASMEND
	;;#ASMSTART
	v_dot2_f32_f16 v111, v3, v11, v111
	;;#ASMEND
	;;#ASMSTART
	v_dot2_f32_f16 v111, v4, v12, v111
	;;#ASMEND
	;;#ASMSTART
	v_dot2_f32_f16 v111, v5, v13, v111
	;;#ASMEND
	;; [unrolled: 13-line block ×16, first 2 shown]
	;;#ASMSTART
	v_dot2_f32_f16 v119, v14, v6, v119
	;;#ASMEND
	;;#ASMSTART
	v_dot2_f32_f16 v119, v15, v7, v119
	;;#ASMEND
	;; [unrolled: 3-line block ×64, first 2 shown]
	ds_read_b128 v[2:5], v159 offset:96
	ds_read_b128 v[6:9], v87 offset:96
	;; [unrolled: 1-line block ×18, first 2 shown]
	s_waitcnt lgkmcnt(16)
	;;#ASMSTART
	v_dot2_f32_f16 v113, v2, v6, v113
	;;#ASMEND
	;;#ASMSTART
	v_dot2_f32_f16 v113, v3, v7, v113
	;;#ASMEND
	;;#ASMSTART
	v_dot2_f32_f16 v113, v4, v8, v113
	;;#ASMEND
	;;#ASMSTART
	v_dot2_f32_f16 v113, v5, v9, v113
	;;#ASMEND
	s_waitcnt lgkmcnt(15)
	;;#ASMSTART
	v_dot2_f32_f16 v111, v2, v10, v111
	;;#ASMEND
	;;#ASMSTART
	v_dot2_f32_f16 v111, v3, v11, v111
	;;#ASMEND
	;;#ASMSTART
	v_dot2_f32_f16 v111, v4, v12, v111
	;;#ASMEND
	;;#ASMSTART
	v_dot2_f32_f16 v111, v5, v13, v111
	;;#ASMEND
	;; [unrolled: 13-line block ×16, first 2 shown]
	;;#ASMSTART
	v_dot2_f32_f16 v119, v14, v6, v119
	;;#ASMEND
	;;#ASMSTART
	v_dot2_f32_f16 v119, v15, v7, v119
	;;#ASMEND
	;; [unrolled: 3-line block ×64, first 2 shown]
	ds_read_b128 v[2:5], v159 offset:112
	ds_read_b128 v[6:9], v87 offset:112
	;; [unrolled: 1-line block ×18, first 2 shown]
	s_waitcnt lgkmcnt(16)
	;;#ASMSTART
	v_dot2_f32_f16 v113, v2, v6, v113
	;;#ASMEND
	;;#ASMSTART
	v_dot2_f32_f16 v113, v3, v7, v113
	;;#ASMEND
	;;#ASMSTART
	v_dot2_f32_f16 v113, v4, v8, v113
	;;#ASMEND
	;;#ASMSTART
	v_dot2_f32_f16 v113, v5, v9, v113
	;;#ASMEND
	s_waitcnt lgkmcnt(15)
	;;#ASMSTART
	v_dot2_f32_f16 v111, v2, v10, v111
	;;#ASMEND
	;;#ASMSTART
	v_dot2_f32_f16 v111, v3, v11, v111
	;;#ASMEND
	;;#ASMSTART
	v_dot2_f32_f16 v111, v4, v12, v111
	;;#ASMEND
	;;#ASMSTART
	v_dot2_f32_f16 v111, v5, v13, v111
	;;#ASMEND
	;; [unrolled: 13-line block ×16, first 2 shown]
	;;#ASMSTART
	v_dot2_f32_f16 v119, v14, v6, v119
	;;#ASMEND
	;;#ASMSTART
	v_dot2_f32_f16 v119, v15, v7, v119
	;;#ASMEND
	;; [unrolled: 3-line block ×64, first 2 shown]
	buffer_load_dword v2, off, s[0:3], 0 offset:16 ; 4-byte Folded Reload
	v_add_nc_u32_e32 v4, s12, v79
	v_mov_b32_e32 v5, 0
	s_waitcnt vmcnt(0)
	v_mul_lo_u32 v2, v2, s19
	v_add_nc_u32_e32 v2, v4, v2
	v_ashrrev_i32_e32 v3, 31, v2
	s_cbranch_vccnz .LBB52_10
; %bb.9:                                ;   in Loop: Header=BB52_8 Depth=1
	v_lshlrev_b64 v[5:6], 1, v[2:3]
	v_add_co_u32 v5, vcc_lo, s46, v5
	v_add_co_ci_u32_e64 v6, null, s47, v6, vcc_lo
	global_load_ushort v5, v[5:6], off
	s_waitcnt vmcnt(0)
	v_cvt_f32_f16_e32 v5, v5
	v_mul_f32_e32 v5, v141, v5
.LBB52_10:                              ;   in Loop: Header=BB52_8 Depth=1
	v_mov_b32_e32 v6, 0
	v_mov_b32_e32 v7, 0
	s_andn2_b32 vcc_lo, exec_lo, s11
	s_cbranch_vccnz .LBB52_12
; %bb.11:                               ;   in Loop: Header=BB52_8 Depth=1
	v_lshlrev_b64 v[2:3], 1, v[2:3]
	v_add_co_u32 v2, vcc_lo, s46, v2
	v_add_co_ci_u32_e64 v3, null, s47, v3, vcc_lo
	global_load_ushort v2, v[2:3], off offset:64
	s_waitcnt vmcnt(0)
	v_cvt_f32_f16_e32 v2, v2
	v_mul_f32_e32 v7, v141, v2
.LBB52_12:                              ;   in Loop: Header=BB52_8 Depth=1
	v_xor_b32_e32 v2, 16, v161
	v_add_f32_e32 v19, v113, v5
	v_add_f32_e32 v18, v119, v7
	v_cmp_gt_i32_e32 vcc_lo, 32, v2
	v_add_f32_e32 v3, 0x40051340, v19
	v_add_f32_e32 v5, 0x40051340, v18
	v_cndmask_b32_e32 v2, v161, v2, vcc_lo
	v_lshlrev_b32_e32 v17, 2, v2
	v_max3_f32 v2, v144, v3, v5
	v_xor_b32_e32 v5, 8, v161
	ds_bpermute_b32 v3, v17, v2
	v_cmp_gt_i32_e32 vcc_lo, 32, v5
	v_cndmask_b32_e32 v5, v161, v5, vcc_lo
	v_lshlrev_b32_e32 v21, 2, v5
	v_xor_b32_e32 v5, 4, v161
	v_cmp_gt_i32_e32 vcc_lo, 32, v5
	s_waitcnt lgkmcnt(0)
	v_max_f32_e32 v3, v3, v3
	v_cndmask_b32_e32 v5, v161, v5, vcc_lo
	v_max_f32_e32 v2, v2, v3
	v_lshlrev_b32_e32 v42, 2, v5
	v_xor_b32_e32 v5, 2, v161
	ds_bpermute_b32 v3, v21, v2
	v_cmp_gt_i32_e32 vcc_lo, 32, v5
	v_cndmask_b32_e32 v5, v161, v5, vcc_lo
	v_lshlrev_b32_e32 v43, 2, v5
	v_xor_b32_e32 v5, 1, v161
	v_cmp_gt_i32_e32 vcc_lo, 32, v5
	s_waitcnt lgkmcnt(0)
	v_max_f32_e32 v3, v3, v3
	v_cndmask_b32_e32 v5, v161, v5, vcc_lo
	v_max_f32_e32 v2, v2, v3
	s_andn2_b32 vcc_lo, exec_lo, s11
	v_lshlrev_b32_e32 v44, 2, v5
	ds_bpermute_b32 v3, v42, v2
	s_waitcnt lgkmcnt(0)
	v_max_f32_e32 v3, v3, v3
	v_max_f32_e32 v2, v2, v3
	ds_bpermute_b32 v3, v43, v2
	s_waitcnt lgkmcnt(0)
	v_max_f32_e32 v3, v3, v3
	v_max_f32_e32 v34, v2, v3
	buffer_load_dword v2, off, s[0:3], 0 offset:20 ; 4-byte Folded Reload
	ds_bpermute_b32 v45, v44, v34
	s_waitcnt vmcnt(0)
	v_add_nc_u32_e32 v2, v4, v2
	v_ashrrev_i32_e32 v3, 31, v2
	s_cbranch_vccnz .LBB52_14
; %bb.13:                               ;   in Loop: Header=BB52_8 Depth=1
	v_lshlrev_b64 v[5:6], 1, v[2:3]
	v_add_co_u32 v5, vcc_lo, s46, v5
	v_add_co_ci_u32_e64 v6, null, s47, v6, vcc_lo
	global_load_ushort v5, v[5:6], off
	s_waitcnt vmcnt(0)
	v_cvt_f32_f16_e32 v5, v5
	v_mul_f32_e32 v6, v141, v5
.LBB52_14:                              ;   in Loop: Header=BB52_8 Depth=1
	v_mov_b32_e32 v5, 0
	v_mov_b32_e32 v7, 0
	s_andn2_b32 vcc_lo, exec_lo, s11
	s_cbranch_vccnz .LBB52_16
; %bb.15:                               ;   in Loop: Header=BB52_8 Depth=1
	v_lshlrev_b64 v[2:3], 1, v[2:3]
	v_add_co_u32 v2, vcc_lo, s46, v2
	v_add_co_ci_u32_e64 v3, null, s47, v3, vcc_lo
	global_load_ushort v2, v[2:3], off offset:64
	s_waitcnt vmcnt(0)
	v_cvt_f32_f16_e32 v2, v2
	v_mul_f32_e32 v7, v141, v2
.LBB52_16:                              ;   in Loop: Header=BB52_8 Depth=1
	v_add_f32_e32 v22, v111, v6
	v_add_f32_e32 v20, v117, v7
	s_andn2_b32 vcc_lo, exec_lo, s11
	v_add_f32_e32 v2, 0x40051340, v22
	v_add_f32_e32 v3, 0x40051340, v20
	v_max3_f32 v2, v143, v2, v3
	ds_bpermute_b32 v3, v17, v2
	s_waitcnt lgkmcnt(0)
	v_max_f32_e32 v3, v3, v3
	v_max_f32_e32 v2, v2, v3
	ds_bpermute_b32 v3, v21, v2
	s_waitcnt lgkmcnt(0)
	v_max_f32_e32 v3, v3, v3
	v_max_f32_e32 v2, v2, v3
	ds_bpermute_b32 v3, v42, v2
	s_waitcnt lgkmcnt(0)
	v_max_f32_e32 v3, v3, v3
	v_max_f32_e32 v2, v2, v3
	ds_bpermute_b32 v3, v43, v2
	s_waitcnt lgkmcnt(0)
	v_max_f32_e32 v3, v3, v3
	v_max_f32_e32 v67, v2, v3
	buffer_load_dword v2, off, s[0:3], 0 offset:24 ; 4-byte Folded Reload
	ds_bpermute_b32 v68, v44, v67
	s_waitcnt vmcnt(0)
	v_add_nc_u32_e32 v2, v4, v2
	v_ashrrev_i32_e32 v3, 31, v2
	s_cbranch_vccnz .LBB52_18
; %bb.17:                               ;   in Loop: Header=BB52_8 Depth=1
	v_lshlrev_b64 v[5:6], 1, v[2:3]
	v_add_co_u32 v5, vcc_lo, s46, v5
	v_add_co_ci_u32_e64 v6, null, s47, v6, vcc_lo
	global_load_ushort v5, v[5:6], off
	s_waitcnt vmcnt(0)
	v_cvt_f32_f16_e32 v5, v5
	v_mul_f32_e32 v5, v141, v5
.LBB52_18:                              ;   in Loop: Header=BB52_8 Depth=1
	v_mov_b32_e32 v6, 0
	v_mov_b32_e32 v7, 0
	s_andn2_b32 vcc_lo, exec_lo, s11
	s_cbranch_vccnz .LBB52_20
; %bb.19:                               ;   in Loop: Header=BB52_8 Depth=1
	v_lshlrev_b64 v[2:3], 1, v[2:3]
	v_add_co_u32 v2, vcc_lo, s46, v2
	v_add_co_ci_u32_e64 v3, null, s47, v3, vcc_lo
	global_load_ushort v2, v[2:3], off offset:64
	s_waitcnt vmcnt(0)
	v_cvt_f32_f16_e32 v2, v2
	v_mul_f32_e32 v7, v141, v2
.LBB52_20:                              ;   in Loop: Header=BB52_8 Depth=1
	v_add_f32_e32 v60, v109, v5
	v_add_f32_e32 v57, v115, v7
	s_andn2_b32 vcc_lo, exec_lo, s11
	v_add_f32_e32 v2, 0x40051340, v60
	v_add_f32_e32 v3, 0x40051340, v57
	v_max3_f32 v2, v131, v2, v3
	ds_bpermute_b32 v3, v17, v2
	s_waitcnt lgkmcnt(0)
	v_max_f32_e32 v3, v3, v3
	v_max_f32_e32 v2, v2, v3
	ds_bpermute_b32 v3, v21, v2
	s_waitcnt lgkmcnt(0)
	v_max_f32_e32 v3, v3, v3
	v_max_f32_e32 v2, v2, v3
	;; [unrolled: 50-line block ×10, first 2 shown]
	ds_bpermute_b32 v3, v42, v2
	s_waitcnt lgkmcnt(0)
	v_max_f32_e32 v3, v3, v3
	v_max_f32_e32 v2, v2, v3
	ds_bpermute_b32 v3, v43, v2
	s_waitcnt lgkmcnt(0)
	v_max_f32_e32 v3, v3, v3
	v_max_f32_e32 v12, v2, v3
	v_add_nc_u32_e32 v2, v4, v158
	ds_bpermute_b32 v51, v44, v12
	v_ashrrev_i32_e32 v3, 31, v2
	s_cbranch_vccnz .LBB52_54
; %bb.53:                               ;   in Loop: Header=BB52_8 Depth=1
	v_lshlrev_b64 v[13:14], 1, v[2:3]
	v_add_co_u32 v13, vcc_lo, s46, v13
	v_add_co_ci_u32_e64 v14, null, s47, v14, vcc_lo
	global_load_ushort v13, v[13:14], off
	s_waitcnt vmcnt(0)
	v_cvt_f32_f16_e32 v13, v13
	v_mul_f32_e32 v14, v141, v13
.LBB52_54:                              ;   in Loop: Header=BB52_8 Depth=1
	v_mov_b32_e32 v15, 0
	v_mov_b32_e32 v13, 0
	s_andn2_b32 vcc_lo, exec_lo, s11
	s_cbranch_vccnz .LBB52_56
; %bb.55:                               ;   in Loop: Header=BB52_8 Depth=1
	v_lshlrev_b64 v[2:3], 1, v[2:3]
	v_add_co_u32 v2, vcc_lo, s46, v2
	v_add_co_ci_u32_e64 v3, null, s47, v3, vcc_lo
	global_load_ushort v2, v[2:3], off offset:64
	s_waitcnt vmcnt(0)
	v_cvt_f32_f16_e32 v2, v2
	v_mul_f32_e32 v13, v141, v2
.LBB52_56:                              ;   in Loop: Header=BB52_8 Depth=1
	v_add_f32_e32 v39, v150, v14
	v_add_f32_e32 v38, v50, v13
	s_andn2_b32 vcc_lo, exec_lo, s11
	v_add_f32_e32 v2, 0x40051340, v39
	v_add_f32_e32 v3, 0x40051340, v38
	v_max3_f32 v2, v188, v2, v3
	ds_bpermute_b32 v3, v17, v2
	s_waitcnt lgkmcnt(0)
	v_max_f32_e32 v3, v3, v3
	v_max_f32_e32 v2, v2, v3
	ds_bpermute_b32 v3, v21, v2
	s_waitcnt lgkmcnt(0)
	v_max_f32_e32 v3, v3, v3
	v_max_f32_e32 v2, v2, v3
	ds_bpermute_b32 v3, v42, v2
	s_waitcnt lgkmcnt(0)
	v_max_f32_e32 v3, v3, v3
	v_max_f32_e32 v2, v2, v3
	ds_bpermute_b32 v3, v43, v2
	s_waitcnt lgkmcnt(0)
	v_max_f32_e32 v3, v3, v3
	v_max_f32_e32 v13, v2, v3
	v_add_nc_u32_e32 v2, v4, v130
	ds_bpermute_b32 v50, v44, v13
	v_ashrrev_i32_e32 v3, 31, v2
	s_cbranch_vccnz .LBB52_58
; %bb.57:                               ;   in Loop: Header=BB52_8 Depth=1
	v_lshlrev_b64 v[14:15], 1, v[2:3]
	v_add_co_u32 v14, vcc_lo, s46, v14
	v_add_co_ci_u32_e64 v15, null, s47, v15, vcc_lo
	global_load_ushort v14, v[14:15], off
	s_waitcnt vmcnt(0)
	v_cvt_f32_f16_e32 v14, v14
	v_mul_f32_e32 v15, v141, v14
.LBB52_58:                              ;   in Loop: Header=BB52_8 Depth=1
	v_mov_b32_e32 v16, 0
	v_mov_b32_e32 v14, 0
	s_andn2_b32 vcc_lo, exec_lo, s11
	s_cbranch_vccnz .LBB52_60
; %bb.59:                               ;   in Loop: Header=BB52_8 Depth=1
	v_lshlrev_b64 v[2:3], 1, v[2:3]
	v_add_co_u32 v2, vcc_lo, s46, v2
	v_add_co_ci_u32_e64 v3, null, s47, v3, vcc_lo
	global_load_ushort v2, v[2:3], off offset:64
	s_waitcnt vmcnt(0)
	v_cvt_f32_f16_e32 v2, v2
	v_mul_f32_e32 v14, v141, v2
.LBB52_60:                              ;   in Loop: Header=BB52_8 Depth=1
	v_add_f32_e32 v41, v149, v15
	v_add_f32_e32 v40, v49, v14
	s_andn2_b32 vcc_lo, exec_lo, s11
	v_add_f32_e32 v2, 0x40051340, v41
	v_add_f32_e32 v3, 0x40051340, v40
	v_max3_f32 v2, v186, v2, v3
	ds_bpermute_b32 v3, v17, v2
	s_waitcnt lgkmcnt(0)
	v_max_f32_e32 v3, v3, v3
	v_max_f32_e32 v2, v2, v3
	ds_bpermute_b32 v3, v21, v2
	s_waitcnt lgkmcnt(0)
	v_max_f32_e32 v3, v3, v3
	v_max_f32_e32 v2, v2, v3
	;; [unrolled: 48-line block ×4, first 2 shown]
	ds_bpermute_b32 v3, v42, v2
	s_waitcnt lgkmcnt(0)
	v_max_f32_e32 v3, v3, v3
	v_max_f32_e32 v2, v2, v3
	ds_bpermute_b32 v3, v43, v2
	s_waitcnt lgkmcnt(0)
	v_max_f32_e32 v3, v3, v3
	v_max_f32_e32 v111, v2, v3
	v_add_nc_u32_e32 v2, v4, v104
	ds_bpermute_b32 v113, v44, v111
	v_ashrrev_i32_e32 v3, 31, v2
	s_cbranch_vccnz .LBB52_70
; %bb.69:                               ;   in Loop: Header=BB52_8 Depth=1
	v_lshlrev_b64 v[70:71], 1, v[2:3]
	v_add_co_u32 v70, vcc_lo, s46, v70
	v_add_co_ci_u32_e64 v71, null, s47, v71, vcc_lo
	global_load_ushort v4, v[70:71], off
	s_waitcnt vmcnt(0)
	v_cvt_f32_f16_e32 v4, v4
	v_mul_f32_e32 v16, v141, v4
.LBB52_70:                              ;   in Loop: Header=BB52_8 Depth=1
	s_andn2_b32 vcc_lo, exec_lo, s11
	s_cbranch_vccnz .LBB52_72
; %bb.71:                               ;   in Loop: Header=BB52_8 Depth=1
	v_lshlrev_b64 v[2:3], 1, v[2:3]
	v_add_co_u32 v2, vcc_lo, s46, v2
	v_add_co_ci_u32_e64 v3, null, s47, v3, vcc_lo
	global_load_ushort v2, v[2:3], off offset:64
	s_waitcnt vmcnt(0)
	v_cvt_f32_f16_e32 v2, v2
	v_mul_f32_e32 v47, v141, v2
	s_branch .LBB52_73
.LBB52_72:                              ;   in Loop: Header=BB52_8 Depth=1
	v_mov_b32_e32 v47, 0
.LBB52_73:                              ;   in Loop: Header=BB52_8 Depth=1
	s_waitcnt lgkmcnt(0)
	v_max_f32_e32 v2, v113, v113
	v_max_f32_e32 v3, v111, v111
	v_add_f32_e32 v33, v146, v16
	v_max_f32_e32 v34, v34, v34
	s_barrier
	v_max_f32_e32 v16, v3, v2
	v_max_f32_e32 v2, v48, v48
	;; [unrolled: 1-line block ×3, first 2 shown]
	v_add_f32_e32 v70, 0x40051340, v33
	buffer_gl0_inv
	v_sub_f32_e32 v35, v35, v16
	v_sub_f32_e32 v32, v32, v16
	v_max_f32_e32 v15, v3, v2
	v_max_f32_e32 v2, v49, v49
	;; [unrolled: 1-line block ×3, first 2 shown]
	s_mul_hi_i32 s17, s12, s13
	s_mul_i32 s16, s12, s13
	v_sub_f32_e32 v36, v36, v15
	v_sub_f32_e32 v31, v31, v15
	v_max_f32_e32 v14, v3, v2
	v_max_f32_e32 v2, v50, v50
	v_max_f32_e32 v3, v13, v13
	s_lshl_b64 s[16:17], s[16:17], 2
	s_add_u32 s16, s14, s16
	s_addc_u32 s17, s15, s17
	v_max_f32_e32 v13, v3, v2
	v_max_f32_e32 v2, v51, v51
	v_max_f32_e32 v3, v12, v12
	v_sub_f32_e32 v38, v38, v13
	v_max_f32_e32 v12, v3, v2
	v_max_f32_e32 v2, v52, v52
	v_max_f32_e32 v3, v11, v11
	v_sub_f32_e32 v30, v30, v12
	;; [unrolled: 4-line block ×4, first 2 shown]
	v_sub_f32_e32 v26, v26, v10
	v_max_f32_e32 v9, v3, v2
	v_max_f32_e32 v2, v107, v107
	;; [unrolled: 1-line block ×3, first 2 shown]
	v_sub_f32_e32 v55, v55, v9
	v_sub_f32_e32 v25, v25, v9
	v_max_f32_e32 v8, v3, v2
	v_max_f32_e32 v2, v58, v58
	v_max_f32_e32 v3, v7, v7
	v_sub_f32_e32 v24, v24, v8
	v_max_f32_e32 v7, v3, v2
	v_max_f32_e32 v2, v62, v62
	v_max_f32_e32 v3, v6, v6
	v_sub_f32_e32 v23, v23, v7
	v_max_f32_e32 v6, v3, v2
	v_max_f32_e32 v2, v66, v66
	v_max_f32_e32 v3, v5, v5
	v_max_f32_e32 v5, v3, v2
	v_max_f32_e32 v2, v109, v109
	;; [unrolled: 1-line block ×8, first 2 shown]
	v_sub_f32_e32 v20, v20, v3
	v_max_f32_e32 v2, v34, v2
	v_add_f32_e32 v34, v46, v47
	v_sub_f32_e32 v19, v19, v2
	v_add_f32_e32 v45, 0x40051340, v34
	v_sub_f32_e32 v18, v18, v2
	v_cmp_ngt_f32_e32 vcc_lo, 0xc2ce8ed0, v19
	v_max3_f32 v45, v180, v70, v45
	ds_bpermute_b32 v17, v17, v45
	s_waitcnt lgkmcnt(0)
	v_max_f32_e32 v17, v17, v17
	v_max_f32_e32 v17, v45, v17
	ds_bpermute_b32 v21, v21, v17
	s_waitcnt lgkmcnt(0)
	v_max_f32_e32 v21, v21, v21
	v_max_f32_e32 v17, v17, v21
	ds_bpermute_b32 v21, v42, v17
	v_mul_f32_e32 v42, 0x3fb8aa3b, v19
	s_waitcnt lgkmcnt(0)
	v_max_f32_e32 v21, v21, v21
	v_max_f32_e32 v17, v17, v21
	ds_bpermute_b32 v21, v43, v17
	v_fma_f32 v43, 0x3fb8aa3b, v19, -v42
	v_fmac_f32_e32 v43, 0x32a5705f, v19
	s_waitcnt lgkmcnt(0)
	v_max_f32_e32 v21, v21, v21
	v_max_f32_e32 v17, v17, v21
	ds_bpermute_b32 v21, v44, v17
	v_rndne_f32_e32 v44, v42
	v_sub_f32_e32 v42, v42, v44
	v_add_f32_e32 v42, v42, v43
	v_cvt_i32_f32_e32 v43, v44
	v_exp_f32_e32 v42, v42
	s_waitcnt lgkmcnt(0)
	v_max_f32_e32 v21, v21, v21
	v_max_f32_e32 v17, v17, v21
	v_ldexp_f32 v42, v42, v43
	v_sub_f32_e32 v21, v144, v2
	v_sub_f32_e32 v33, v33, v17
	v_cndmask_b32_e32 v42, 0, v42, vcc_lo
	v_cmp_nlt_f32_e32 vcc_lo, 0x42b17218, v19
	v_sub_f32_e32 v34, v34, v17
	v_cndmask_b32_e32 v19, 0x7f800000, v42, vcc_lo
	v_mul_f32_e32 v42, 0x3fb8aa3b, v18
	v_cmp_ngt_f32_e32 vcc_lo, 0xc2ce8ed0, v18
	v_cvt_f16_f32_e32 v54, v19
	v_fma_f32 v43, 0x3fb8aa3b, v18, -v42
	v_rndne_f32_e32 v44, v42
	v_fmac_f32_e32 v43, 0x32a5705f, v18
	v_sub_f32_e32 v42, v42, v44
	v_add_f32_e32 v42, v42, v43
	v_cvt_i32_f32_e32 v43, v44
	v_exp_f32_e32 v42, v42
	v_ldexp_f32 v42, v42, v43
	v_cndmask_b32_e32 v42, 0, v42, vcc_lo
	v_cmp_nlt_f32_e32 vcc_lo, 0x42b17218, v18
	v_cndmask_b32_e32 v42, 0x7f800000, v42, vcc_lo
	v_cmp_ngt_f32_e32 vcc_lo, 0xc2ce8ed0, v21
	v_add_f32_e32 v18, v19, v42
	v_mul_f32_e32 v19, 0x3fb8aa3b, v21
	v_cvt_f16_f32_e32 v42, v42
	v_fma_f32 v43, 0x3fb8aa3b, v21, -v19
	v_rndne_f32_e32 v44, v19
	v_fmac_f32_e32 v43, 0x32a5705f, v21
	v_sub_f32_e32 v19, v19, v44
	v_add_f32_e32 v19, v19, v43
	v_cvt_i32_f32_e32 v43, v44
	v_exp_f32_e32 v19, v19
	v_ldexp_f32 v19, v19, v43
	v_cndmask_b32_e32 v19, 0, v19, vcc_lo
	v_cmp_nlt_f32_e32 vcc_lo, 0x42b17218, v21
	v_sub_f32_e32 v21, v143, v3
	v_cndmask_b32_e32 v19, 0x7f800000, v19, vcc_lo
	v_fmac_f32_e32 v18, v145, v19
	v_cvt_f16_f32_e32 v19, v19
	v_mul_u32_u24_sdwa v19, v19, v162 dst_sel:DWORD dst_unused:UNUSED_PAD src0_sel:WORD_0 src1_sel:DWORD
	v_pk_mul_f16 v44, v178, v19
	v_sub_f32_e32 v19, v22, v3
	v_mul_f32_e32 v22, 0x3fb8aa3b, v19
	v_cmp_ngt_f32_e32 vcc_lo, 0xc2ce8ed0, v19
	v_fma_f32 v43, 0x3fb8aa3b, v19, -v22
	v_rndne_f32_e32 v45, v22
	v_fmac_f32_e32 v43, 0x32a5705f, v19
	v_sub_f32_e32 v22, v22, v45
	v_add_f32_e32 v22, v22, v43
	v_cvt_i32_f32_e32 v43, v45
	v_exp_f32_e32 v22, v22
	v_ldexp_f32 v22, v22, v43
	v_cndmask_b32_e32 v22, 0, v22, vcc_lo
	v_cmp_nlt_f32_e32 vcc_lo, 0x42b17218, v19
	v_cndmask_b32_e32 v19, 0x7f800000, v22, vcc_lo
	v_mul_f32_e32 v22, 0x3fb8aa3b, v20
	v_cmp_ngt_f32_e32 vcc_lo, 0xc2ce8ed0, v20
	v_cvt_f16_f32_e32 v58, v19
	v_fma_f32 v43, 0x3fb8aa3b, v20, -v22
	v_rndne_f32_e32 v45, v22
	v_fmac_f32_e32 v43, 0x32a5705f, v20
	v_sub_f32_e32 v22, v22, v45
	v_add_f32_e32 v22, v22, v43
	v_cvt_i32_f32_e32 v43, v45
	v_exp_f32_e32 v22, v22
	v_ldexp_f32 v22, v22, v43
	v_cndmask_b32_e32 v22, 0, v22, vcc_lo
	v_cmp_nlt_f32_e32 vcc_lo, 0x42b17218, v20
	v_cndmask_b32_e32 v20, 0x7f800000, v22, vcc_lo
	v_cmp_ngt_f32_e32 vcc_lo, 0xc2ce8ed0, v21
	v_add_f32_e32 v19, v19, v20
	v_cvt_f16_f32_e32 v43, v20
	v_mul_f32_e32 v20, 0x3fb8aa3b, v21
	v_fma_f32 v22, 0x3fb8aa3b, v21, -v20
	v_rndne_f32_e32 v45, v20
	v_fmac_f32_e32 v22, 0x32a5705f, v21
	v_sub_f32_e32 v20, v20, v45
	v_add_f32_e32 v20, v20, v22
	v_cvt_i32_f32_e32 v22, v45
	v_exp_f32_e32 v20, v20
	v_ldexp_f32 v20, v20, v22
	v_cndmask_b32_e32 v20, 0, v20, vcc_lo
	v_cmp_nlt_f32_e32 vcc_lo, 0x42b17218, v21
	v_sub_f32_e32 v21, v131, v4
	v_cndmask_b32_e32 v20, 0x7f800000, v20, vcc_lo
	v_fmac_f32_e32 v19, v134, v20
	v_cvt_f16_f32_e32 v20, v20
	v_mul_u32_u24_sdwa v20, v20, v162 dst_sel:DWORD dst_unused:UNUSED_PAD src0_sel:WORD_0 src1_sel:DWORD
	v_pk_mul_f16 v45, v177, v20
	v_sub_f32_e32 v20, v60, v4
	v_mul_f32_e32 v22, 0x3fb8aa3b, v20
	v_cmp_ngt_f32_e32 vcc_lo, 0xc2ce8ed0, v20
	v_fma_f32 v46, 0x3fb8aa3b, v20, -v22
	v_rndne_f32_e32 v47, v22
	v_fmac_f32_e32 v46, 0x32a5705f, v20
	v_sub_f32_e32 v22, v22, v47
	v_add_f32_e32 v22, v22, v46
	v_cvt_i32_f32_e32 v46, v47
	v_exp_f32_e32 v22, v22
	v_ldexp_f32 v22, v22, v46
	v_cndmask_b32_e32 v22, 0, v22, vcc_lo
	v_cmp_nlt_f32_e32 vcc_lo, 0x42b17218, v20
	v_cndmask_b32_e32 v20, 0x7f800000, v22, vcc_lo
	v_sub_f32_e32 v22, v57, v4
	v_cvt_f16_f32_e32 v60, v20
	v_mul_f32_e32 v46, 0x3fb8aa3b, v22
	v_cmp_ngt_f32_e32 vcc_lo, 0xc2ce8ed0, v22
	v_fma_f32 v47, 0x3fb8aa3b, v22, -v46
	v_rndne_f32_e32 v48, v46
	v_fmac_f32_e32 v47, 0x32a5705f, v22
	v_sub_f32_e32 v46, v46, v48
	v_add_f32_e32 v46, v46, v47
	v_cvt_i32_f32_e32 v47, v48
	v_exp_f32_e32 v46, v46
	v_ldexp_f32 v46, v46, v47
	v_cndmask_b32_e32 v46, 0, v46, vcc_lo
	v_cmp_nlt_f32_e32 vcc_lo, 0x42b17218, v22
	v_cndmask_b32_e32 v22, 0x7f800000, v46, vcc_lo
	v_cmp_ngt_f32_e32 vcc_lo, 0xc2ce8ed0, v21
	v_add_f32_e32 v20, v20, v22
	v_cvt_f16_f32_e32 v52, v22
	v_mul_f32_e32 v22, 0x3fb8aa3b, v21
	v_fma_f32 v46, 0x3fb8aa3b, v21, -v22
	v_rndne_f32_e32 v47, v22
	v_fmac_f32_e32 v46, 0x32a5705f, v21
	v_sub_f32_e32 v22, v22, v47
	v_add_f32_e32 v22, v22, v46
	v_cvt_i32_f32_e32 v46, v47
	v_exp_f32_e32 v22, v22
	v_ldexp_f32 v22, v22, v46
	v_cndmask_b32_e32 v22, 0, v22, vcc_lo
	v_cmp_nlt_f32_e32 vcc_lo, 0x42b17218, v21
	v_cndmask_b32_e32 v21, 0x7f800000, v22, vcc_lo
	v_sub_f32_e32 v22, v127, v5
	v_fmac_f32_e32 v20, v129, v21
	v_cvt_f16_f32_e32 v21, v21
	v_mul_u32_u24_sdwa v21, v21, v162 dst_sel:DWORD dst_unused:UNUSED_PAD src0_sel:WORD_0 src1_sel:DWORD
	v_pk_mul_f16 v46, v176, v21
	v_sub_f32_e32 v21, v61, v5
	v_mul_f32_e32 v47, 0x3fb8aa3b, v21
	v_cmp_ngt_f32_e32 vcc_lo, 0xc2ce8ed0, v21
	v_fma_f32 v48, 0x3fb8aa3b, v21, -v47
	v_rndne_f32_e32 v49, v47
	v_fmac_f32_e32 v48, 0x32a5705f, v21
	v_sub_f32_e32 v47, v47, v49
	v_add_f32_e32 v47, v47, v48
	v_cvt_i32_f32_e32 v48, v49
	v_exp_f32_e32 v47, v47
	v_ldexp_f32 v47, v47, v48
	v_cndmask_b32_e32 v47, 0, v47, vcc_lo
	v_cmp_nlt_f32_e32 vcc_lo, 0x42b17218, v21
	v_cndmask_b32_e32 v21, 0x7f800000, v47, vcc_lo
	v_sub_f32_e32 v47, v63, v5
	v_cvt_f16_f32_e32 v61, v21
	v_mul_f32_e32 v48, 0x3fb8aa3b, v47
	v_cmp_ngt_f32_e32 vcc_lo, 0xc2ce8ed0, v47
	v_fma_f32 v49, 0x3fb8aa3b, v47, -v48
	v_rndne_f32_e32 v50, v48
	v_fmac_f32_e32 v49, 0x32a5705f, v47
	v_sub_f32_e32 v48, v48, v50
	v_add_f32_e32 v48, v48, v49
	v_cvt_i32_f32_e32 v49, v50
	v_exp_f32_e32 v48, v48
	v_ldexp_f32 v48, v48, v49
	v_cndmask_b32_e32 v48, 0, v48, vcc_lo
	v_cmp_nlt_f32_e32 vcc_lo, 0x42b17218, v47
	v_cndmask_b32_e32 v47, 0x7f800000, v48, vcc_lo
	v_cmp_ngt_f32_e32 vcc_lo, 0xc2ce8ed0, v22
	v_add_f32_e32 v21, v21, v47
	v_cvt_f16_f32_e32 v53, v47
	v_mul_f32_e32 v47, 0x3fb8aa3b, v22
	v_pack_b32_f16 v53, v52, v53
	v_fma_f32 v48, 0x3fb8aa3b, v22, -v47
	v_rndne_f32_e32 v49, v47
	v_pack_b32_f16 v52, v42, v43
	v_mul_f32_e32 v42, 0x3fb8aa3b, v27
	v_sub_f32_e32 v43, v108, v10
	v_fmac_f32_e32 v48, 0x32a5705f, v22
	v_sub_f32_e32 v47, v47, v49
	v_add_f32_e32 v47, v47, v48
	v_cvt_i32_f32_e32 v48, v49
	v_exp_f32_e32 v47, v47
	v_ldexp_f32 v47, v47, v48
	v_sub_f32_e32 v48, v124, v6
	v_cndmask_b32_e32 v47, 0, v47, vcc_lo
	v_cmp_nlt_f32_e32 vcc_lo, 0x42b17218, v22
	v_cndmask_b32_e32 v22, 0x7f800000, v47, vcc_lo
	v_fmac_f32_e32 v21, v126, v22
	v_cvt_f16_f32_e32 v22, v22
	v_mul_u32_u24_sdwa v22, v22, v162 dst_sel:DWORD dst_unused:UNUSED_PAD src0_sel:WORD_0 src1_sel:DWORD
	v_pk_mul_f16 v47, v175, v22
	v_sub_f32_e32 v22, v65, v6
	v_mul_f32_e32 v49, 0x3fb8aa3b, v22
	v_cmp_ngt_f32_e32 vcc_lo, 0xc2ce8ed0, v22
	v_fma_f32 v50, 0x3fb8aa3b, v22, -v49
	v_rndne_f32_e32 v51, v49
	v_fmac_f32_e32 v50, 0x32a5705f, v22
	v_sub_f32_e32 v49, v49, v51
	v_add_f32_e32 v49, v49, v50
	v_cvt_i32_f32_e32 v50, v51
	v_exp_f32_e32 v49, v49
	v_ldexp_f32 v49, v49, v50
	v_cndmask_b32_e32 v49, 0, v49, vcc_lo
	v_cmp_nlt_f32_e32 vcc_lo, 0x42b17218, v22
	v_cndmask_b32_e32 v22, 0x7f800000, v49, vcc_lo
	v_sub_f32_e32 v49, v64, v6
	v_cvt_f16_f32_e32 v62, v22
	v_mul_f32_e32 v50, 0x3fb8aa3b, v49
	v_cmp_ngt_f32_e32 vcc_lo, 0xc2ce8ed0, v49
	v_fma_f32 v51, 0x3fb8aa3b, v49, -v50
	v_rndne_f32_e32 v57, v50
	v_fmac_f32_e32 v51, 0x32a5705f, v49
	v_sub_f32_e32 v50, v50, v57
	v_add_f32_e32 v50, v50, v51
	v_cvt_i32_f32_e32 v51, v57
	v_exp_f32_e32 v50, v50
	v_ldexp_f32 v50, v50, v51
	v_cndmask_b32_e32 v50, 0, v50, vcc_lo
	v_cmp_nlt_f32_e32 vcc_lo, 0x42b17218, v49
	v_cndmask_b32_e32 v49, 0x7f800000, v50, vcc_lo
	v_cmp_ngt_f32_e32 vcc_lo, 0xc2ce8ed0, v48
	v_add_f32_e32 v22, v22, v49
	v_cvt_f16_f32_e32 v57, v49
	v_mul_f32_e32 v49, 0x3fb8aa3b, v48
	v_fma_f32 v50, 0x3fb8aa3b, v48, -v49
	v_rndne_f32_e32 v51, v49
	v_fmac_f32_e32 v50, 0x32a5705f, v48
	v_sub_f32_e32 v49, v49, v51
	v_add_f32_e32 v49, v49, v50
	v_cvt_i32_f32_e32 v50, v51
	v_exp_f32_e32 v49, v49
	v_ldexp_f32 v49, v49, v50
	v_sub_f32_e32 v50, v59, v7
	v_cndmask_b32_e32 v49, 0, v49, vcc_lo
	v_mul_f32_e32 v51, 0x3fb8aa3b, v50
	v_cmp_nlt_f32_e32 vcc_lo, 0x42b17218, v48
	v_fma_f32 v59, 0x3fb8aa3b, v50, -v51
	v_rndne_f32_e32 v63, v51
	v_cndmask_b32_e32 v48, 0x7f800000, v49, vcc_lo
	v_cmp_ngt_f32_e32 vcc_lo, 0xc2ce8ed0, v50
	v_sub_f32_e32 v49, v120, v7
	v_fmac_f32_e32 v59, 0x32a5705f, v50
	v_sub_f32_e32 v51, v51, v63
	v_fmac_f32_e32 v22, v121, v48
	v_cvt_f16_f32_e32 v48, v48
	v_add_f32_e32 v51, v51, v59
	v_cvt_i32_f32_e32 v59, v63
	v_mul_u32_u24_sdwa v48, v48, v162 dst_sel:DWORD dst_unused:UNUSED_PAD src0_sel:WORD_0 src1_sel:DWORD
	v_exp_f32_e32 v51, v51
	v_pk_mul_f16 v48, v174, v48
	v_ldexp_f32 v51, v51, v59
	v_cndmask_b32_e32 v51, 0, v51, vcc_lo
	v_cmp_nlt_f32_e32 vcc_lo, 0x42b17218, v50
	v_cndmask_b32_e32 v50, 0x7f800000, v51, vcc_lo
	v_mul_f32_e32 v51, 0x3fb8aa3b, v23
	v_cmp_ngt_f32_e32 vcc_lo, 0xc2ce8ed0, v23
	v_cvt_f16_f32_e32 v63, v50
	v_fma_f32 v59, 0x3fb8aa3b, v23, -v51
	v_rndne_f32_e32 v64, v51
	v_pack_b32_f16 v63, v62, v63
	v_fmac_f32_e32 v59, 0x32a5705f, v23
	v_sub_f32_e32 v51, v51, v64
	v_pack_b32_f16 v62, v60, v61
	v_pack_b32_f16 v61, v54, v58
	v_add_f32_e32 v51, v51, v59
	v_cvt_i32_f32_e32 v59, v64
	v_exp_f32_e32 v51, v51
	v_ldexp_f32 v51, v51, v59
	v_cndmask_b32_e32 v51, 0, v51, vcc_lo
	v_cmp_nlt_f32_e32 vcc_lo, 0x42b17218, v23
	v_cndmask_b32_e32 v51, 0x7f800000, v51, vcc_lo
	v_cmp_ngt_f32_e32 vcc_lo, 0xc2ce8ed0, v49
	v_add_f32_e32 v23, v50, v51
	v_mul_f32_e32 v50, 0x3fb8aa3b, v49
	v_cvt_f16_f32_e32 v59, v51
	v_fma_f32 v51, 0x3fb8aa3b, v49, -v50
	v_rndne_f32_e32 v64, v50
	v_pack_b32_f16 v54, v57, v59
	v_fmac_f32_e32 v51, 0x32a5705f, v49
	v_sub_f32_e32 v50, v50, v64
	v_add_f32_e32 v50, v50, v51
	v_cvt_i32_f32_e32 v51, v64
	v_exp_f32_e32 v50, v50
	v_ldexp_f32 v50, v50, v51
	v_sub_f32_e32 v51, v56, v8
	v_cndmask_b32_e32 v50, 0, v50, vcc_lo
	v_mul_f32_e32 v56, 0x3fb8aa3b, v51
	v_cmp_nlt_f32_e32 vcc_lo, 0x42b17218, v49
	v_fma_f32 v64, 0x3fb8aa3b, v51, -v56
	v_rndne_f32_e32 v65, v56
	v_cndmask_b32_e32 v49, 0x7f800000, v50, vcc_lo
	v_cmp_ngt_f32_e32 vcc_lo, 0xc2ce8ed0, v51
	v_sub_f32_e32 v50, v116, v8
	v_fmac_f32_e32 v64, 0x32a5705f, v51
	v_sub_f32_e32 v56, v56, v65
	v_fmac_f32_e32 v23, v118, v49
	v_cvt_f16_f32_e32 v49, v49
	v_add_f32_e32 v56, v56, v64
	v_cvt_i32_f32_e32 v64, v65
	v_mul_u32_u24_sdwa v49, v49, v162 dst_sel:DWORD dst_unused:UNUSED_PAD src0_sel:WORD_0 src1_sel:DWORD
	v_exp_f32_e32 v56, v56
	v_pk_mul_f16 v49, v173, v49
	v_ldexp_f32 v56, v56, v64
	v_cndmask_b32_e32 v56, 0, v56, vcc_lo
	v_cmp_nlt_f32_e32 vcc_lo, 0x42b17218, v51
	v_cndmask_b32_e32 v51, 0x7f800000, v56, vcc_lo
	v_mul_f32_e32 v56, 0x3fb8aa3b, v24
	v_cmp_ngt_f32_e32 vcc_lo, 0xc2ce8ed0, v24
	v_cvt_f16_f32_e32 v64, v51
	v_fma_f32 v65, 0x3fb8aa3b, v24, -v56
	v_rndne_f32_e32 v66, v56
	v_fmac_f32_e32 v65, 0x32a5705f, v24
	v_sub_f32_e32 v56, v56, v66
	v_add_f32_e32 v56, v56, v65
	v_cvt_i32_f32_e32 v65, v66
	v_exp_f32_e32 v56, v56
	v_ldexp_f32 v56, v56, v65
	v_cndmask_b32_e32 v56, 0, v56, vcc_lo
	v_cmp_nlt_f32_e32 vcc_lo, 0x42b17218, v24
	v_cndmask_b32_e32 v56, 0x7f800000, v56, vcc_lo
	v_cmp_ngt_f32_e32 vcc_lo, 0xc2ce8ed0, v50
	v_add_f32_e32 v24, v51, v56
	v_mul_f32_e32 v51, 0x3fb8aa3b, v50
	v_cvt_f16_f32_e32 v56, v56
	v_fma_f32 v65, 0x3fb8aa3b, v50, -v51
	v_rndne_f32_e32 v66, v51
	v_fmac_f32_e32 v65, 0x32a5705f, v50
	v_sub_f32_e32 v51, v51, v66
	v_add_f32_e32 v51, v51, v65
	v_cvt_i32_f32_e32 v65, v66
	v_exp_f32_e32 v51, v51
	v_ldexp_f32 v51, v51, v65
	v_mul_f32_e32 v65, 0x3fb8aa3b, v55
	v_cndmask_b32_e32 v51, 0, v51, vcc_lo
	v_fma_f32 v66, 0x3fb8aa3b, v55, -v65
	v_rndne_f32_e32 v67, v65
	v_cmp_nlt_f32_e32 vcc_lo, 0x42b17218, v50
	v_fmac_f32_e32 v66, 0x32a5705f, v55
	v_sub_f32_e32 v65, v65, v67
	v_cndmask_b32_e32 v50, 0x7f800000, v51, vcc_lo
	v_cmp_ngt_f32_e32 vcc_lo, 0xc2ce8ed0, v55
	v_sub_f32_e32 v51, v112, v9
	v_add_f32_e32 v65, v65, v66
	v_cvt_i32_f32_e32 v66, v67
	v_fmac_f32_e32 v24, v114, v50
	v_cvt_f16_f32_e32 v50, v50
	v_exp_f32_e32 v65, v65
	v_mul_u32_u24_sdwa v50, v50, v162 dst_sel:DWORD dst_unused:UNUSED_PAD src0_sel:WORD_0 src1_sel:DWORD
	v_pk_mul_f16 v50, v172, v50
	v_ldexp_f32 v65, v65, v66
	v_mul_f32_e32 v66, 0x3fb8aa3b, v25
	v_cndmask_b32_e32 v65, 0, v65, vcc_lo
	v_fma_f32 v67, 0x3fb8aa3b, v25, -v66
	v_rndne_f32_e32 v68, v66
	v_cmp_nlt_f32_e32 vcc_lo, 0x42b17218, v55
	v_fmac_f32_e32 v67, 0x32a5705f, v25
	v_sub_f32_e32 v66, v66, v68
	v_cndmask_b32_e32 v55, 0x7f800000, v65, vcc_lo
	v_cmp_ngt_f32_e32 vcc_lo, 0xc2ce8ed0, v25
	v_add_f32_e32 v66, v66, v67
	v_cvt_i32_f32_e32 v67, v68
	v_cvt_f16_f32_e32 v65, v55
	v_exp_f32_e32 v66, v66
	v_pack_b32_f16 v64, v64, v65
	ds_write_b128 v160, v[61:64]
	v_ldexp_f32 v66, v66, v67
	v_cndmask_b32_e32 v66, 0, v66, vcc_lo
	v_cmp_nlt_f32_e32 vcc_lo, 0x42b17218, v25
	v_cndmask_b32_e32 v66, 0x7f800000, v66, vcc_lo
	v_cmp_ngt_f32_e32 vcc_lo, 0xc2ce8ed0, v51
	v_add_f32_e32 v25, v55, v66
	v_cvt_f16_f32_e32 v55, v66
	v_mul_f32_e32 v66, 0x3fb8aa3b, v51
	v_pack_b32_f16 v55, v56, v55
	v_fma_f32 v67, 0x3fb8aa3b, v51, -v66
	v_rndne_f32_e32 v68, v66
	ds_write_b128 v160, v[52:55] offset:512
	v_fmac_f32_e32 v67, 0x32a5705f, v51
	v_sub_f32_e32 v66, v66, v68
	v_fma_f32 v52, 0x3fb8aa3b, v27, -v42
	v_rndne_f32_e32 v53, v42
	v_add_f32_e32 v66, v66, v67
	v_fmac_f32_e32 v52, 0x32a5705f, v27
	v_sub_f32_e32 v42, v42, v53
	v_cvt_i32_f32_e32 v67, v68
	v_exp_f32_e32 v66, v66
	v_add_f32_e32 v42, v42, v52
	v_cvt_i32_f32_e32 v52, v53
	v_exp_f32_e32 v42, v42
	v_ldexp_f32 v66, v66, v67
	v_cndmask_b32_e32 v66, 0, v66, vcc_lo
	v_cmp_nlt_f32_e32 vcc_lo, 0x42b17218, v51
	v_ldexp_f32 v42, v42, v52
	v_cndmask_b32_e32 v51, 0x7f800000, v66, vcc_lo
	v_cmp_ngt_f32_e32 vcc_lo, 0xc2ce8ed0, v27
	v_fmac_f32_e32 v25, v110, v51
	v_cndmask_b32_e32 v42, 0, v42, vcc_lo
	v_cmp_nlt_f32_e32 vcc_lo, 0x42b17218, v27
	v_cvt_f16_f32_e32 v51, v51
	v_cndmask_b32_e32 v27, 0x7f800000, v42, vcc_lo
	v_mul_f32_e32 v42, 0x3fb8aa3b, v26
	v_cmp_ngt_f32_e32 vcc_lo, 0xc2ce8ed0, v26
	v_mul_u32_u24_sdwa v51, v51, v162 dst_sel:DWORD dst_unused:UNUSED_PAD src0_sel:WORD_0 src1_sel:DWORD
	v_cvt_f16_f32_e32 v57, v27
	v_fma_f32 v52, 0x3fb8aa3b, v26, -v42
	v_rndne_f32_e32 v53, v42
	v_pk_mul_f16 v51, v171, v51
	v_fmac_f32_e32 v52, 0x32a5705f, v26
	v_sub_f32_e32 v42, v42, v53
	v_add_f32_e32 v42, v42, v52
	v_cvt_i32_f32_e32 v52, v53
	v_exp_f32_e32 v42, v42
	v_ldexp_f32 v42, v42, v52
	v_cndmask_b32_e32 v42, 0, v42, vcc_lo
	v_cmp_nlt_f32_e32 vcc_lo, 0x42b17218, v26
	v_cndmask_b32_e32 v42, 0x7f800000, v42, vcc_lo
	v_cmp_ngt_f32_e32 vcc_lo, 0xc2ce8ed0, v43
	v_add_f32_e32 v26, v27, v42
	v_mul_f32_e32 v27, 0x3fb8aa3b, v43
	v_cvt_f16_f32_e32 v42, v42
	v_fma_f32 v52, 0x3fb8aa3b, v43, -v27
	v_rndne_f32_e32 v53, v27
	v_fmac_f32_e32 v52, 0x32a5705f, v43
	v_sub_f32_e32 v27, v27, v53
	v_add_f32_e32 v27, v27, v52
	v_cvt_i32_f32_e32 v52, v53
	v_sub_f32_e32 v53, v86, v11
	v_exp_f32_e32 v27, v27
	v_ldexp_f32 v27, v27, v52
	v_cndmask_b32_e32 v27, 0, v27, vcc_lo
	v_cmp_nlt_f32_e32 vcc_lo, 0x42b17218, v43
	v_cndmask_b32_e32 v27, 0x7f800000, v27, vcc_lo
	v_fmac_f32_e32 v26, v106, v27
	v_cvt_f16_f32_e32 v27, v27
	v_mul_u32_u24_sdwa v27, v27, v162 dst_sel:DWORD dst_unused:UNUSED_PAD src0_sel:WORD_0 src1_sel:DWORD
	v_pk_mul_f16 v52, v170, v27
	v_sub_f32_e32 v27, v29, v11
	v_mul_f32_e32 v29, 0x3fb8aa3b, v27
	v_cmp_ngt_f32_e32 vcc_lo, 0xc2ce8ed0, v27
	v_fma_f32 v43, 0x3fb8aa3b, v27, -v29
	v_rndne_f32_e32 v54, v29
	v_fmac_f32_e32 v43, 0x32a5705f, v27
	v_sub_f32_e32 v29, v29, v54
	v_add_f32_e32 v29, v29, v43
	v_cvt_i32_f32_e32 v43, v54
	v_exp_f32_e32 v29, v29
	v_ldexp_f32 v29, v29, v43
	v_cndmask_b32_e32 v29, 0, v29, vcc_lo
	v_cmp_nlt_f32_e32 vcc_lo, 0x42b17218, v27
	v_cndmask_b32_e32 v27, 0x7f800000, v29, vcc_lo
	v_mul_f32_e32 v29, 0x3fb8aa3b, v28
	v_cmp_ngt_f32_e32 vcc_lo, 0xc2ce8ed0, v28
	v_cvt_f16_f32_e32 v58, v27
	v_fma_f32 v43, 0x3fb8aa3b, v28, -v29
	v_rndne_f32_e32 v54, v29
	v_fmac_f32_e32 v43, 0x32a5705f, v28
	v_sub_f32_e32 v29, v29, v54
	v_add_f32_e32 v29, v29, v43
	v_cvt_i32_f32_e32 v43, v54
	v_exp_f32_e32 v29, v29
	v_ldexp_f32 v29, v29, v43
	v_cndmask_b32_e32 v29, 0, v29, vcc_lo
	v_cmp_nlt_f32_e32 vcc_lo, 0x42b17218, v28
	v_cndmask_b32_e32 v28, 0x7f800000, v29, vcc_lo
	v_cmp_ngt_f32_e32 vcc_lo, 0xc2ce8ed0, v53
	v_add_f32_e32 v27, v27, v28
	v_cvt_f16_f32_e32 v43, v28
	v_mul_f32_e32 v28, 0x3fb8aa3b, v53
	v_fma_f32 v29, 0x3fb8aa3b, v53, -v28
	v_rndne_f32_e32 v54, v28
	v_fmac_f32_e32 v29, 0x32a5705f, v53
	v_sub_f32_e32 v28, v28, v54
	v_add_f32_e32 v28, v28, v29
	v_cvt_i32_f32_e32 v29, v54
	v_exp_f32_e32 v28, v28
	v_ldexp_f32 v28, v28, v29
	v_sub_f32_e32 v29, v190, v12
	v_cndmask_b32_e32 v28, 0, v28, vcc_lo
	v_cmp_nlt_f32_e32 vcc_lo, 0x42b17218, v53
	v_cndmask_b32_e32 v28, 0x7f800000, v28, vcc_lo
	v_fmac_f32_e32 v27, v191, v28
	v_cvt_f16_f32_e32 v28, v28
	v_mul_u32_u24_sdwa v28, v28, v162 dst_sel:DWORD dst_unused:UNUSED_PAD src0_sel:WORD_0 src1_sel:DWORD
	v_pk_mul_f16 v53, v169, v28
	v_sub_f32_e32 v28, v37, v12
	v_mul_f32_e32 v37, 0x3fb8aa3b, v28
	v_cmp_ngt_f32_e32 vcc_lo, 0xc2ce8ed0, v28
	v_fma_f32 v54, 0x3fb8aa3b, v28, -v37
	v_rndne_f32_e32 v55, v37
	v_fmac_f32_e32 v54, 0x32a5705f, v28
	v_sub_f32_e32 v37, v37, v55
	v_add_f32_e32 v37, v37, v54
	v_cvt_i32_f32_e32 v54, v55
	v_exp_f32_e32 v37, v37
	v_ldexp_f32 v37, v37, v54
	v_cndmask_b32_e32 v37, 0, v37, vcc_lo
	v_cmp_nlt_f32_e32 vcc_lo, 0x42b17218, v28
	v_cndmask_b32_e32 v28, 0x7f800000, v37, vcc_lo
	v_mul_f32_e32 v37, 0x3fb8aa3b, v30
	v_cmp_ngt_f32_e32 vcc_lo, 0xc2ce8ed0, v30
	v_cvt_f16_f32_e32 v60, v28
	v_fma_f32 v54, 0x3fb8aa3b, v30, -v37
	v_rndne_f32_e32 v55, v37
	v_fmac_f32_e32 v54, 0x32a5705f, v30
	v_sub_f32_e32 v37, v37, v55
	v_add_f32_e32 v37, v37, v54
	v_cvt_i32_f32_e32 v54, v55
	v_exp_f32_e32 v37, v37
	v_ldexp_f32 v37, v37, v54
	v_cndmask_b32_e32 v37, 0, v37, vcc_lo
	v_cmp_nlt_f32_e32 vcc_lo, 0x42b17218, v30
	v_cndmask_b32_e32 v30, 0x7f800000, v37, vcc_lo
	v_cmp_ngt_f32_e32 vcc_lo, 0xc2ce8ed0, v29
	v_add_f32_e32 v28, v28, v30
	v_cvt_f16_f32_e32 v37, v30
	v_mul_f32_e32 v30, 0x3fb8aa3b, v29
	v_fma_f32 v54, 0x3fb8aa3b, v29, -v30
	v_rndne_f32_e32 v55, v30
	v_fmac_f32_e32 v54, 0x32a5705f, v29
	v_sub_f32_e32 v30, v30, v55
	v_add_f32_e32 v30, v30, v54
	v_cvt_i32_f32_e32 v54, v55
	v_exp_f32_e32 v30, v30
	v_ldexp_f32 v30, v30, v54
	v_cndmask_b32_e32 v30, 0, v30, vcc_lo
	v_cmp_nlt_f32_e32 vcc_lo, 0x42b17218, v29
	v_cndmask_b32_e32 v29, 0x7f800000, v30, vcc_lo
	v_sub_f32_e32 v30, v188, v13
	v_fmac_f32_e32 v28, v189, v29
	v_cvt_f16_f32_e32 v29, v29
	v_mul_u32_u24_sdwa v29, v29, v162 dst_sel:DWORD dst_unused:UNUSED_PAD src0_sel:WORD_0 src1_sel:DWORD
	v_pk_mul_f16 v54, v168, v29
	v_sub_f32_e32 v29, v39, v13
	v_mul_f32_e32 v39, 0x3fb8aa3b, v29
	v_cmp_ngt_f32_e32 vcc_lo, 0xc2ce8ed0, v29
	v_fma_f32 v55, 0x3fb8aa3b, v29, -v39
	v_rndne_f32_e32 v56, v39
	v_fmac_f32_e32 v55, 0x32a5705f, v29
	v_sub_f32_e32 v39, v39, v56
	v_add_f32_e32 v39, v39, v55
	v_cvt_i32_f32_e32 v55, v56
	v_exp_f32_e32 v39, v39
	v_ldexp_f32 v39, v39, v55
	v_cndmask_b32_e32 v39, 0, v39, vcc_lo
	v_cmp_nlt_f32_e32 vcc_lo, 0x42b17218, v29
	v_cndmask_b32_e32 v29, 0x7f800000, v39, vcc_lo
	v_mul_f32_e32 v39, 0x3fb8aa3b, v38
	v_cmp_ngt_f32_e32 vcc_lo, 0xc2ce8ed0, v38
	v_cvt_f16_f32_e32 v62, v29
	v_fma_f32 v55, 0x3fb8aa3b, v38, -v39
	v_rndne_f32_e32 v56, v39
	v_fmac_f32_e32 v55, 0x32a5705f, v38
	v_sub_f32_e32 v39, v39, v56
	v_add_f32_e32 v39, v39, v55
	v_cvt_i32_f32_e32 v55, v56
	v_exp_f32_e32 v39, v39
	v_ldexp_f32 v39, v39, v55
	v_cndmask_b32_e32 v39, 0, v39, vcc_lo
	v_cmp_nlt_f32_e32 vcc_lo, 0x42b17218, v38
	v_cndmask_b32_e32 v38, 0x7f800000, v39, vcc_lo
	v_mul_f32_e32 v39, 0x3fb8aa3b, v30
	v_cmp_ngt_f32_e32 vcc_lo, 0xc2ce8ed0, v30
	v_add_f32_e32 v29, v29, v38
	v_fma_f32 v55, 0x3fb8aa3b, v30, -v39
	v_rndne_f32_e32 v56, v39
	v_cvt_f16_f32_e32 v38, v38
	v_fmac_f32_e32 v55, 0x32a5705f, v30
	v_sub_f32_e32 v39, v39, v56
	v_pack_b32_f16 v38, v37, v38
	v_pack_b32_f16 v37, v42, v43
	v_add_f32_e32 v39, v39, v55
	v_cvt_i32_f32_e32 v55, v56
	v_sub_f32_e32 v56, v186, v14
	v_exp_f32_e32 v39, v39
	v_ldexp_f32 v39, v39, v55
	v_cndmask_b32_e32 v39, 0, v39, vcc_lo
	v_cmp_nlt_f32_e32 vcc_lo, 0x42b17218, v30
	v_cndmask_b32_e32 v30, 0x7f800000, v39, vcc_lo
	v_fmac_f32_e32 v29, v187, v30
	v_cvt_f16_f32_e32 v30, v30
	v_mul_u32_u24_sdwa v30, v30, v162 dst_sel:DWORD dst_unused:UNUSED_PAD src0_sel:WORD_0 src1_sel:DWORD
	v_pk_mul_f16 v55, v167, v30
	v_sub_f32_e32 v30, v41, v14
	v_mul_f32_e32 v39, 0x3fb8aa3b, v30
	v_cmp_ngt_f32_e32 vcc_lo, 0xc2ce8ed0, v30
	v_fma_f32 v41, 0x3fb8aa3b, v30, -v39
	v_rndne_f32_e32 v59, v39
	v_fmac_f32_e32 v41, 0x32a5705f, v30
	v_sub_f32_e32 v39, v39, v59
	v_add_f32_e32 v39, v39, v41
	v_cvt_i32_f32_e32 v41, v59
	v_exp_f32_e32 v39, v39
	v_ldexp_f32 v39, v39, v41
	v_cndmask_b32_e32 v39, 0, v39, vcc_lo
	v_cmp_nlt_f32_e32 vcc_lo, 0x42b17218, v30
	v_cndmask_b32_e32 v30, 0x7f800000, v39, vcc_lo
	v_sub_f32_e32 v39, v40, v14
	v_cvt_f16_f32_e32 v41, v30
	v_mul_f32_e32 v40, 0x3fb8aa3b, v39
	v_cmp_ngt_f32_e32 vcc_lo, 0xc2ce8ed0, v39
	v_fma_f32 v59, 0x3fb8aa3b, v39, -v40
	v_rndne_f32_e32 v61, v40
	v_fmac_f32_e32 v59, 0x32a5705f, v39
	v_sub_f32_e32 v40, v40, v61
	v_add_f32_e32 v40, v40, v59
	v_cvt_i32_f32_e32 v59, v61
	v_exp_f32_e32 v40, v40
	v_ldexp_f32 v40, v40, v59
	v_cndmask_b32_e32 v40, 0, v40, vcc_lo
	v_cmp_nlt_f32_e32 vcc_lo, 0x42b17218, v39
	v_cndmask_b32_e32 v39, 0x7f800000, v40, vcc_lo
	v_mul_f32_e32 v40, 0x3fb8aa3b, v56
	v_cmp_ngt_f32_e32 vcc_lo, 0xc2ce8ed0, v56
	v_add_f32_e32 v30, v30, v39
	v_fma_f32 v59, 0x3fb8aa3b, v56, -v40
	v_rndne_f32_e32 v61, v40
	v_cvt_f16_f32_e32 v39, v39
	v_fmac_f32_e32 v59, 0x32a5705f, v56
	v_sub_f32_e32 v40, v40, v61
	v_add_f32_e32 v40, v40, v59
	v_cvt_i32_f32_e32 v59, v61
	v_exp_f32_e32 v40, v40
	v_ldexp_f32 v40, v40, v59
	v_mul_f32_e32 v59, 0x3fb8aa3b, v36
	v_cndmask_b32_e32 v40, 0, v40, vcc_lo
	v_fma_f32 v61, 0x3fb8aa3b, v36, -v59
	v_rndne_f32_e32 v63, v59
	v_cmp_nlt_f32_e32 vcc_lo, 0x42b17218, v56
	v_fmac_f32_e32 v61, 0x32a5705f, v36
	v_sub_f32_e32 v59, v59, v63
	v_cndmask_b32_e32 v40, 0x7f800000, v40, vcc_lo
	v_cmp_ngt_f32_e32 vcc_lo, 0xc2ce8ed0, v36
	v_add_f32_e32 v59, v59, v61
	v_cvt_i32_f32_e32 v61, v63
	v_fmac_f32_e32 v30, v185, v40
	v_cvt_f16_f32_e32 v40, v40
	v_exp_f32_e32 v59, v59
	v_mul_u32_u24_sdwa v40, v40, v162 dst_sel:DWORD dst_unused:UNUSED_PAD src0_sel:WORD_0 src1_sel:DWORD
	v_pk_mul_f16 v56, v166, v40
	v_sub_f32_e32 v40, v184, v15
	v_ldexp_f32 v59, v59, v61
	v_cndmask_b32_e32 v59, 0, v59, vcc_lo
	v_cmp_nlt_f32_e32 vcc_lo, 0x42b17218, v36
	v_cndmask_b32_e32 v36, 0x7f800000, v59, vcc_lo
	v_mul_f32_e32 v59, 0x3fb8aa3b, v31
	v_cmp_ngt_f32_e32 vcc_lo, 0xc2ce8ed0, v31
	v_cvt_f16_f32_e32 v64, v36
	v_fma_f32 v61, 0x3fb8aa3b, v31, -v59
	v_rndne_f32_e32 v63, v59
	v_fmac_f32_e32 v61, 0x32a5705f, v31
	v_sub_f32_e32 v59, v59, v63
	v_add_f32_e32 v59, v59, v61
	v_cvt_i32_f32_e32 v61, v63
	v_exp_f32_e32 v59, v59
	v_ldexp_f32 v59, v59, v61
	v_cndmask_b32_e32 v59, 0, v59, vcc_lo
	v_cmp_nlt_f32_e32 vcc_lo, 0x42b17218, v31
	v_cndmask_b32_e32 v59, 0x7f800000, v59, vcc_lo
	v_cmp_ngt_f32_e32 vcc_lo, 0xc2ce8ed0, v40
	v_add_f32_e32 v31, v36, v59
	v_cvt_f16_f32_e32 v36, v59
	v_mul_f32_e32 v59, 0x3fb8aa3b, v40
	v_pack_b32_f16 v39, v39, v36
	v_fma_f32 v61, 0x3fb8aa3b, v40, -v59
	v_rndne_f32_e32 v63, v59
	v_fmac_f32_e32 v61, 0x32a5705f, v40
	v_sub_f32_e32 v59, v59, v63
	v_add_f32_e32 v59, v59, v61
	v_cvt_i32_f32_e32 v61, v63
	v_exp_f32_e32 v59, v59
	v_ldexp_f32 v59, v59, v61
	v_mul_f32_e32 v61, 0x3fb8aa3b, v35
	v_cndmask_b32_e32 v59, 0, v59, vcc_lo
	v_fma_f32 v63, 0x3fb8aa3b, v35, -v61
	v_rndne_f32_e32 v65, v61
	v_cmp_nlt_f32_e32 vcc_lo, 0x42b17218, v40
	v_fmac_f32_e32 v63, 0x32a5705f, v35
	v_sub_f32_e32 v61, v61, v65
	v_cndmask_b32_e32 v40, 0x7f800000, v59, vcc_lo
	v_cmp_ngt_f32_e32 vcc_lo, 0xc2ce8ed0, v35
	v_add_f32_e32 v61, v61, v63
	v_cvt_i32_f32_e32 v63, v65
	v_fmac_f32_e32 v31, v183, v40
	v_cvt_f16_f32_e32 v40, v40
	v_exp_f32_e32 v61, v61
	v_mul_u32_u24_sdwa v40, v40, v162 dst_sel:DWORD dst_unused:UNUSED_PAD src0_sel:WORD_0 src1_sel:DWORD
	v_pk_mul_f16 v59, v165, v40
	v_sub_f32_e32 v40, v182, v16
	v_ldexp_f32 v61, v61, v63
	v_cndmask_b32_e32 v61, 0, v61, vcc_lo
	v_cmp_nlt_f32_e32 vcc_lo, 0x42b17218, v35
	v_cndmask_b32_e32 v35, 0x7f800000, v61, vcc_lo
	v_mul_f32_e32 v61, 0x3fb8aa3b, v32
	v_cmp_ngt_f32_e32 vcc_lo, 0xc2ce8ed0, v32
	v_cvt_f16_f32_e32 v65, v35
	v_fma_f32 v63, 0x3fb8aa3b, v32, -v61
	v_rndne_f32_e32 v66, v61
	v_fmac_f32_e32 v63, 0x32a5705f, v32
	v_sub_f32_e32 v61, v61, v66
	v_add_f32_e32 v61, v61, v63
	v_cvt_i32_f32_e32 v63, v66
	v_exp_f32_e32 v61, v61
	v_ldexp_f32 v61, v61, v63
	v_cndmask_b32_e32 v61, 0, v61, vcc_lo
	v_cmp_nlt_f32_e32 vcc_lo, 0x42b17218, v32
	v_cndmask_b32_e32 v61, 0x7f800000, v61, vcc_lo
	v_cmp_ngt_f32_e32 vcc_lo, 0xc2ce8ed0, v40
	v_add_f32_e32 v32, v35, v61
	v_cvt_f16_f32_e32 v35, v61
	v_mul_f32_e32 v61, 0x3fb8aa3b, v40
	v_fma_f32 v63, 0x3fb8aa3b, v40, -v61
	v_rndne_f32_e32 v66, v61
	v_fmac_f32_e32 v63, 0x32a5705f, v40
	v_sub_f32_e32 v61, v61, v66
	v_add_f32_e32 v61, v61, v63
	v_cvt_i32_f32_e32 v63, v66
	v_exp_f32_e32 v61, v61
	v_ldexp_f32 v61, v61, v63
	v_mul_f32_e32 v63, 0x3fb8aa3b, v33
	v_cndmask_b32_e32 v61, 0, v61, vcc_lo
	v_fma_f32 v66, 0x3fb8aa3b, v33, -v63
	v_rndne_f32_e32 v67, v63
	v_cmp_nlt_f32_e32 vcc_lo, 0x42b17218, v40
	v_fmac_f32_e32 v66, 0x32a5705f, v33
	v_sub_f32_e32 v63, v63, v67
	v_cndmask_b32_e32 v40, 0x7f800000, v61, vcc_lo
	v_cmp_ngt_f32_e32 vcc_lo, 0xc2ce8ed0, v33
	v_add_f32_e32 v63, v63, v66
	v_cvt_i32_f32_e32 v66, v67
	v_fmac_f32_e32 v32, v181, v40
	v_cvt_f16_f32_e32 v40, v40
	v_exp_f32_e32 v63, v63
	v_mul_u32_u24_sdwa v40, v40, v162 dst_sel:DWORD dst_unused:UNUSED_PAD src0_sel:WORD_0 src1_sel:DWORD
	v_pk_mul_f16 v61, v164, v40
	v_sub_f32_e32 v40, v180, v17
	v_ldexp_f32 v63, v63, v66
	v_cndmask_b32_e32 v63, 0, v63, vcc_lo
	v_cmp_nlt_f32_e32 vcc_lo, 0x42b17218, v33
	v_cndmask_b32_e32 v33, 0x7f800000, v63, vcc_lo
	v_mul_f32_e32 v63, 0x3fb8aa3b, v34
	v_cmp_ngt_f32_e32 vcc_lo, 0xc2ce8ed0, v34
	v_cvt_f16_f32_e32 v66, v33
	v_fma_f32 v67, 0x3fb8aa3b, v34, -v63
	v_rndne_f32_e32 v68, v63
	v_fmac_f32_e32 v67, 0x32a5705f, v34
	v_sub_f32_e32 v63, v63, v68
	v_add_f32_e32 v63, v63, v67
	v_cvt_i32_f32_e32 v67, v68
	v_exp_f32_e32 v63, v63
	v_ldexp_f32 v63, v63, v67
	v_cndmask_b32_e32 v63, 0, v63, vcc_lo
	v_cmp_nlt_f32_e32 vcc_lo, 0x42b17218, v34
	v_cndmask_b32_e32 v34, 0x7f800000, v63, vcc_lo
	v_mul_f32_e32 v63, 0x3fb8aa3b, v40
	v_cmp_ngt_f32_e32 vcc_lo, 0xc2ce8ed0, v40
	v_add_f32_e32 v33, v33, v34
	v_fma_f32 v67, 0x3fb8aa3b, v40, -v63
	v_rndne_f32_e32 v68, v63
	v_cvt_f16_f32_e32 v34, v34
	v_fmac_f32_e32 v67, 0x32a5705f, v40
	v_sub_f32_e32 v63, v63, v68
	v_add_f32_e32 v63, v63, v67
	v_cvt_i32_f32_e32 v67, v68
	v_exp_f32_e32 v63, v63
	v_ldexp_f32 v63, v63, v67
	v_pack_b32_f16 v67, v65, v66
	v_pack_b32_f16 v66, v41, v64
	;; [unrolled: 1-line block ×4, first 2 shown]
	v_cndmask_b32_e32 v63, 0, v63, vcc_lo
	v_cmp_nlt_f32_e32 vcc_lo, 0x42b17218, v40
	ds_write_b128 v160, v[64:67] offset:1024
	v_cndmask_b32_e32 v40, 0x7f800000, v63, vcc_lo
	v_fmac_f32_e32 v33, v179, v40
	v_cvt_f16_f32_e32 v40, v40
	v_mul_u32_u24_sdwa v40, v40, v162 dst_sel:DWORD dst_unused:UNUSED_PAD src0_sel:WORD_0 src1_sel:DWORD
	v_pk_mul_f16 v63, v163, v40
	v_pack_b32_f16 v40, v35, v34
	v_add_co_u32 v34, vcc_lo, s16, v122
	v_add_co_ci_u32_e64 v35, null, s17, v123, vcc_lo
	ds_write_b128 v160, v[37:40] offset:1536
	v_add_co_u32 v34, vcc_lo, v34, v105
	v_add_co_ci_u32_e64 v35, null, 0, v35, vcc_lo
	v_add_co_u32 v36, vcc_lo, s16, v80
	v_add_co_ci_u32_e64 v37, null, s17, v81, vcc_lo
	;; [unrolled: 2-line block ×7, first 2 shown]
	global_load_dwordx4 v[34:37], v[34:35], off
	s_waitcnt vmcnt(0)
	ds_write_b128 v103, v[34:37]
	global_load_dwordx4 v[34:37], v[38:39], off
	v_add_nc_u32_e32 v38, 0x800, v103
	s_waitcnt vmcnt(0)
	ds_write_b128 v38, v[34:37]
	global_load_dwordx4 v[34:37], v[40:41], off
	v_add_nc_u32_e32 v38, 0x1000, v103
	;; [unrolled: 4-line block ×3, first 2 shown]
	s_waitcnt vmcnt(0)
	ds_write_b128 v38, v[34:37]
	s_waitcnt lgkmcnt(0)
	s_barrier
	buffer_gl0_inv
	ds_read2_b32 v[42:43], v140 offset1:32
	ds_read_b128 v[64:67], v142
	ds_read_b128 v[68:71], v142 offset:16
	ds_read_b128 v[38:41], v142 offset:32
	;; [unrolled: 1-line block ×3, first 2 shown]
	s_waitcnt lgkmcnt(3)
	v_mul_u32_u24_sdwa v57, v64, v162 dst_sel:DWORD dst_unused:UNUSED_PAD src0_sel:WORD_0 src1_sel:DWORD
	v_mul_u32_u24_sdwa v58, v64, v162 dst_sel:DWORD dst_unused:UNUSED_PAD src0_sel:WORD_1 src1_sel:DWORD
	v_mul_u32_u24_sdwa v60, v65, v162 dst_sel:DWORD dst_unused:UNUSED_PAD src0_sel:WORD_0 src1_sel:DWORD
	v_mul_u32_u24_sdwa v62, v65, v162 dst_sel:DWORD dst_unused:UNUSED_PAD src0_sel:WORD_1 src1_sel:DWORD
	v_mul_u32_u24_sdwa v72, v66, v162 dst_sel:DWORD dst_unused:UNUSED_PAD src0_sel:WORD_0 src1_sel:DWORD
	v_mul_u32_u24_sdwa v73, v66, v162 dst_sel:DWORD dst_unused:UNUSED_PAD src0_sel:WORD_1 src1_sel:DWORD
	v_mul_u32_u24_sdwa v74, v67, v162 dst_sel:DWORD dst_unused:UNUSED_PAD src0_sel:WORD_0 src1_sel:DWORD
	v_mul_u32_u24_sdwa v75, v67, v162 dst_sel:DWORD dst_unused:UNUSED_PAD src0_sel:WORD_1 src1_sel:DWORD
	ds_read_b128 v[64:67], v142 offset:1024
	v_pk_fma_f16 v44, v42, v57, v44
	v_pk_fma_f16 v45, v42, v58, v45
	;; [unrolled: 1-line block ×8, first 2 shown]
	s_waitcnt lgkmcnt(3)
	v_mul_u32_u24_sdwa v62, v69, v162 dst_sel:DWORD dst_unused:UNUSED_PAD src0_sel:WORD_1 src1_sel:DWORD
	v_mul_u32_u24_sdwa v60, v68, v162 dst_sel:DWORD dst_unused:UNUSED_PAD src0_sel:WORD_1 src1_sel:DWORD
	v_pk_fma_f16 v47, v43, v62, v47
	v_pk_fma_f16 v45, v43, v60, v45
	s_waitcnt lgkmcnt(2)
	v_mul_u32_u24_sdwa v60, v38, v162 dst_sel:DWORD dst_unused:UNUSED_PAD src0_sel:WORD_0 src1_sel:DWORD
	v_mul_u32_u24_sdwa v62, v39, v162 dst_sel:DWORD dst_unused:UNUSED_PAD src0_sel:WORD_0 src1_sel:DWORD
	s_waitcnt lgkmcnt(0)
	v_mul_u32_u24_sdwa v76, v64, v162 dst_sel:DWORD dst_unused:UNUSED_PAD src0_sel:WORD_0 src1_sel:DWORD
	v_mul_u32_u24_sdwa v64, v64, v162 dst_sel:DWORD dst_unused:UNUSED_PAD src0_sel:WORD_1 src1_sel:DWORD
	v_mul_u32_u24_sdwa v77, v65, v162 dst_sel:DWORD dst_unused:UNUSED_PAD src0_sel:WORD_0 src1_sel:DWORD
	v_mul_u32_u24_sdwa v65, v65, v162 dst_sel:DWORD dst_unused:UNUSED_PAD src0_sel:WORD_1 src1_sel:DWORD
	;; [unrolled: 2-line block ×4, first 2 shown]
	v_pk_fma_f16 v52, v42, v76, v52
	v_pk_fma_f16 v53, v42, v64, v53
	;; [unrolled: 1-line block ×8, first 2 shown]
	v_mul_u32_u24_sdwa v61, v69, v162 dst_sel:DWORD dst_unused:UNUSED_PAD src0_sel:WORD_0 src1_sel:DWORD
	v_mul_u32_u24_sdwa v63, v70, v162 dst_sel:DWORD dst_unused:UNUSED_PAD src0_sel:WORD_0 src1_sel:DWORD
	v_mul_u32_u24_sdwa v64, v70, v162 dst_sel:DWORD dst_unused:UNUSED_PAD src0_sel:WORD_1 src1_sel:DWORD
	v_mul_u32_u24_sdwa v65, v71, v162 dst_sel:DWORD dst_unused:UNUSED_PAD src0_sel:WORD_0 src1_sel:DWORD
	v_mul_u32_u24_sdwa v66, v71, v162 dst_sel:DWORD dst_unused:UNUSED_PAD src0_sel:WORD_1 src1_sel:DWORD
	ds_read_b128 v[69:72], v142 offset:1040
	v_mul_u32_u24_sdwa v59, v68, v162 dst_sel:DWORD dst_unused:UNUSED_PAD src0_sel:WORD_0 src1_sel:DWORD
	v_pk_fma_f16 v46, v43, v61, v46
	v_pk_fma_f16 v48, v43, v63, v48
	;; [unrolled: 1-line block ×5, first 2 shown]
	v_mul_u32_u24_sdwa v61, v38, v162 dst_sel:DWORD dst_unused:UNUSED_PAD src0_sel:WORD_1 src1_sel:DWORD
	v_mul_u32_u24_sdwa v63, v39, v162 dst_sel:DWORD dst_unused:UNUSED_PAD src0_sel:WORD_1 src1_sel:DWORD
	v_mul_u32_u24_sdwa v64, v40, v162 dst_sel:DWORD dst_unused:UNUSED_PAD src0_sel:WORD_0 src1_sel:DWORD
	v_mul_u32_u24_sdwa v65, v40, v162 dst_sel:DWORD dst_unused:UNUSED_PAD src0_sel:WORD_1 src1_sel:DWORD
	v_mul_u32_u24_sdwa v66, v41, v162 dst_sel:DWORD dst_unused:UNUSED_PAD src0_sel:WORD_0 src1_sel:DWORD
	v_pk_fma_f16 v44, v43, v59, v44
	s_waitcnt lgkmcnt(0)
	v_mul_u32_u24_sdwa v67, v69, v162 dst_sel:DWORD dst_unused:UNUSED_PAD src0_sel:WORD_0 src1_sel:DWORD
	v_mul_u32_u24_sdwa v68, v69, v162 dst_sel:DWORD dst_unused:UNUSED_PAD src0_sel:WORD_1 src1_sel:DWORD
	v_mul_u32_u24_sdwa v69, v70, v162 dst_sel:DWORD dst_unused:UNUSED_PAD src0_sel:WORD_0 src1_sel:DWORD
	v_mul_u32_u24_sdwa v86, v70, v162 dst_sel:DWORD dst_unused:UNUSED_PAD src0_sel:WORD_1 src1_sel:DWORD
	;; [unrolled: 2-line block ×4, first 2 shown]
	v_pk_fma_f16 v52, v43, v67, v52
	v_mul_u32_u24_sdwa v67, v41, v162 dst_sel:DWORD dst_unused:UNUSED_PAD src0_sel:WORD_1 src1_sel:DWORD
	ds_read_b128 v[38:41], v142 offset:1056
	v_pk_fma_f16 v53, v43, v68, v53
	v_pk_fma_f16 v54, v43, v69, v54
	;; [unrolled: 1-line block ×7, first 2 shown]
	ds_read2_b32 v[42:43], v140 offset0:64 offset1:96
	s_waitcnt lgkmcnt(1)
	v_mul_u32_u24_sdwa v68, v38, v162 dst_sel:DWORD dst_unused:UNUSED_PAD src0_sel:WORD_0 src1_sel:DWORD
	v_mul_u32_u24_sdwa v38, v38, v162 dst_sel:DWORD dst_unused:UNUSED_PAD src0_sel:WORD_1 src1_sel:DWORD
	v_mul_u32_u24_sdwa v69, v39, v162 dst_sel:DWORD dst_unused:UNUSED_PAD src0_sel:WORD_0 src1_sel:DWORD
	v_mul_u32_u24_sdwa v39, v39, v162 dst_sel:DWORD dst_unused:UNUSED_PAD src0_sel:WORD_1 src1_sel:DWORD
	;; [unrolled: 2-line block ×4, first 2 shown]
	s_waitcnt lgkmcnt(0)
	v_pk_fma_f16 v44, v42, v60, v44
	v_pk_fma_f16 v45, v42, v61, v45
	;; [unrolled: 1-line block ×16, first 2 shown]
	v_mul_u32_u24_sdwa v42, v34, v162 dst_sel:DWORD dst_unused:UNUSED_PAD src0_sel:WORD_0 src1_sel:DWORD
	v_mul_u32_u24_sdwa v56, v34, v162 dst_sel:DWORD dst_unused:UNUSED_PAD src0_sel:WORD_1 src1_sel:DWORD
	v_mul_u32_u24_sdwa v57, v35, v162 dst_sel:DWORD dst_unused:UNUSED_PAD src0_sel:WORD_0 src1_sel:DWORD
	v_mul_u32_u24_sdwa v58, v35, v162 dst_sel:DWORD dst_unused:UNUSED_PAD src0_sel:WORD_1 src1_sel:DWORD
	;; [unrolled: 2-line block ×4, first 2 shown]
	ds_read_b128 v[34:37], v142 offset:1072
	v_pk_fma_f16 v42, v43, v42, v44
	v_pk_fma_f16 v44, v43, v56, v45
	;; [unrolled: 1-line block ×8, first 2 shown]
	s_waitcnt lgkmcnt(0)
	v_mul_u32_u24_sdwa v63, v34, v162 dst_sel:DWORD dst_unused:UNUSED_PAD src0_sel:WORD_0 src1_sel:DWORD
	v_mul_u32_u24_sdwa v34, v34, v162 dst_sel:DWORD dst_unused:UNUSED_PAD src0_sel:WORD_1 src1_sel:DWORD
	v_mul_u32_u24_sdwa v64, v35, v162 dst_sel:DWORD dst_unused:UNUSED_PAD src0_sel:WORD_0 src1_sel:DWORD
	v_mul_u32_u24_sdwa v35, v35, v162 dst_sel:DWORD dst_unused:UNUSED_PAD src0_sel:WORD_1 src1_sel:DWORD
	;; [unrolled: 2-line block ×4, first 2 shown]
	v_pk_fma_f16 v51, v43, v63, v52
	v_pk_fma_f16 v52, v43, v34, v38
	;; [unrolled: 1-line block ×5, first 2 shown]
	ds_read2_b32 v[34:35], v140 offset0:128 offset1:160
	ds_read_b128 v[36:39], v142 offset:64
	v_pk_fma_f16 v53, v43, v64, v53
	v_pk_fma_f16 v54, v43, v65, v54
	;; [unrolled: 1-line block ×3, first 2 shown]
	s_waitcnt lgkmcnt(0)
	v_mul_u32_u24_sdwa v43, v36, v162 dst_sel:DWORD dst_unused:UNUSED_PAD src0_sel:WORD_0 src1_sel:DWORD
	v_mul_u32_u24_sdwa v57, v36, v162 dst_sel:DWORD dst_unused:UNUSED_PAD src0_sel:WORD_1 src1_sel:DWORD
	v_mul_u32_u24_sdwa v58, v37, v162 dst_sel:DWORD dst_unused:UNUSED_PAD src0_sel:WORD_0 src1_sel:DWORD
	v_mul_u32_u24_sdwa v59, v37, v162 dst_sel:DWORD dst_unused:UNUSED_PAD src0_sel:WORD_1 src1_sel:DWORD
	;; [unrolled: 2-line block ×4, first 2 shown]
	ds_read_b128 v[36:39], v142 offset:1088
	v_pk_fma_f16 v42, v34, v43, v42
	v_pk_fma_f16 v43, v34, v57, v44
	;; [unrolled: 1-line block ×8, first 2 shown]
	s_waitcnt lgkmcnt(0)
	v_mul_u32_u24_sdwa v64, v36, v162 dst_sel:DWORD dst_unused:UNUSED_PAD src0_sel:WORD_0 src1_sel:DWORD
	v_mul_u32_u24_sdwa v36, v36, v162 dst_sel:DWORD dst_unused:UNUSED_PAD src0_sel:WORD_1 src1_sel:DWORD
	v_mul_u32_u24_sdwa v65, v37, v162 dst_sel:DWORD dst_unused:UNUSED_PAD src0_sel:WORD_0 src1_sel:DWORD
	v_mul_u32_u24_sdwa v37, v37, v162 dst_sel:DWORD dst_unused:UNUSED_PAD src0_sel:WORD_1 src1_sel:DWORD
	v_mul_u32_u24_sdwa v66, v38, v162 dst_sel:DWORD dst_unused:UNUSED_PAD src0_sel:WORD_0 src1_sel:DWORD
	v_mul_u32_u24_sdwa v38, v38, v162 dst_sel:DWORD dst_unused:UNUSED_PAD src0_sel:WORD_1 src1_sel:DWORD
	v_mul_u32_u24_sdwa v67, v39, v162 dst_sel:DWORD dst_unused:UNUSED_PAD src0_sel:WORD_0 src1_sel:DWORD
	v_mul_u32_u24_sdwa v39, v39, v162 dst_sel:DWORD dst_unused:UNUSED_PAD src0_sel:WORD_1 src1_sel:DWORD
	v_pk_fma_f16 v50, v34, v64, v51
	v_pk_fma_f16 v51, v34, v36, v52
	;; [unrolled: 1-line block ×8, first 2 shown]
	ds_read_b128 v[36:39], v142 offset:80
	s_waitcnt lgkmcnt(0)
	v_mul_u32_u24_sdwa v41, v36, v162 dst_sel:DWORD dst_unused:UNUSED_PAD src0_sel:WORD_0 src1_sel:DWORD
	v_mul_u32_u24_sdwa v56, v36, v162 dst_sel:DWORD dst_unused:UNUSED_PAD src0_sel:WORD_1 src1_sel:DWORD
	v_mul_u32_u24_sdwa v57, v37, v162 dst_sel:DWORD dst_unused:UNUSED_PAD src0_sel:WORD_0 src1_sel:DWORD
	v_mul_u32_u24_sdwa v58, v37, v162 dst_sel:DWORD dst_unused:UNUSED_PAD src0_sel:WORD_1 src1_sel:DWORD
	;; [unrolled: 2-line block ×4, first 2 shown]
	ds_read_b128 v[36:39], v142 offset:1104
	v_pk_fma_f16 v41, v35, v41, v42
	v_pk_fma_f16 v42, v35, v56, v43
	;; [unrolled: 1-line block ×8, first 2 shown]
	s_waitcnt lgkmcnt(0)
	v_mul_u32_u24_sdwa v63, v36, v162 dst_sel:DWORD dst_unused:UNUSED_PAD src0_sel:WORD_0 src1_sel:DWORD
	v_mul_u32_u24_sdwa v36, v36, v162 dst_sel:DWORD dst_unused:UNUSED_PAD src0_sel:WORD_1 src1_sel:DWORD
	v_mul_u32_u24_sdwa v64, v37, v162 dst_sel:DWORD dst_unused:UNUSED_PAD src0_sel:WORD_0 src1_sel:DWORD
	v_mul_u32_u24_sdwa v37, v37, v162 dst_sel:DWORD dst_unused:UNUSED_PAD src0_sel:WORD_1 src1_sel:DWORD
	;; [unrolled: 2-line block ×4, first 2 shown]
	v_pk_fma_f16 v49, v35, v63, v50
	v_pk_fma_f16 v50, v35, v36, v51
	;; [unrolled: 1-line block ×8, first 2 shown]
	ds_read2_b32 v[34:35], v140 offset0:192 offset1:224
	ds_read_b128 v[36:39], v142 offset:96
	s_waitcnt lgkmcnt(0)
	v_mul_u32_u24_sdwa v56, v36, v162 dst_sel:DWORD dst_unused:UNUSED_PAD src0_sel:WORD_0 src1_sel:DWORD
	v_mul_u32_u24_sdwa v57, v36, v162 dst_sel:DWORD dst_unused:UNUSED_PAD src0_sel:WORD_1 src1_sel:DWORD
	v_mul_u32_u24_sdwa v58, v37, v162 dst_sel:DWORD dst_unused:UNUSED_PAD src0_sel:WORD_0 src1_sel:DWORD
	v_mul_u32_u24_sdwa v59, v37, v162 dst_sel:DWORD dst_unused:UNUSED_PAD src0_sel:WORD_1 src1_sel:DWORD
	;; [unrolled: 2-line block ×4, first 2 shown]
	ds_read_b128 v[36:39], v142 offset:1120
	v_pk_fma_f16 v41, v34, v56, v41
	v_pk_fma_f16 v42, v34, v57, v42
	;; [unrolled: 1-line block ×8, first 2 shown]
	s_waitcnt lgkmcnt(0)
	v_mul_u32_u24_sdwa v64, v36, v162 dst_sel:DWORD dst_unused:UNUSED_PAD src0_sel:WORD_0 src1_sel:DWORD
	v_mul_u32_u24_sdwa v36, v36, v162 dst_sel:DWORD dst_unused:UNUSED_PAD src0_sel:WORD_1 src1_sel:DWORD
	v_mul_u32_u24_sdwa v65, v37, v162 dst_sel:DWORD dst_unused:UNUSED_PAD src0_sel:WORD_0 src1_sel:DWORD
	v_mul_u32_u24_sdwa v37, v37, v162 dst_sel:DWORD dst_unused:UNUSED_PAD src0_sel:WORD_1 src1_sel:DWORD
	;; [unrolled: 2-line block ×4, first 2 shown]
	v_pk_fma_f16 v49, v34, v64, v49
	v_pk_fma_f16 v50, v34, v36, v50
	;; [unrolled: 1-line block ×8, first 2 shown]
	ds_read_b128 v[36:39], v142 offset:112
	s_waitcnt lgkmcnt(0)
	v_mul_u32_u24_sdwa v55, v36, v162 dst_sel:DWORD dst_unused:UNUSED_PAD src0_sel:WORD_0 src1_sel:DWORD
	v_mul_u32_u24_sdwa v56, v36, v162 dst_sel:DWORD dst_unused:UNUSED_PAD src0_sel:WORD_1 src1_sel:DWORD
	v_mul_u32_u24_sdwa v57, v37, v162 dst_sel:DWORD dst_unused:UNUSED_PAD src0_sel:WORD_0 src1_sel:DWORD
	v_mul_u32_u24_sdwa v58, v37, v162 dst_sel:DWORD dst_unused:UNUSED_PAD src0_sel:WORD_1 src1_sel:DWORD
	v_mul_u32_u24_sdwa v59, v38, v162 dst_sel:DWORD dst_unused:UNUSED_PAD src0_sel:WORD_0 src1_sel:DWORD
	v_mul_u32_u24_sdwa v60, v38, v162 dst_sel:DWORD dst_unused:UNUSED_PAD src0_sel:WORD_1 src1_sel:DWORD
	v_mul_u32_u24_sdwa v61, v39, v162 dst_sel:DWORD dst_unused:UNUSED_PAD src0_sel:WORD_0 src1_sel:DWORD
	v_mul_u32_u24_sdwa v62, v39, v162 dst_sel:DWORD dst_unused:UNUSED_PAD src0_sel:WORD_1 src1_sel:DWORD
	ds_read_b128 v[36:39], v142 offset:1136
	v_pk_fma_f16 v41, v35, v55, v41
	v_pk_fma_f16 v42, v35, v56, v42
	;; [unrolled: 1-line block ×8, first 2 shown]
	s_waitcnt lgkmcnt(0)
	v_mul_u32_u24_sdwa v63, v36, v162 dst_sel:DWORD dst_unused:UNUSED_PAD src0_sel:WORD_0 src1_sel:DWORD
	v_mul_u32_u24_sdwa v36, v36, v162 dst_sel:DWORD dst_unused:UNUSED_PAD src0_sel:WORD_1 src1_sel:DWORD
	v_mul_u32_u24_sdwa v64, v37, v162 dst_sel:DWORD dst_unused:UNUSED_PAD src0_sel:WORD_0 src1_sel:DWORD
	v_mul_u32_u24_sdwa v37, v37, v162 dst_sel:DWORD dst_unused:UNUSED_PAD src0_sel:WORD_1 src1_sel:DWORD
	;; [unrolled: 2-line block ×4, first 2 shown]
	v_pk_fma_f16 v50, v35, v36, v50
	v_add_nc_u32_e32 v36, 0x400, v140
	v_pk_fma_f16 v49, v35, v63, v49
	v_pk_fma_f16 v51, v35, v64, v51
	;; [unrolled: 1-line block ×7, first 2 shown]
	ds_read2_b32 v[34:35], v36 offset1:32
	ds_read_b128 v[37:40], v142 offset:128
	s_waitcnt lgkmcnt(0)
	v_mul_u32_u24_sdwa v57, v37, v162 dst_sel:DWORD dst_unused:UNUSED_PAD src0_sel:WORD_0 src1_sel:DWORD
	v_mul_u32_u24_sdwa v58, v37, v162 dst_sel:DWORD dst_unused:UNUSED_PAD src0_sel:WORD_1 src1_sel:DWORD
	v_mul_u32_u24_sdwa v59, v38, v162 dst_sel:DWORD dst_unused:UNUSED_PAD src0_sel:WORD_0 src1_sel:DWORD
	v_mul_u32_u24_sdwa v60, v38, v162 dst_sel:DWORD dst_unused:UNUSED_PAD src0_sel:WORD_1 src1_sel:DWORD
	;; [unrolled: 2-line block ×4, first 2 shown]
	ds_read_b128 v[37:40], v142 offset:1152
	v_pk_fma_f16 v41, v34, v57, v41
	v_pk_fma_f16 v42, v34, v58, v42
	v_pk_fma_f16 v43, v34, v59, v43
	v_pk_fma_f16 v44, v34, v60, v44
	v_pk_fma_f16 v45, v34, v61, v45
	v_pk_fma_f16 v46, v34, v62, v46
	v_pk_fma_f16 v47, v34, v63, v47
	v_pk_fma_f16 v48, v34, v64, v48
	s_waitcnt lgkmcnt(0)
	v_mul_u32_u24_sdwa v65, v37, v162 dst_sel:DWORD dst_unused:UNUSED_PAD src0_sel:WORD_0 src1_sel:DWORD
	v_mul_u32_u24_sdwa v37, v37, v162 dst_sel:DWORD dst_unused:UNUSED_PAD src0_sel:WORD_1 src1_sel:DWORD
	v_mul_u32_u24_sdwa v66, v38, v162 dst_sel:DWORD dst_unused:UNUSED_PAD src0_sel:WORD_0 src1_sel:DWORD
	v_mul_u32_u24_sdwa v38, v38, v162 dst_sel:DWORD dst_unused:UNUSED_PAD src0_sel:WORD_1 src1_sel:DWORD
	;; [unrolled: 2-line block ×4, first 2 shown]
	v_pk_fma_f16 v49, v34, v65, v49
	v_pk_fma_f16 v50, v34, v37, v50
	;; [unrolled: 1-line block ×8, first 2 shown]
	ds_read_b128 v[37:40], v142 offset:144
	s_waitcnt lgkmcnt(0)
	v_mul_u32_u24_sdwa v56, v37, v162 dst_sel:DWORD dst_unused:UNUSED_PAD src0_sel:WORD_0 src1_sel:DWORD
	v_mul_u32_u24_sdwa v57, v37, v162 dst_sel:DWORD dst_unused:UNUSED_PAD src0_sel:WORD_1 src1_sel:DWORD
	v_mul_u32_u24_sdwa v58, v38, v162 dst_sel:DWORD dst_unused:UNUSED_PAD src0_sel:WORD_0 src1_sel:DWORD
	v_mul_u32_u24_sdwa v59, v38, v162 dst_sel:DWORD dst_unused:UNUSED_PAD src0_sel:WORD_1 src1_sel:DWORD
	;; [unrolled: 2-line block ×4, first 2 shown]
	ds_read_b128 v[37:40], v142 offset:1168
	v_pk_fma_f16 v41, v35, v56, v41
	v_pk_fma_f16 v42, v35, v57, v42
	;; [unrolled: 1-line block ×8, first 2 shown]
	s_waitcnt lgkmcnt(0)
	v_mul_u32_u24_sdwa v64, v37, v162 dst_sel:DWORD dst_unused:UNUSED_PAD src0_sel:WORD_0 src1_sel:DWORD
	v_mul_u32_u24_sdwa v37, v37, v162 dst_sel:DWORD dst_unused:UNUSED_PAD src0_sel:WORD_1 src1_sel:DWORD
	v_mul_u32_u24_sdwa v65, v38, v162 dst_sel:DWORD dst_unused:UNUSED_PAD src0_sel:WORD_0 src1_sel:DWORD
	v_mul_u32_u24_sdwa v38, v38, v162 dst_sel:DWORD dst_unused:UNUSED_PAD src0_sel:WORD_1 src1_sel:DWORD
	;; [unrolled: 2-line block ×4, first 2 shown]
	v_pk_fma_f16 v49, v35, v64, v49
	v_pk_fma_f16 v50, v35, v37, v50
	;; [unrolled: 1-line block ×8, first 2 shown]
	ds_read2_b32 v[34:35], v36 offset0:64 offset1:96
	ds_read_b128 v[37:40], v142 offset:160
	s_waitcnt lgkmcnt(0)
	v_mul_u32_u24_sdwa v57, v37, v162 dst_sel:DWORD dst_unused:UNUSED_PAD src0_sel:WORD_0 src1_sel:DWORD
	v_mul_u32_u24_sdwa v58, v37, v162 dst_sel:DWORD dst_unused:UNUSED_PAD src0_sel:WORD_1 src1_sel:DWORD
	v_mul_u32_u24_sdwa v59, v38, v162 dst_sel:DWORD dst_unused:UNUSED_PAD src0_sel:WORD_0 src1_sel:DWORD
	v_mul_u32_u24_sdwa v60, v38, v162 dst_sel:DWORD dst_unused:UNUSED_PAD src0_sel:WORD_1 src1_sel:DWORD
	v_mul_u32_u24_sdwa v61, v39, v162 dst_sel:DWORD dst_unused:UNUSED_PAD src0_sel:WORD_0 src1_sel:DWORD
	v_mul_u32_u24_sdwa v62, v39, v162 dst_sel:DWORD dst_unused:UNUSED_PAD src0_sel:WORD_1 src1_sel:DWORD
	v_mul_u32_u24_sdwa v63, v40, v162 dst_sel:DWORD dst_unused:UNUSED_PAD src0_sel:WORD_0 src1_sel:DWORD
	v_mul_u32_u24_sdwa v64, v40, v162 dst_sel:DWORD dst_unused:UNUSED_PAD src0_sel:WORD_1 src1_sel:DWORD
	ds_read_b128 v[37:40], v142 offset:1184
	v_pk_fma_f16 v41, v34, v57, v41
	v_pk_fma_f16 v42, v34, v58, v42
	;; [unrolled: 1-line block ×8, first 2 shown]
	s_waitcnt lgkmcnt(0)
	v_mul_u32_u24_sdwa v65, v37, v162 dst_sel:DWORD dst_unused:UNUSED_PAD src0_sel:WORD_0 src1_sel:DWORD
	v_mul_u32_u24_sdwa v37, v37, v162 dst_sel:DWORD dst_unused:UNUSED_PAD src0_sel:WORD_1 src1_sel:DWORD
	v_mul_u32_u24_sdwa v66, v38, v162 dst_sel:DWORD dst_unused:UNUSED_PAD src0_sel:WORD_0 src1_sel:DWORD
	v_mul_u32_u24_sdwa v38, v38, v162 dst_sel:DWORD dst_unused:UNUSED_PAD src0_sel:WORD_1 src1_sel:DWORD
	;; [unrolled: 2-line block ×4, first 2 shown]
	v_pk_fma_f16 v49, v34, v65, v49
	v_pk_fma_f16 v50, v34, v37, v50
	;; [unrolled: 1-line block ×8, first 2 shown]
	ds_read_b128 v[37:40], v142 offset:176
	s_waitcnt lgkmcnt(0)
	v_mul_u32_u24_sdwa v56, v37, v162 dst_sel:DWORD dst_unused:UNUSED_PAD src0_sel:WORD_0 src1_sel:DWORD
	v_mul_u32_u24_sdwa v57, v37, v162 dst_sel:DWORD dst_unused:UNUSED_PAD src0_sel:WORD_1 src1_sel:DWORD
	v_mul_u32_u24_sdwa v58, v38, v162 dst_sel:DWORD dst_unused:UNUSED_PAD src0_sel:WORD_0 src1_sel:DWORD
	v_mul_u32_u24_sdwa v59, v38, v162 dst_sel:DWORD dst_unused:UNUSED_PAD src0_sel:WORD_1 src1_sel:DWORD
	v_mul_u32_u24_sdwa v60, v39, v162 dst_sel:DWORD dst_unused:UNUSED_PAD src0_sel:WORD_0 src1_sel:DWORD
	v_mul_u32_u24_sdwa v61, v39, v162 dst_sel:DWORD dst_unused:UNUSED_PAD src0_sel:WORD_1 src1_sel:DWORD
	v_mul_u32_u24_sdwa v62, v40, v162 dst_sel:DWORD dst_unused:UNUSED_PAD src0_sel:WORD_0 src1_sel:DWORD
	v_mul_u32_u24_sdwa v63, v40, v162 dst_sel:DWORD dst_unused:UNUSED_PAD src0_sel:WORD_1 src1_sel:DWORD
	ds_read_b128 v[37:40], v142 offset:1200
	v_pk_fma_f16 v41, v35, v56, v41
	v_pk_fma_f16 v42, v35, v57, v42
	v_pk_fma_f16 v43, v35, v58, v43
	v_pk_fma_f16 v44, v35, v59, v44
	v_pk_fma_f16 v45, v35, v60, v45
	v_pk_fma_f16 v46, v35, v61, v46
	v_pk_fma_f16 v47, v35, v62, v47
	v_pk_fma_f16 v48, v35, v63, v48
	s_waitcnt lgkmcnt(0)
	v_mul_u32_u24_sdwa v64, v37, v162 dst_sel:DWORD dst_unused:UNUSED_PAD src0_sel:WORD_0 src1_sel:DWORD
	v_mul_u32_u24_sdwa v37, v37, v162 dst_sel:DWORD dst_unused:UNUSED_PAD src0_sel:WORD_1 src1_sel:DWORD
	v_mul_u32_u24_sdwa v65, v38, v162 dst_sel:DWORD dst_unused:UNUSED_PAD src0_sel:WORD_0 src1_sel:DWORD
	v_mul_u32_u24_sdwa v38, v38, v162 dst_sel:DWORD dst_unused:UNUSED_PAD src0_sel:WORD_1 src1_sel:DWORD
	;; [unrolled: 2-line block ×4, first 2 shown]
	v_pk_fma_f16 v49, v35, v64, v49
	v_pk_fma_f16 v50, v35, v37, v50
	v_pk_fma_f16 v51, v35, v65, v51
	v_pk_fma_f16 v52, v35, v38, v52
	v_pk_fma_f16 v53, v35, v66, v53
	v_pk_fma_f16 v55, v35, v39, v55
	v_pk_fma_f16 v54, v35, v67, v54
	v_pk_fma_f16 v56, v35, v40, v34
	ds_read2_b32 v[34:35], v36 offset0:128 offset1:160
	ds_read_b128 v[37:40], v142 offset:192
	s_waitcnt lgkmcnt(0)
	v_mul_u32_u24_sdwa v57, v37, v162 dst_sel:DWORD dst_unused:UNUSED_PAD src0_sel:WORD_0 src1_sel:DWORD
	v_mul_u32_u24_sdwa v58, v37, v162 dst_sel:DWORD dst_unused:UNUSED_PAD src0_sel:WORD_1 src1_sel:DWORD
	v_mul_u32_u24_sdwa v59, v38, v162 dst_sel:DWORD dst_unused:UNUSED_PAD src0_sel:WORD_0 src1_sel:DWORD
	v_mul_u32_u24_sdwa v60, v38, v162 dst_sel:DWORD dst_unused:UNUSED_PAD src0_sel:WORD_1 src1_sel:DWORD
	;; [unrolled: 2-line block ×4, first 2 shown]
	ds_read_b128 v[37:40], v142 offset:1216
	v_pk_fma_f16 v41, v34, v57, v41
	v_pk_fma_f16 v42, v34, v58, v42
	v_pk_fma_f16 v43, v34, v59, v43
	v_pk_fma_f16 v44, v34, v60, v44
	v_pk_fma_f16 v45, v34, v61, v45
	v_pk_fma_f16 v46, v34, v62, v46
	v_pk_fma_f16 v47, v34, v63, v47
	v_pk_fma_f16 v48, v34, v64, v48
	s_waitcnt lgkmcnt(0)
	v_mul_u32_u24_sdwa v65, v37, v162 dst_sel:DWORD dst_unused:UNUSED_PAD src0_sel:WORD_0 src1_sel:DWORD
	v_mul_u32_u24_sdwa v37, v37, v162 dst_sel:DWORD dst_unused:UNUSED_PAD src0_sel:WORD_1 src1_sel:DWORD
	v_mul_u32_u24_sdwa v66, v38, v162 dst_sel:DWORD dst_unused:UNUSED_PAD src0_sel:WORD_0 src1_sel:DWORD
	v_mul_u32_u24_sdwa v38, v38, v162 dst_sel:DWORD dst_unused:UNUSED_PAD src0_sel:WORD_1 src1_sel:DWORD
	;; [unrolled: 2-line block ×4, first 2 shown]
	v_pk_fma_f16 v49, v34, v65, v49
	v_pk_fma_f16 v50, v34, v37, v50
	;; [unrolled: 1-line block ×8, first 2 shown]
	ds_read_b128 v[37:40], v142 offset:208
	s_waitcnt lgkmcnt(0)
	v_mul_u32_u24_sdwa v56, v37, v162 dst_sel:DWORD dst_unused:UNUSED_PAD src0_sel:WORD_0 src1_sel:DWORD
	v_mul_u32_u24_sdwa v57, v37, v162 dst_sel:DWORD dst_unused:UNUSED_PAD src0_sel:WORD_1 src1_sel:DWORD
	v_mul_u32_u24_sdwa v58, v38, v162 dst_sel:DWORD dst_unused:UNUSED_PAD src0_sel:WORD_0 src1_sel:DWORD
	v_mul_u32_u24_sdwa v59, v38, v162 dst_sel:DWORD dst_unused:UNUSED_PAD src0_sel:WORD_1 src1_sel:DWORD
	;; [unrolled: 2-line block ×4, first 2 shown]
	ds_read_b128 v[37:40], v142 offset:1232
	v_pk_fma_f16 v41, v35, v56, v41
	v_pk_fma_f16 v42, v35, v57, v42
	;; [unrolled: 1-line block ×8, first 2 shown]
	s_waitcnt lgkmcnt(0)
	v_mul_u32_u24_sdwa v64, v37, v162 dst_sel:DWORD dst_unused:UNUSED_PAD src0_sel:WORD_0 src1_sel:DWORD
	v_mul_u32_u24_sdwa v37, v37, v162 dst_sel:DWORD dst_unused:UNUSED_PAD src0_sel:WORD_1 src1_sel:DWORD
	v_mul_u32_u24_sdwa v65, v38, v162 dst_sel:DWORD dst_unused:UNUSED_PAD src0_sel:WORD_0 src1_sel:DWORD
	v_mul_u32_u24_sdwa v38, v38, v162 dst_sel:DWORD dst_unused:UNUSED_PAD src0_sel:WORD_1 src1_sel:DWORD
	v_mul_u32_u24_sdwa v66, v39, v162 dst_sel:DWORD dst_unused:UNUSED_PAD src0_sel:WORD_0 src1_sel:DWORD
	v_mul_u32_u24_sdwa v39, v39, v162 dst_sel:DWORD dst_unused:UNUSED_PAD src0_sel:WORD_1 src1_sel:DWORD
	v_mul_u32_u24_sdwa v67, v40, v162 dst_sel:DWORD dst_unused:UNUSED_PAD src0_sel:WORD_0 src1_sel:DWORD
	v_mul_u32_u24_sdwa v40, v40, v162 dst_sel:DWORD dst_unused:UNUSED_PAD src0_sel:WORD_1 src1_sel:DWORD
	v_pk_fma_f16 v49, v35, v64, v49
	v_pk_fma_f16 v50, v35, v37, v50
	;; [unrolled: 1-line block ×8, first 2 shown]
	ds_read2_b32 v[34:35], v36 offset0:192 offset1:224
	ds_read_b128 v[36:39], v142 offset:224
	s_waitcnt lgkmcnt(0)
	v_mul_u32_u24_sdwa v56, v36, v162 dst_sel:DWORD dst_unused:UNUSED_PAD src0_sel:WORD_0 src1_sel:DWORD
	v_mul_u32_u24_sdwa v57, v36, v162 dst_sel:DWORD dst_unused:UNUSED_PAD src0_sel:WORD_1 src1_sel:DWORD
	v_mul_u32_u24_sdwa v58, v37, v162 dst_sel:DWORD dst_unused:UNUSED_PAD src0_sel:WORD_0 src1_sel:DWORD
	v_mul_u32_u24_sdwa v59, v37, v162 dst_sel:DWORD dst_unused:UNUSED_PAD src0_sel:WORD_1 src1_sel:DWORD
	;; [unrolled: 2-line block ×4, first 2 shown]
	ds_read_b128 v[36:39], v142 offset:1248
	v_pk_fma_f16 v41, v34, v56, v41
	v_pk_fma_f16 v42, v34, v57, v42
	;; [unrolled: 1-line block ×8, first 2 shown]
	s_waitcnt lgkmcnt(0)
	v_mul_u32_u24_sdwa v64, v36, v162 dst_sel:DWORD dst_unused:UNUSED_PAD src0_sel:WORD_0 src1_sel:DWORD
	v_mul_u32_u24_sdwa v36, v36, v162 dst_sel:DWORD dst_unused:UNUSED_PAD src0_sel:WORD_1 src1_sel:DWORD
	v_mul_u32_u24_sdwa v65, v37, v162 dst_sel:DWORD dst_unused:UNUSED_PAD src0_sel:WORD_0 src1_sel:DWORD
	v_mul_u32_u24_sdwa v37, v37, v162 dst_sel:DWORD dst_unused:UNUSED_PAD src0_sel:WORD_1 src1_sel:DWORD
	;; [unrolled: 2-line block ×4, first 2 shown]
	v_pk_fma_f16 v49, v34, v64, v49
	v_pk_fma_f16 v50, v34, v36, v50
	;; [unrolled: 1-line block ×8, first 2 shown]
	ds_read_b128 v[36:39], v142 offset:240
	s_waitcnt lgkmcnt(0)
	v_mul_u32_u24_sdwa v40, v36, v162 dst_sel:DWORD dst_unused:UNUSED_PAD src0_sel:WORD_0 src1_sel:DWORD
	v_mul_u32_u24_sdwa v56, v36, v162 dst_sel:DWORD dst_unused:UNUSED_PAD src0_sel:WORD_1 src1_sel:DWORD
	v_mul_u32_u24_sdwa v57, v37, v162 dst_sel:DWORD dst_unused:UNUSED_PAD src0_sel:WORD_0 src1_sel:DWORD
	v_mul_u32_u24_sdwa v58, v37, v162 dst_sel:DWORD dst_unused:UNUSED_PAD src0_sel:WORD_1 src1_sel:DWORD
	;; [unrolled: 2-line block ×4, first 2 shown]
	ds_read_b128 v[36:39], v142 offset:1264
	v_pk_fma_f16 v41, v35, v40, v41
	v_pk_fma_f16 v42, v35, v56, v42
	;; [unrolled: 1-line block ×8, first 2 shown]
	s_waitcnt lgkmcnt(0)
	v_mul_u32_u24_sdwa v63, v36, v162 dst_sel:DWORD dst_unused:UNUSED_PAD src0_sel:WORD_0 src1_sel:DWORD
	v_mul_u32_u24_sdwa v36, v36, v162 dst_sel:DWORD dst_unused:UNUSED_PAD src0_sel:WORD_1 src1_sel:DWORD
	v_mul_u32_u24_sdwa v64, v37, v162 dst_sel:DWORD dst_unused:UNUSED_PAD src0_sel:WORD_0 src1_sel:DWORD
	v_mul_u32_u24_sdwa v37, v37, v162 dst_sel:DWORD dst_unused:UNUSED_PAD src0_sel:WORD_1 src1_sel:DWORD
	;; [unrolled: 2-line block ×4, first 2 shown]
	v_pk_fma_f16 v50, v35, v36, v50
	v_add_nc_u32_e32 v36, 0x800, v140
	v_pk_fma_f16 v49, v35, v63, v49
	v_pk_fma_f16 v51, v35, v64, v51
	;; [unrolled: 1-line block ×7, first 2 shown]
	ds_read2_b32 v[34:35], v36 offset1:32
	ds_read_b128 v[37:40], v142 offset:256
	s_waitcnt lgkmcnt(0)
	v_mul_u32_u24_sdwa v57, v37, v162 dst_sel:DWORD dst_unused:UNUSED_PAD src0_sel:WORD_0 src1_sel:DWORD
	v_mul_u32_u24_sdwa v58, v37, v162 dst_sel:DWORD dst_unused:UNUSED_PAD src0_sel:WORD_1 src1_sel:DWORD
	v_mul_u32_u24_sdwa v59, v38, v162 dst_sel:DWORD dst_unused:UNUSED_PAD src0_sel:WORD_0 src1_sel:DWORD
	v_mul_u32_u24_sdwa v60, v38, v162 dst_sel:DWORD dst_unused:UNUSED_PAD src0_sel:WORD_1 src1_sel:DWORD
	;; [unrolled: 2-line block ×4, first 2 shown]
	ds_read_b128 v[37:40], v142 offset:1280
	v_pk_fma_f16 v41, v34, v57, v41
	v_pk_fma_f16 v42, v34, v58, v42
	;; [unrolled: 1-line block ×8, first 2 shown]
	s_waitcnt lgkmcnt(0)
	v_mul_u32_u24_sdwa v65, v37, v162 dst_sel:DWORD dst_unused:UNUSED_PAD src0_sel:WORD_0 src1_sel:DWORD
	v_mul_u32_u24_sdwa v37, v37, v162 dst_sel:DWORD dst_unused:UNUSED_PAD src0_sel:WORD_1 src1_sel:DWORD
	v_mul_u32_u24_sdwa v66, v38, v162 dst_sel:DWORD dst_unused:UNUSED_PAD src0_sel:WORD_0 src1_sel:DWORD
	v_mul_u32_u24_sdwa v38, v38, v162 dst_sel:DWORD dst_unused:UNUSED_PAD src0_sel:WORD_1 src1_sel:DWORD
	;; [unrolled: 2-line block ×4, first 2 shown]
	v_pk_fma_f16 v49, v34, v65, v49
	v_pk_fma_f16 v50, v34, v37, v50
	;; [unrolled: 1-line block ×8, first 2 shown]
	ds_read_b128 v[37:40], v142 offset:272
	s_waitcnt lgkmcnt(0)
	v_mul_u32_u24_sdwa v56, v37, v162 dst_sel:DWORD dst_unused:UNUSED_PAD src0_sel:WORD_0 src1_sel:DWORD
	v_mul_u32_u24_sdwa v57, v37, v162 dst_sel:DWORD dst_unused:UNUSED_PAD src0_sel:WORD_1 src1_sel:DWORD
	v_mul_u32_u24_sdwa v58, v38, v162 dst_sel:DWORD dst_unused:UNUSED_PAD src0_sel:WORD_0 src1_sel:DWORD
	v_mul_u32_u24_sdwa v59, v38, v162 dst_sel:DWORD dst_unused:UNUSED_PAD src0_sel:WORD_1 src1_sel:DWORD
	;; [unrolled: 2-line block ×4, first 2 shown]
	ds_read_b128 v[37:40], v142 offset:1296
	v_pk_fma_f16 v41, v35, v56, v41
	v_pk_fma_f16 v42, v35, v57, v42
	v_pk_fma_f16 v43, v35, v58, v43
	v_pk_fma_f16 v44, v35, v59, v44
	v_pk_fma_f16 v45, v35, v60, v45
	v_pk_fma_f16 v46, v35, v61, v46
	v_pk_fma_f16 v47, v35, v62, v47
	v_pk_fma_f16 v48, v35, v63, v48
	s_waitcnt lgkmcnt(0)
	v_mul_u32_u24_sdwa v64, v37, v162 dst_sel:DWORD dst_unused:UNUSED_PAD src0_sel:WORD_0 src1_sel:DWORD
	v_mul_u32_u24_sdwa v37, v37, v162 dst_sel:DWORD dst_unused:UNUSED_PAD src0_sel:WORD_1 src1_sel:DWORD
	v_mul_u32_u24_sdwa v65, v38, v162 dst_sel:DWORD dst_unused:UNUSED_PAD src0_sel:WORD_0 src1_sel:DWORD
	v_mul_u32_u24_sdwa v38, v38, v162 dst_sel:DWORD dst_unused:UNUSED_PAD src0_sel:WORD_1 src1_sel:DWORD
	;; [unrolled: 2-line block ×4, first 2 shown]
	v_pk_fma_f16 v49, v35, v64, v49
	v_pk_fma_f16 v50, v35, v37, v50
	;; [unrolled: 1-line block ×8, first 2 shown]
	ds_read2_b32 v[34:35], v36 offset0:64 offset1:96
	ds_read_b128 v[37:40], v142 offset:288
	s_waitcnt lgkmcnt(0)
	v_mul_u32_u24_sdwa v57, v37, v162 dst_sel:DWORD dst_unused:UNUSED_PAD src0_sel:WORD_0 src1_sel:DWORD
	v_mul_u32_u24_sdwa v58, v37, v162 dst_sel:DWORD dst_unused:UNUSED_PAD src0_sel:WORD_1 src1_sel:DWORD
	v_mul_u32_u24_sdwa v59, v38, v162 dst_sel:DWORD dst_unused:UNUSED_PAD src0_sel:WORD_0 src1_sel:DWORD
	v_mul_u32_u24_sdwa v60, v38, v162 dst_sel:DWORD dst_unused:UNUSED_PAD src0_sel:WORD_1 src1_sel:DWORD
	;; [unrolled: 2-line block ×4, first 2 shown]
	ds_read_b128 v[37:40], v142 offset:1312
	v_pk_fma_f16 v41, v34, v57, v41
	v_pk_fma_f16 v42, v34, v58, v42
	;; [unrolled: 1-line block ×8, first 2 shown]
	s_waitcnt lgkmcnt(0)
	v_mul_u32_u24_sdwa v65, v37, v162 dst_sel:DWORD dst_unused:UNUSED_PAD src0_sel:WORD_0 src1_sel:DWORD
	v_mul_u32_u24_sdwa v37, v37, v162 dst_sel:DWORD dst_unused:UNUSED_PAD src0_sel:WORD_1 src1_sel:DWORD
	v_mul_u32_u24_sdwa v66, v38, v162 dst_sel:DWORD dst_unused:UNUSED_PAD src0_sel:WORD_0 src1_sel:DWORD
	v_mul_u32_u24_sdwa v38, v38, v162 dst_sel:DWORD dst_unused:UNUSED_PAD src0_sel:WORD_1 src1_sel:DWORD
	;; [unrolled: 2-line block ×4, first 2 shown]
	v_pk_fma_f16 v49, v34, v65, v49
	v_pk_fma_f16 v50, v34, v37, v50
	;; [unrolled: 1-line block ×8, first 2 shown]
	ds_read_b128 v[37:40], v142 offset:304
	s_waitcnt lgkmcnt(0)
	v_mul_u32_u24_sdwa v56, v37, v162 dst_sel:DWORD dst_unused:UNUSED_PAD src0_sel:WORD_0 src1_sel:DWORD
	v_mul_u32_u24_sdwa v57, v37, v162 dst_sel:DWORD dst_unused:UNUSED_PAD src0_sel:WORD_1 src1_sel:DWORD
	v_mul_u32_u24_sdwa v58, v38, v162 dst_sel:DWORD dst_unused:UNUSED_PAD src0_sel:WORD_0 src1_sel:DWORD
	v_mul_u32_u24_sdwa v59, v38, v162 dst_sel:DWORD dst_unused:UNUSED_PAD src0_sel:WORD_1 src1_sel:DWORD
	;; [unrolled: 2-line block ×4, first 2 shown]
	ds_read_b128 v[37:40], v142 offset:1328
	v_pk_fma_f16 v41, v35, v56, v41
	v_pk_fma_f16 v42, v35, v57, v42
	;; [unrolled: 1-line block ×8, first 2 shown]
	s_waitcnt lgkmcnt(0)
	v_mul_u32_u24_sdwa v64, v37, v162 dst_sel:DWORD dst_unused:UNUSED_PAD src0_sel:WORD_0 src1_sel:DWORD
	v_mul_u32_u24_sdwa v37, v37, v162 dst_sel:DWORD dst_unused:UNUSED_PAD src0_sel:WORD_1 src1_sel:DWORD
	v_mul_u32_u24_sdwa v65, v38, v162 dst_sel:DWORD dst_unused:UNUSED_PAD src0_sel:WORD_0 src1_sel:DWORD
	v_mul_u32_u24_sdwa v38, v38, v162 dst_sel:DWORD dst_unused:UNUSED_PAD src0_sel:WORD_1 src1_sel:DWORD
	;; [unrolled: 2-line block ×4, first 2 shown]
	v_pk_fma_f16 v49, v35, v64, v49
	v_pk_fma_f16 v50, v35, v37, v50
	;; [unrolled: 1-line block ×8, first 2 shown]
	ds_read2_b32 v[34:35], v36 offset0:128 offset1:160
	ds_read_b128 v[37:40], v142 offset:320
	s_waitcnt lgkmcnt(0)
	v_mul_u32_u24_sdwa v57, v37, v162 dst_sel:DWORD dst_unused:UNUSED_PAD src0_sel:WORD_0 src1_sel:DWORD
	v_mul_u32_u24_sdwa v58, v37, v162 dst_sel:DWORD dst_unused:UNUSED_PAD src0_sel:WORD_1 src1_sel:DWORD
	v_mul_u32_u24_sdwa v59, v38, v162 dst_sel:DWORD dst_unused:UNUSED_PAD src0_sel:WORD_0 src1_sel:DWORD
	v_mul_u32_u24_sdwa v60, v38, v162 dst_sel:DWORD dst_unused:UNUSED_PAD src0_sel:WORD_1 src1_sel:DWORD
	;; [unrolled: 2-line block ×4, first 2 shown]
	ds_read_b128 v[37:40], v142 offset:1344
	v_pk_fma_f16 v41, v34, v57, v41
	v_pk_fma_f16 v42, v34, v58, v42
	;; [unrolled: 1-line block ×8, first 2 shown]
	s_waitcnt lgkmcnt(0)
	v_mul_u32_u24_sdwa v65, v37, v162 dst_sel:DWORD dst_unused:UNUSED_PAD src0_sel:WORD_0 src1_sel:DWORD
	v_mul_u32_u24_sdwa v37, v37, v162 dst_sel:DWORD dst_unused:UNUSED_PAD src0_sel:WORD_1 src1_sel:DWORD
	v_mul_u32_u24_sdwa v66, v38, v162 dst_sel:DWORD dst_unused:UNUSED_PAD src0_sel:WORD_0 src1_sel:DWORD
	v_mul_u32_u24_sdwa v38, v38, v162 dst_sel:DWORD dst_unused:UNUSED_PAD src0_sel:WORD_1 src1_sel:DWORD
	;; [unrolled: 2-line block ×4, first 2 shown]
	v_pk_fma_f16 v49, v34, v65, v49
	v_pk_fma_f16 v50, v34, v37, v50
	;; [unrolled: 1-line block ×8, first 2 shown]
	ds_read_b128 v[37:40], v142 offset:336
	s_waitcnt lgkmcnt(0)
	v_mul_u32_u24_sdwa v56, v37, v162 dst_sel:DWORD dst_unused:UNUSED_PAD src0_sel:WORD_0 src1_sel:DWORD
	v_mul_u32_u24_sdwa v57, v37, v162 dst_sel:DWORD dst_unused:UNUSED_PAD src0_sel:WORD_1 src1_sel:DWORD
	v_mul_u32_u24_sdwa v58, v38, v162 dst_sel:DWORD dst_unused:UNUSED_PAD src0_sel:WORD_0 src1_sel:DWORD
	v_mul_u32_u24_sdwa v59, v38, v162 dst_sel:DWORD dst_unused:UNUSED_PAD src0_sel:WORD_1 src1_sel:DWORD
	;; [unrolled: 2-line block ×4, first 2 shown]
	ds_read_b128 v[37:40], v142 offset:1360
	v_pk_fma_f16 v41, v35, v56, v41
	v_pk_fma_f16 v42, v35, v57, v42
	;; [unrolled: 1-line block ×8, first 2 shown]
	s_waitcnt lgkmcnt(0)
	v_mul_u32_u24_sdwa v64, v37, v162 dst_sel:DWORD dst_unused:UNUSED_PAD src0_sel:WORD_0 src1_sel:DWORD
	v_mul_u32_u24_sdwa v37, v37, v162 dst_sel:DWORD dst_unused:UNUSED_PAD src0_sel:WORD_1 src1_sel:DWORD
	v_mul_u32_u24_sdwa v65, v38, v162 dst_sel:DWORD dst_unused:UNUSED_PAD src0_sel:WORD_0 src1_sel:DWORD
	v_mul_u32_u24_sdwa v38, v38, v162 dst_sel:DWORD dst_unused:UNUSED_PAD src0_sel:WORD_1 src1_sel:DWORD
	;; [unrolled: 2-line block ×4, first 2 shown]
	v_pk_fma_f16 v49, v35, v64, v49
	v_pk_fma_f16 v50, v35, v37, v50
	;; [unrolled: 1-line block ×8, first 2 shown]
	ds_read2_b32 v[34:35], v36 offset0:192 offset1:224
	ds_read_b128 v[36:39], v142 offset:352
	s_waitcnt lgkmcnt(0)
	v_mul_u32_u24_sdwa v56, v36, v162 dst_sel:DWORD dst_unused:UNUSED_PAD src0_sel:WORD_0 src1_sel:DWORD
	v_mul_u32_u24_sdwa v57, v36, v162 dst_sel:DWORD dst_unused:UNUSED_PAD src0_sel:WORD_1 src1_sel:DWORD
	v_mul_u32_u24_sdwa v58, v37, v162 dst_sel:DWORD dst_unused:UNUSED_PAD src0_sel:WORD_0 src1_sel:DWORD
	v_mul_u32_u24_sdwa v59, v37, v162 dst_sel:DWORD dst_unused:UNUSED_PAD src0_sel:WORD_1 src1_sel:DWORD
	;; [unrolled: 2-line block ×4, first 2 shown]
	ds_read_b128 v[36:39], v142 offset:1376
	v_pk_fma_f16 v41, v34, v56, v41
	v_pk_fma_f16 v42, v34, v57, v42
	;; [unrolled: 1-line block ×8, first 2 shown]
	s_waitcnt lgkmcnt(0)
	v_mul_u32_u24_sdwa v64, v36, v162 dst_sel:DWORD dst_unused:UNUSED_PAD src0_sel:WORD_0 src1_sel:DWORD
	v_mul_u32_u24_sdwa v36, v36, v162 dst_sel:DWORD dst_unused:UNUSED_PAD src0_sel:WORD_1 src1_sel:DWORD
	v_mul_u32_u24_sdwa v65, v37, v162 dst_sel:DWORD dst_unused:UNUSED_PAD src0_sel:WORD_0 src1_sel:DWORD
	v_mul_u32_u24_sdwa v37, v37, v162 dst_sel:DWORD dst_unused:UNUSED_PAD src0_sel:WORD_1 src1_sel:DWORD
	;; [unrolled: 2-line block ×4, first 2 shown]
	v_pk_fma_f16 v49, v34, v64, v49
	v_pk_fma_f16 v50, v34, v36, v50
	v_pk_fma_f16 v51, v34, v65, v51
	v_pk_fma_f16 v52, v34, v37, v52
	v_pk_fma_f16 v53, v34, v66, v53
	v_pk_fma_f16 v55, v34, v38, v55
	v_pk_fma_f16 v54, v34, v67, v54
	v_pk_fma_f16 v34, v34, v39, v40
	ds_read_b128 v[36:39], v142 offset:368
	s_waitcnt lgkmcnt(0)
	v_mul_u32_u24_sdwa v40, v36, v162 dst_sel:DWORD dst_unused:UNUSED_PAD src0_sel:WORD_0 src1_sel:DWORD
	v_mul_u32_u24_sdwa v56, v36, v162 dst_sel:DWORD dst_unused:UNUSED_PAD src0_sel:WORD_1 src1_sel:DWORD
	v_mul_u32_u24_sdwa v57, v37, v162 dst_sel:DWORD dst_unused:UNUSED_PAD src0_sel:WORD_0 src1_sel:DWORD
	v_mul_u32_u24_sdwa v58, v37, v162 dst_sel:DWORD dst_unused:UNUSED_PAD src0_sel:WORD_1 src1_sel:DWORD
	;; [unrolled: 2-line block ×4, first 2 shown]
	ds_read_b128 v[36:39], v142 offset:1392
	v_pk_fma_f16 v41, v35, v40, v41
	v_pk_fma_f16 v42, v35, v56, v42
	;; [unrolled: 1-line block ×8, first 2 shown]
	s_waitcnt lgkmcnt(0)
	v_mul_u32_u24_sdwa v63, v36, v162 dst_sel:DWORD dst_unused:UNUSED_PAD src0_sel:WORD_0 src1_sel:DWORD
	v_mul_u32_u24_sdwa v36, v36, v162 dst_sel:DWORD dst_unused:UNUSED_PAD src0_sel:WORD_1 src1_sel:DWORD
	v_mul_u32_u24_sdwa v64, v37, v162 dst_sel:DWORD dst_unused:UNUSED_PAD src0_sel:WORD_0 src1_sel:DWORD
	v_mul_u32_u24_sdwa v37, v37, v162 dst_sel:DWORD dst_unused:UNUSED_PAD src0_sel:WORD_1 src1_sel:DWORD
	;; [unrolled: 2-line block ×4, first 2 shown]
	v_pk_fma_f16 v50, v35, v36, v50
	v_add_nc_u32_e32 v36, 0xc00, v140
	v_pk_fma_f16 v49, v35, v63, v49
	v_pk_fma_f16 v51, v35, v64, v51
	;; [unrolled: 1-line block ×7, first 2 shown]
	ds_read2_b32 v[34:35], v36 offset1:32
	ds_read_b128 v[37:40], v142 offset:384
	s_waitcnt lgkmcnt(0)
	v_mul_u32_u24_sdwa v57, v37, v162 dst_sel:DWORD dst_unused:UNUSED_PAD src0_sel:WORD_0 src1_sel:DWORD
	v_mul_u32_u24_sdwa v58, v37, v162 dst_sel:DWORD dst_unused:UNUSED_PAD src0_sel:WORD_1 src1_sel:DWORD
	v_mul_u32_u24_sdwa v59, v38, v162 dst_sel:DWORD dst_unused:UNUSED_PAD src0_sel:WORD_0 src1_sel:DWORD
	v_mul_u32_u24_sdwa v60, v38, v162 dst_sel:DWORD dst_unused:UNUSED_PAD src0_sel:WORD_1 src1_sel:DWORD
	;; [unrolled: 2-line block ×4, first 2 shown]
	ds_read_b128 v[37:40], v142 offset:1408
	v_pk_fma_f16 v41, v34, v57, v41
	v_pk_fma_f16 v42, v34, v58, v42
	;; [unrolled: 1-line block ×8, first 2 shown]
	s_waitcnt lgkmcnt(0)
	v_mul_u32_u24_sdwa v65, v37, v162 dst_sel:DWORD dst_unused:UNUSED_PAD src0_sel:WORD_0 src1_sel:DWORD
	v_mul_u32_u24_sdwa v37, v37, v162 dst_sel:DWORD dst_unused:UNUSED_PAD src0_sel:WORD_1 src1_sel:DWORD
	v_mul_u32_u24_sdwa v66, v38, v162 dst_sel:DWORD dst_unused:UNUSED_PAD src0_sel:WORD_0 src1_sel:DWORD
	v_mul_u32_u24_sdwa v38, v38, v162 dst_sel:DWORD dst_unused:UNUSED_PAD src0_sel:WORD_1 src1_sel:DWORD
	;; [unrolled: 2-line block ×4, first 2 shown]
	v_pk_fma_f16 v49, v34, v65, v49
	v_pk_fma_f16 v50, v34, v37, v50
	;; [unrolled: 1-line block ×8, first 2 shown]
	ds_read_b128 v[37:40], v142 offset:400
	s_waitcnt lgkmcnt(0)
	v_mul_u32_u24_sdwa v56, v37, v162 dst_sel:DWORD dst_unused:UNUSED_PAD src0_sel:WORD_0 src1_sel:DWORD
	v_mul_u32_u24_sdwa v57, v37, v162 dst_sel:DWORD dst_unused:UNUSED_PAD src0_sel:WORD_1 src1_sel:DWORD
	v_mul_u32_u24_sdwa v58, v38, v162 dst_sel:DWORD dst_unused:UNUSED_PAD src0_sel:WORD_0 src1_sel:DWORD
	v_mul_u32_u24_sdwa v59, v38, v162 dst_sel:DWORD dst_unused:UNUSED_PAD src0_sel:WORD_1 src1_sel:DWORD
	;; [unrolled: 2-line block ×4, first 2 shown]
	ds_read_b128 v[37:40], v142 offset:1424
	v_pk_fma_f16 v41, v35, v56, v41
	v_pk_fma_f16 v42, v35, v57, v42
	;; [unrolled: 1-line block ×8, first 2 shown]
	s_waitcnt lgkmcnt(0)
	v_mul_u32_u24_sdwa v64, v37, v162 dst_sel:DWORD dst_unused:UNUSED_PAD src0_sel:WORD_0 src1_sel:DWORD
	v_mul_u32_u24_sdwa v37, v37, v162 dst_sel:DWORD dst_unused:UNUSED_PAD src0_sel:WORD_1 src1_sel:DWORD
	v_mul_u32_u24_sdwa v65, v38, v162 dst_sel:DWORD dst_unused:UNUSED_PAD src0_sel:WORD_0 src1_sel:DWORD
	v_mul_u32_u24_sdwa v38, v38, v162 dst_sel:DWORD dst_unused:UNUSED_PAD src0_sel:WORD_1 src1_sel:DWORD
	;; [unrolled: 2-line block ×4, first 2 shown]
	v_pk_fma_f16 v49, v35, v64, v49
	v_pk_fma_f16 v50, v35, v37, v50
	;; [unrolled: 1-line block ×8, first 2 shown]
	ds_read2_b32 v[34:35], v36 offset0:64 offset1:96
	ds_read_b128 v[37:40], v142 offset:416
	s_waitcnt lgkmcnt(0)
	v_mul_u32_u24_sdwa v57, v37, v162 dst_sel:DWORD dst_unused:UNUSED_PAD src0_sel:WORD_0 src1_sel:DWORD
	v_mul_u32_u24_sdwa v58, v37, v162 dst_sel:DWORD dst_unused:UNUSED_PAD src0_sel:WORD_1 src1_sel:DWORD
	v_mul_u32_u24_sdwa v59, v38, v162 dst_sel:DWORD dst_unused:UNUSED_PAD src0_sel:WORD_0 src1_sel:DWORD
	v_mul_u32_u24_sdwa v60, v38, v162 dst_sel:DWORD dst_unused:UNUSED_PAD src0_sel:WORD_1 src1_sel:DWORD
	v_mul_u32_u24_sdwa v61, v39, v162 dst_sel:DWORD dst_unused:UNUSED_PAD src0_sel:WORD_0 src1_sel:DWORD
	v_mul_u32_u24_sdwa v62, v39, v162 dst_sel:DWORD dst_unused:UNUSED_PAD src0_sel:WORD_1 src1_sel:DWORD
	v_mul_u32_u24_sdwa v63, v40, v162 dst_sel:DWORD dst_unused:UNUSED_PAD src0_sel:WORD_0 src1_sel:DWORD
	v_mul_u32_u24_sdwa v64, v40, v162 dst_sel:DWORD dst_unused:UNUSED_PAD src0_sel:WORD_1 src1_sel:DWORD
	ds_read_b128 v[37:40], v142 offset:1440
	v_pk_fma_f16 v41, v34, v57, v41
	v_pk_fma_f16 v42, v34, v58, v42
	;; [unrolled: 1-line block ×8, first 2 shown]
	s_waitcnt lgkmcnt(0)
	v_mul_u32_u24_sdwa v65, v37, v162 dst_sel:DWORD dst_unused:UNUSED_PAD src0_sel:WORD_0 src1_sel:DWORD
	v_mul_u32_u24_sdwa v37, v37, v162 dst_sel:DWORD dst_unused:UNUSED_PAD src0_sel:WORD_1 src1_sel:DWORD
	v_mul_u32_u24_sdwa v66, v38, v162 dst_sel:DWORD dst_unused:UNUSED_PAD src0_sel:WORD_0 src1_sel:DWORD
	v_mul_u32_u24_sdwa v38, v38, v162 dst_sel:DWORD dst_unused:UNUSED_PAD src0_sel:WORD_1 src1_sel:DWORD
	;; [unrolled: 2-line block ×4, first 2 shown]
	v_pk_fma_f16 v49, v34, v65, v49
	v_pk_fma_f16 v50, v34, v37, v50
	;; [unrolled: 1-line block ×8, first 2 shown]
	ds_read_b128 v[37:40], v142 offset:432
	s_waitcnt lgkmcnt(0)
	v_mul_u32_u24_sdwa v56, v37, v162 dst_sel:DWORD dst_unused:UNUSED_PAD src0_sel:WORD_0 src1_sel:DWORD
	v_mul_u32_u24_sdwa v57, v37, v162 dst_sel:DWORD dst_unused:UNUSED_PAD src0_sel:WORD_1 src1_sel:DWORD
	v_mul_u32_u24_sdwa v58, v38, v162 dst_sel:DWORD dst_unused:UNUSED_PAD src0_sel:WORD_0 src1_sel:DWORD
	v_mul_u32_u24_sdwa v59, v38, v162 dst_sel:DWORD dst_unused:UNUSED_PAD src0_sel:WORD_1 src1_sel:DWORD
	;; [unrolled: 2-line block ×4, first 2 shown]
	ds_read_b128 v[37:40], v142 offset:1456
	v_pk_fma_f16 v41, v35, v56, v41
	v_pk_fma_f16 v42, v35, v57, v42
	;; [unrolled: 1-line block ×8, first 2 shown]
	s_waitcnt lgkmcnt(0)
	v_mul_u32_u24_sdwa v64, v37, v162 dst_sel:DWORD dst_unused:UNUSED_PAD src0_sel:WORD_0 src1_sel:DWORD
	v_mul_u32_u24_sdwa v37, v37, v162 dst_sel:DWORD dst_unused:UNUSED_PAD src0_sel:WORD_1 src1_sel:DWORD
	v_mul_u32_u24_sdwa v65, v38, v162 dst_sel:DWORD dst_unused:UNUSED_PAD src0_sel:WORD_0 src1_sel:DWORD
	v_mul_u32_u24_sdwa v38, v38, v162 dst_sel:DWORD dst_unused:UNUSED_PAD src0_sel:WORD_1 src1_sel:DWORD
	;; [unrolled: 2-line block ×4, first 2 shown]
	v_pk_fma_f16 v49, v35, v64, v49
	v_pk_fma_f16 v50, v35, v37, v50
	;; [unrolled: 1-line block ×8, first 2 shown]
	ds_read2_b32 v[34:35], v36 offset0:128 offset1:160
	ds_read_b128 v[37:40], v142 offset:448
	s_waitcnt lgkmcnt(0)
	v_mul_u32_u24_sdwa v57, v37, v162 dst_sel:DWORD dst_unused:UNUSED_PAD src0_sel:WORD_0 src1_sel:DWORD
	v_mul_u32_u24_sdwa v58, v37, v162 dst_sel:DWORD dst_unused:UNUSED_PAD src0_sel:WORD_1 src1_sel:DWORD
	v_mul_u32_u24_sdwa v59, v38, v162 dst_sel:DWORD dst_unused:UNUSED_PAD src0_sel:WORD_0 src1_sel:DWORD
	v_mul_u32_u24_sdwa v60, v38, v162 dst_sel:DWORD dst_unused:UNUSED_PAD src0_sel:WORD_1 src1_sel:DWORD
	;; [unrolled: 2-line block ×4, first 2 shown]
	ds_read_b128 v[37:40], v142 offset:1472
	v_pk_fma_f16 v41, v34, v57, v41
	v_pk_fma_f16 v42, v34, v58, v42
	v_pk_fma_f16 v43, v34, v59, v43
	v_pk_fma_f16 v44, v34, v60, v44
	v_pk_fma_f16 v45, v34, v61, v45
	v_pk_fma_f16 v46, v34, v62, v46
	v_pk_fma_f16 v47, v34, v63, v47
	v_pk_fma_f16 v48, v34, v64, v48
	s_waitcnt lgkmcnt(0)
	v_mul_u32_u24_sdwa v65, v37, v162 dst_sel:DWORD dst_unused:UNUSED_PAD src0_sel:WORD_0 src1_sel:DWORD
	v_mul_u32_u24_sdwa v37, v37, v162 dst_sel:DWORD dst_unused:UNUSED_PAD src0_sel:WORD_1 src1_sel:DWORD
	v_mul_u32_u24_sdwa v66, v38, v162 dst_sel:DWORD dst_unused:UNUSED_PAD src0_sel:WORD_0 src1_sel:DWORD
	v_mul_u32_u24_sdwa v38, v38, v162 dst_sel:DWORD dst_unused:UNUSED_PAD src0_sel:WORD_1 src1_sel:DWORD
	;; [unrolled: 2-line block ×4, first 2 shown]
	v_pk_fma_f16 v49, v34, v65, v49
	v_pk_fma_f16 v50, v34, v37, v50
	v_pk_fma_f16 v51, v34, v66, v51
	v_pk_fma_f16 v52, v34, v38, v52
	v_pk_fma_f16 v53, v34, v67, v53
	v_pk_fma_f16 v55, v34, v39, v55
	v_pk_fma_f16 v54, v34, v68, v54
	v_pk_fma_f16 v34, v34, v40, v56
	ds_read_b128 v[37:40], v142 offset:464
	s_waitcnt lgkmcnt(0)
	v_mul_u32_u24_sdwa v56, v37, v162 dst_sel:DWORD dst_unused:UNUSED_PAD src0_sel:WORD_0 src1_sel:DWORD
	v_mul_u32_u24_sdwa v57, v37, v162 dst_sel:DWORD dst_unused:UNUSED_PAD src0_sel:WORD_1 src1_sel:DWORD
	v_mul_u32_u24_sdwa v58, v38, v162 dst_sel:DWORD dst_unused:UNUSED_PAD src0_sel:WORD_0 src1_sel:DWORD
	v_mul_u32_u24_sdwa v59, v38, v162 dst_sel:DWORD dst_unused:UNUSED_PAD src0_sel:WORD_1 src1_sel:DWORD
	;; [unrolled: 2-line block ×4, first 2 shown]
	ds_read_b128 v[37:40], v142 offset:1488
	v_pk_fma_f16 v41, v35, v56, v41
	v_pk_fma_f16 v42, v35, v57, v42
	;; [unrolled: 1-line block ×8, first 2 shown]
	s_waitcnt lgkmcnt(0)
	v_mul_u32_u24_sdwa v64, v37, v162 dst_sel:DWORD dst_unused:UNUSED_PAD src0_sel:WORD_0 src1_sel:DWORD
	v_mul_u32_u24_sdwa v37, v37, v162 dst_sel:DWORD dst_unused:UNUSED_PAD src0_sel:WORD_1 src1_sel:DWORD
	v_mul_u32_u24_sdwa v65, v38, v162 dst_sel:DWORD dst_unused:UNUSED_PAD src0_sel:WORD_0 src1_sel:DWORD
	v_mul_u32_u24_sdwa v38, v38, v162 dst_sel:DWORD dst_unused:UNUSED_PAD src0_sel:WORD_1 src1_sel:DWORD
	;; [unrolled: 2-line block ×4, first 2 shown]
	v_pk_fma_f16 v49, v35, v64, v49
	v_pk_fma_f16 v50, v35, v37, v50
	;; [unrolled: 1-line block ×8, first 2 shown]
	ds_read2_b32 v[34:35], v36 offset0:192 offset1:224
	ds_read_b128 v[36:39], v142 offset:480
	s_waitcnt lgkmcnt(0)
	v_mul_u32_u24_sdwa v56, v36, v162 dst_sel:DWORD dst_unused:UNUSED_PAD src0_sel:WORD_0 src1_sel:DWORD
	v_mul_u32_u24_sdwa v57, v36, v162 dst_sel:DWORD dst_unused:UNUSED_PAD src0_sel:WORD_1 src1_sel:DWORD
	v_mul_u32_u24_sdwa v58, v37, v162 dst_sel:DWORD dst_unused:UNUSED_PAD src0_sel:WORD_0 src1_sel:DWORD
	v_mul_u32_u24_sdwa v59, v37, v162 dst_sel:DWORD dst_unused:UNUSED_PAD src0_sel:WORD_1 src1_sel:DWORD
	v_mul_u32_u24_sdwa v60, v38, v162 dst_sel:DWORD dst_unused:UNUSED_PAD src0_sel:WORD_0 src1_sel:DWORD
	v_mul_u32_u24_sdwa v61, v38, v162 dst_sel:DWORD dst_unused:UNUSED_PAD src0_sel:WORD_1 src1_sel:DWORD
	v_mul_u32_u24_sdwa v62, v39, v162 dst_sel:DWORD dst_unused:UNUSED_PAD src0_sel:WORD_0 src1_sel:DWORD
	v_mul_u32_u24_sdwa v63, v39, v162 dst_sel:DWORD dst_unused:UNUSED_PAD src0_sel:WORD_1 src1_sel:DWORD
	ds_read_b128 v[36:39], v142 offset:1504
	v_pk_fma_f16 v41, v34, v56, v41
	v_pk_fma_f16 v42, v34, v57, v42
	;; [unrolled: 1-line block ×8, first 2 shown]
	s_waitcnt lgkmcnt(0)
	v_mul_u32_u24_sdwa v64, v36, v162 dst_sel:DWORD dst_unused:UNUSED_PAD src0_sel:WORD_0 src1_sel:DWORD
	v_mul_u32_u24_sdwa v36, v36, v162 dst_sel:DWORD dst_unused:UNUSED_PAD src0_sel:WORD_1 src1_sel:DWORD
	v_mul_u32_u24_sdwa v65, v37, v162 dst_sel:DWORD dst_unused:UNUSED_PAD src0_sel:WORD_0 src1_sel:DWORD
	v_mul_u32_u24_sdwa v37, v37, v162 dst_sel:DWORD dst_unused:UNUSED_PAD src0_sel:WORD_1 src1_sel:DWORD
	;; [unrolled: 2-line block ×4, first 2 shown]
	v_pk_fma_f16 v49, v34, v64, v49
	v_pk_fma_f16 v50, v34, v36, v50
	;; [unrolled: 1-line block ×8, first 2 shown]
	ds_read_b128 v[36:39], v142 offset:496
	s_waitcnt lgkmcnt(0)
	v_mul_u32_u24_sdwa v40, v36, v162 dst_sel:DWORD dst_unused:UNUSED_PAD src0_sel:WORD_0 src1_sel:DWORD
	v_mul_u32_u24_sdwa v56, v36, v162 dst_sel:DWORD dst_unused:UNUSED_PAD src0_sel:WORD_1 src1_sel:DWORD
	v_mul_u32_u24_sdwa v57, v37, v162 dst_sel:DWORD dst_unused:UNUSED_PAD src0_sel:WORD_0 src1_sel:DWORD
	v_mul_u32_u24_sdwa v58, v37, v162 dst_sel:DWORD dst_unused:UNUSED_PAD src0_sel:WORD_1 src1_sel:DWORD
	;; [unrolled: 2-line block ×4, first 2 shown]
	ds_read_b128 v[36:39], v142 offset:1520
	v_pk_fma_f16 v41, v35, v40, v41
	v_pk_fma_f16 v42, v35, v56, v42
	;; [unrolled: 1-line block ×8, first 2 shown]
	s_waitcnt lgkmcnt(0)
	v_mul_u32_u24_sdwa v63, v36, v162 dst_sel:DWORD dst_unused:UNUSED_PAD src0_sel:WORD_0 src1_sel:DWORD
	v_mul_u32_u24_sdwa v36, v36, v162 dst_sel:DWORD dst_unused:UNUSED_PAD src0_sel:WORD_1 src1_sel:DWORD
	v_mul_u32_u24_sdwa v64, v37, v162 dst_sel:DWORD dst_unused:UNUSED_PAD src0_sel:WORD_0 src1_sel:DWORD
	v_mul_u32_u24_sdwa v37, v37, v162 dst_sel:DWORD dst_unused:UNUSED_PAD src0_sel:WORD_1 src1_sel:DWORD
	;; [unrolled: 2-line block ×4, first 2 shown]
	v_pk_fma_f16 v50, v35, v36, v50
	v_add_nc_u32_e32 v36, 0x1000, v140
	v_pk_fma_f16 v49, v35, v63, v49
	v_pk_fma_f16 v51, v35, v64, v51
	v_pk_fma_f16 v52, v35, v37, v52
	v_pk_fma_f16 v53, v35, v65, v53
	v_pk_fma_f16 v55, v35, v38, v55
	v_pk_fma_f16 v54, v35, v66, v54
	v_pk_fma_f16 v56, v35, v39, v34
	ds_read2_b32 v[34:35], v36 offset1:32
	ds_read_b128 v[37:40], v142 offset:512
	s_waitcnt lgkmcnt(0)
	v_mul_u32_u24_sdwa v57, v37, v162 dst_sel:DWORD dst_unused:UNUSED_PAD src0_sel:WORD_0 src1_sel:DWORD
	v_mul_u32_u24_sdwa v58, v37, v162 dst_sel:DWORD dst_unused:UNUSED_PAD src0_sel:WORD_1 src1_sel:DWORD
	v_mul_u32_u24_sdwa v59, v38, v162 dst_sel:DWORD dst_unused:UNUSED_PAD src0_sel:WORD_0 src1_sel:DWORD
	v_mul_u32_u24_sdwa v60, v38, v162 dst_sel:DWORD dst_unused:UNUSED_PAD src0_sel:WORD_1 src1_sel:DWORD
	;; [unrolled: 2-line block ×4, first 2 shown]
	ds_read_b128 v[37:40], v142 offset:1536
	v_pk_fma_f16 v41, v34, v57, v41
	v_pk_fma_f16 v42, v34, v58, v42
	;; [unrolled: 1-line block ×8, first 2 shown]
	s_waitcnt lgkmcnt(0)
	v_mul_u32_u24_sdwa v65, v37, v162 dst_sel:DWORD dst_unused:UNUSED_PAD src0_sel:WORD_0 src1_sel:DWORD
	v_mul_u32_u24_sdwa v37, v37, v162 dst_sel:DWORD dst_unused:UNUSED_PAD src0_sel:WORD_1 src1_sel:DWORD
	v_mul_u32_u24_sdwa v66, v38, v162 dst_sel:DWORD dst_unused:UNUSED_PAD src0_sel:WORD_0 src1_sel:DWORD
	v_mul_u32_u24_sdwa v38, v38, v162 dst_sel:DWORD dst_unused:UNUSED_PAD src0_sel:WORD_1 src1_sel:DWORD
	v_mul_u32_u24_sdwa v67, v39, v162 dst_sel:DWORD dst_unused:UNUSED_PAD src0_sel:WORD_0 src1_sel:DWORD
	v_mul_u32_u24_sdwa v39, v39, v162 dst_sel:DWORD dst_unused:UNUSED_PAD src0_sel:WORD_1 src1_sel:DWORD
	v_mul_u32_u24_sdwa v68, v40, v162 dst_sel:DWORD dst_unused:UNUSED_PAD src0_sel:WORD_0 src1_sel:DWORD
	v_mul_u32_u24_sdwa v40, v40, v162 dst_sel:DWORD dst_unused:UNUSED_PAD src0_sel:WORD_1 src1_sel:DWORD
	v_pk_fma_f16 v49, v34, v65, v49
	v_pk_fma_f16 v50, v34, v37, v50
	;; [unrolled: 1-line block ×8, first 2 shown]
	ds_read_b128 v[37:40], v142 offset:528
	s_waitcnt lgkmcnt(0)
	v_mul_u32_u24_sdwa v56, v37, v162 dst_sel:DWORD dst_unused:UNUSED_PAD src0_sel:WORD_0 src1_sel:DWORD
	v_mul_u32_u24_sdwa v57, v37, v162 dst_sel:DWORD dst_unused:UNUSED_PAD src0_sel:WORD_1 src1_sel:DWORD
	v_mul_u32_u24_sdwa v58, v38, v162 dst_sel:DWORD dst_unused:UNUSED_PAD src0_sel:WORD_0 src1_sel:DWORD
	v_mul_u32_u24_sdwa v59, v38, v162 dst_sel:DWORD dst_unused:UNUSED_PAD src0_sel:WORD_1 src1_sel:DWORD
	;; [unrolled: 2-line block ×4, first 2 shown]
	ds_read_b128 v[37:40], v142 offset:1552
	v_pk_fma_f16 v41, v35, v56, v41
	v_pk_fma_f16 v42, v35, v57, v42
	;; [unrolled: 1-line block ×8, first 2 shown]
	s_waitcnt lgkmcnt(0)
	v_mul_u32_u24_sdwa v64, v37, v162 dst_sel:DWORD dst_unused:UNUSED_PAD src0_sel:WORD_0 src1_sel:DWORD
	v_mul_u32_u24_sdwa v37, v37, v162 dst_sel:DWORD dst_unused:UNUSED_PAD src0_sel:WORD_1 src1_sel:DWORD
	v_mul_u32_u24_sdwa v65, v38, v162 dst_sel:DWORD dst_unused:UNUSED_PAD src0_sel:WORD_0 src1_sel:DWORD
	v_mul_u32_u24_sdwa v38, v38, v162 dst_sel:DWORD dst_unused:UNUSED_PAD src0_sel:WORD_1 src1_sel:DWORD
	v_mul_u32_u24_sdwa v66, v39, v162 dst_sel:DWORD dst_unused:UNUSED_PAD src0_sel:WORD_0 src1_sel:DWORD
	v_mul_u32_u24_sdwa v39, v39, v162 dst_sel:DWORD dst_unused:UNUSED_PAD src0_sel:WORD_1 src1_sel:DWORD
	v_mul_u32_u24_sdwa v67, v40, v162 dst_sel:DWORD dst_unused:UNUSED_PAD src0_sel:WORD_0 src1_sel:DWORD
	v_mul_u32_u24_sdwa v40, v40, v162 dst_sel:DWORD dst_unused:UNUSED_PAD src0_sel:WORD_1 src1_sel:DWORD
	v_pk_fma_f16 v49, v35, v64, v49
	v_pk_fma_f16 v50, v35, v37, v50
	v_pk_fma_f16 v51, v35, v65, v51
	v_pk_fma_f16 v52, v35, v38, v52
	v_pk_fma_f16 v53, v35, v66, v53
	v_pk_fma_f16 v55, v35, v39, v55
	v_pk_fma_f16 v54, v35, v67, v54
	v_pk_fma_f16 v56, v35, v40, v34
	ds_read2_b32 v[34:35], v36 offset0:64 offset1:96
	ds_read_b128 v[37:40], v142 offset:544
	s_waitcnt lgkmcnt(0)
	v_mul_u32_u24_sdwa v57, v37, v162 dst_sel:DWORD dst_unused:UNUSED_PAD src0_sel:WORD_0 src1_sel:DWORD
	v_mul_u32_u24_sdwa v58, v37, v162 dst_sel:DWORD dst_unused:UNUSED_PAD src0_sel:WORD_1 src1_sel:DWORD
	v_mul_u32_u24_sdwa v59, v38, v162 dst_sel:DWORD dst_unused:UNUSED_PAD src0_sel:WORD_0 src1_sel:DWORD
	v_mul_u32_u24_sdwa v60, v38, v162 dst_sel:DWORD dst_unused:UNUSED_PAD src0_sel:WORD_1 src1_sel:DWORD
	;; [unrolled: 2-line block ×4, first 2 shown]
	ds_read_b128 v[37:40], v142 offset:1568
	v_pk_fma_f16 v41, v34, v57, v41
	v_pk_fma_f16 v42, v34, v58, v42
	;; [unrolled: 1-line block ×8, first 2 shown]
	s_waitcnt lgkmcnt(0)
	v_mul_u32_u24_sdwa v65, v37, v162 dst_sel:DWORD dst_unused:UNUSED_PAD src0_sel:WORD_0 src1_sel:DWORD
	v_mul_u32_u24_sdwa v37, v37, v162 dst_sel:DWORD dst_unused:UNUSED_PAD src0_sel:WORD_1 src1_sel:DWORD
	v_mul_u32_u24_sdwa v66, v38, v162 dst_sel:DWORD dst_unused:UNUSED_PAD src0_sel:WORD_0 src1_sel:DWORD
	v_mul_u32_u24_sdwa v38, v38, v162 dst_sel:DWORD dst_unused:UNUSED_PAD src0_sel:WORD_1 src1_sel:DWORD
	;; [unrolled: 2-line block ×4, first 2 shown]
	v_pk_fma_f16 v49, v34, v65, v49
	v_pk_fma_f16 v50, v34, v37, v50
	;; [unrolled: 1-line block ×8, first 2 shown]
	ds_read_b128 v[37:40], v142 offset:560
	s_waitcnt lgkmcnt(0)
	v_mul_u32_u24_sdwa v56, v37, v162 dst_sel:DWORD dst_unused:UNUSED_PAD src0_sel:WORD_0 src1_sel:DWORD
	v_mul_u32_u24_sdwa v57, v37, v162 dst_sel:DWORD dst_unused:UNUSED_PAD src0_sel:WORD_1 src1_sel:DWORD
	v_mul_u32_u24_sdwa v58, v38, v162 dst_sel:DWORD dst_unused:UNUSED_PAD src0_sel:WORD_0 src1_sel:DWORD
	v_mul_u32_u24_sdwa v59, v38, v162 dst_sel:DWORD dst_unused:UNUSED_PAD src0_sel:WORD_1 src1_sel:DWORD
	;; [unrolled: 2-line block ×4, first 2 shown]
	ds_read_b128 v[37:40], v142 offset:1584
	v_pk_fma_f16 v41, v35, v56, v41
	v_pk_fma_f16 v42, v35, v57, v42
	;; [unrolled: 1-line block ×8, first 2 shown]
	s_waitcnt lgkmcnt(0)
	v_mul_u32_u24_sdwa v64, v37, v162 dst_sel:DWORD dst_unused:UNUSED_PAD src0_sel:WORD_0 src1_sel:DWORD
	v_mul_u32_u24_sdwa v37, v37, v162 dst_sel:DWORD dst_unused:UNUSED_PAD src0_sel:WORD_1 src1_sel:DWORD
	v_mul_u32_u24_sdwa v65, v38, v162 dst_sel:DWORD dst_unused:UNUSED_PAD src0_sel:WORD_0 src1_sel:DWORD
	v_mul_u32_u24_sdwa v38, v38, v162 dst_sel:DWORD dst_unused:UNUSED_PAD src0_sel:WORD_1 src1_sel:DWORD
	;; [unrolled: 2-line block ×4, first 2 shown]
	v_pk_fma_f16 v49, v35, v64, v49
	v_pk_fma_f16 v50, v35, v37, v50
	;; [unrolled: 1-line block ×8, first 2 shown]
	ds_read2_b32 v[34:35], v36 offset0:128 offset1:160
	ds_read_b128 v[37:40], v142 offset:576
	s_waitcnt lgkmcnt(0)
	v_mul_u32_u24_sdwa v57, v37, v162 dst_sel:DWORD dst_unused:UNUSED_PAD src0_sel:WORD_0 src1_sel:DWORD
	v_mul_u32_u24_sdwa v58, v37, v162 dst_sel:DWORD dst_unused:UNUSED_PAD src0_sel:WORD_1 src1_sel:DWORD
	v_mul_u32_u24_sdwa v59, v38, v162 dst_sel:DWORD dst_unused:UNUSED_PAD src0_sel:WORD_0 src1_sel:DWORD
	v_mul_u32_u24_sdwa v60, v38, v162 dst_sel:DWORD dst_unused:UNUSED_PAD src0_sel:WORD_1 src1_sel:DWORD
	;; [unrolled: 2-line block ×4, first 2 shown]
	ds_read_b128 v[37:40], v142 offset:1600
	v_pk_fma_f16 v41, v34, v57, v41
	v_pk_fma_f16 v42, v34, v58, v42
	;; [unrolled: 1-line block ×8, first 2 shown]
	s_waitcnt lgkmcnt(0)
	v_mul_u32_u24_sdwa v65, v37, v162 dst_sel:DWORD dst_unused:UNUSED_PAD src0_sel:WORD_0 src1_sel:DWORD
	v_mul_u32_u24_sdwa v37, v37, v162 dst_sel:DWORD dst_unused:UNUSED_PAD src0_sel:WORD_1 src1_sel:DWORD
	v_mul_u32_u24_sdwa v66, v38, v162 dst_sel:DWORD dst_unused:UNUSED_PAD src0_sel:WORD_0 src1_sel:DWORD
	v_mul_u32_u24_sdwa v38, v38, v162 dst_sel:DWORD dst_unused:UNUSED_PAD src0_sel:WORD_1 src1_sel:DWORD
	;; [unrolled: 2-line block ×4, first 2 shown]
	v_pk_fma_f16 v49, v34, v65, v49
	v_pk_fma_f16 v50, v34, v37, v50
	;; [unrolled: 1-line block ×8, first 2 shown]
	ds_read_b128 v[37:40], v142 offset:592
	s_waitcnt lgkmcnt(0)
	v_mul_u32_u24_sdwa v56, v37, v162 dst_sel:DWORD dst_unused:UNUSED_PAD src0_sel:WORD_0 src1_sel:DWORD
	v_mul_u32_u24_sdwa v57, v37, v162 dst_sel:DWORD dst_unused:UNUSED_PAD src0_sel:WORD_1 src1_sel:DWORD
	v_mul_u32_u24_sdwa v58, v38, v162 dst_sel:DWORD dst_unused:UNUSED_PAD src0_sel:WORD_0 src1_sel:DWORD
	v_mul_u32_u24_sdwa v59, v38, v162 dst_sel:DWORD dst_unused:UNUSED_PAD src0_sel:WORD_1 src1_sel:DWORD
	;; [unrolled: 2-line block ×4, first 2 shown]
	ds_read_b128 v[37:40], v142 offset:1616
	v_pk_fma_f16 v41, v35, v56, v41
	v_pk_fma_f16 v42, v35, v57, v42
	;; [unrolled: 1-line block ×8, first 2 shown]
	s_waitcnt lgkmcnt(0)
	v_mul_u32_u24_sdwa v64, v37, v162 dst_sel:DWORD dst_unused:UNUSED_PAD src0_sel:WORD_0 src1_sel:DWORD
	v_mul_u32_u24_sdwa v37, v37, v162 dst_sel:DWORD dst_unused:UNUSED_PAD src0_sel:WORD_1 src1_sel:DWORD
	v_mul_u32_u24_sdwa v65, v38, v162 dst_sel:DWORD dst_unused:UNUSED_PAD src0_sel:WORD_0 src1_sel:DWORD
	v_mul_u32_u24_sdwa v38, v38, v162 dst_sel:DWORD dst_unused:UNUSED_PAD src0_sel:WORD_1 src1_sel:DWORD
	;; [unrolled: 2-line block ×4, first 2 shown]
	v_pk_fma_f16 v49, v35, v64, v49
	v_pk_fma_f16 v50, v35, v37, v50
	;; [unrolled: 1-line block ×8, first 2 shown]
	ds_read2_b32 v[34:35], v36 offset0:192 offset1:224
	ds_read_b128 v[36:39], v142 offset:608
	s_waitcnt lgkmcnt(0)
	v_mul_u32_u24_sdwa v56, v36, v162 dst_sel:DWORD dst_unused:UNUSED_PAD src0_sel:WORD_0 src1_sel:DWORD
	v_mul_u32_u24_sdwa v57, v36, v162 dst_sel:DWORD dst_unused:UNUSED_PAD src0_sel:WORD_1 src1_sel:DWORD
	v_mul_u32_u24_sdwa v58, v37, v162 dst_sel:DWORD dst_unused:UNUSED_PAD src0_sel:WORD_0 src1_sel:DWORD
	v_mul_u32_u24_sdwa v59, v37, v162 dst_sel:DWORD dst_unused:UNUSED_PAD src0_sel:WORD_1 src1_sel:DWORD
	;; [unrolled: 2-line block ×4, first 2 shown]
	ds_read_b128 v[36:39], v142 offset:1632
	v_pk_fma_f16 v41, v34, v56, v41
	v_pk_fma_f16 v42, v34, v57, v42
	;; [unrolled: 1-line block ×8, first 2 shown]
	s_waitcnt lgkmcnt(0)
	v_mul_u32_u24_sdwa v64, v36, v162 dst_sel:DWORD dst_unused:UNUSED_PAD src0_sel:WORD_0 src1_sel:DWORD
	v_mul_u32_u24_sdwa v36, v36, v162 dst_sel:DWORD dst_unused:UNUSED_PAD src0_sel:WORD_1 src1_sel:DWORD
	v_mul_u32_u24_sdwa v65, v37, v162 dst_sel:DWORD dst_unused:UNUSED_PAD src0_sel:WORD_0 src1_sel:DWORD
	v_mul_u32_u24_sdwa v37, v37, v162 dst_sel:DWORD dst_unused:UNUSED_PAD src0_sel:WORD_1 src1_sel:DWORD
	;; [unrolled: 2-line block ×4, first 2 shown]
	v_pk_fma_f16 v49, v34, v64, v49
	v_pk_fma_f16 v50, v34, v36, v50
	;; [unrolled: 1-line block ×8, first 2 shown]
	ds_read_b128 v[36:39], v142 offset:624
	s_waitcnt lgkmcnt(0)
	v_mul_u32_u24_sdwa v40, v36, v162 dst_sel:DWORD dst_unused:UNUSED_PAD src0_sel:WORD_0 src1_sel:DWORD
	v_mul_u32_u24_sdwa v56, v36, v162 dst_sel:DWORD dst_unused:UNUSED_PAD src0_sel:WORD_1 src1_sel:DWORD
	v_mul_u32_u24_sdwa v57, v37, v162 dst_sel:DWORD dst_unused:UNUSED_PAD src0_sel:WORD_0 src1_sel:DWORD
	v_mul_u32_u24_sdwa v58, v37, v162 dst_sel:DWORD dst_unused:UNUSED_PAD src0_sel:WORD_1 src1_sel:DWORD
	;; [unrolled: 2-line block ×4, first 2 shown]
	ds_read_b128 v[36:39], v142 offset:1648
	v_pk_fma_f16 v41, v35, v40, v41
	v_pk_fma_f16 v42, v35, v56, v42
	;; [unrolled: 1-line block ×8, first 2 shown]
	s_waitcnt lgkmcnt(0)
	v_mul_u32_u24_sdwa v63, v36, v162 dst_sel:DWORD dst_unused:UNUSED_PAD src0_sel:WORD_0 src1_sel:DWORD
	v_mul_u32_u24_sdwa v36, v36, v162 dst_sel:DWORD dst_unused:UNUSED_PAD src0_sel:WORD_1 src1_sel:DWORD
	v_mul_u32_u24_sdwa v64, v37, v162 dst_sel:DWORD dst_unused:UNUSED_PAD src0_sel:WORD_0 src1_sel:DWORD
	v_mul_u32_u24_sdwa v37, v37, v162 dst_sel:DWORD dst_unused:UNUSED_PAD src0_sel:WORD_1 src1_sel:DWORD
	;; [unrolled: 2-line block ×4, first 2 shown]
	v_pk_fma_f16 v50, v35, v36, v50
	v_add_nc_u32_e32 v36, 0x1400, v140
	v_pk_fma_f16 v49, v35, v63, v49
	v_pk_fma_f16 v51, v35, v64, v51
	;; [unrolled: 1-line block ×7, first 2 shown]
	ds_read2_b32 v[34:35], v36 offset1:32
	ds_read_b128 v[37:40], v142 offset:640
	s_waitcnt lgkmcnt(0)
	v_mul_u32_u24_sdwa v57, v37, v162 dst_sel:DWORD dst_unused:UNUSED_PAD src0_sel:WORD_0 src1_sel:DWORD
	v_mul_u32_u24_sdwa v58, v37, v162 dst_sel:DWORD dst_unused:UNUSED_PAD src0_sel:WORD_1 src1_sel:DWORD
	v_mul_u32_u24_sdwa v59, v38, v162 dst_sel:DWORD dst_unused:UNUSED_PAD src0_sel:WORD_0 src1_sel:DWORD
	v_mul_u32_u24_sdwa v60, v38, v162 dst_sel:DWORD dst_unused:UNUSED_PAD src0_sel:WORD_1 src1_sel:DWORD
	;; [unrolled: 2-line block ×4, first 2 shown]
	ds_read_b128 v[37:40], v142 offset:1664
	v_pk_fma_f16 v41, v34, v57, v41
	v_pk_fma_f16 v42, v34, v58, v42
	;; [unrolled: 1-line block ×8, first 2 shown]
	s_waitcnt lgkmcnt(0)
	v_mul_u32_u24_sdwa v65, v37, v162 dst_sel:DWORD dst_unused:UNUSED_PAD src0_sel:WORD_0 src1_sel:DWORD
	v_mul_u32_u24_sdwa v37, v37, v162 dst_sel:DWORD dst_unused:UNUSED_PAD src0_sel:WORD_1 src1_sel:DWORD
	v_mul_u32_u24_sdwa v66, v38, v162 dst_sel:DWORD dst_unused:UNUSED_PAD src0_sel:WORD_0 src1_sel:DWORD
	v_mul_u32_u24_sdwa v38, v38, v162 dst_sel:DWORD dst_unused:UNUSED_PAD src0_sel:WORD_1 src1_sel:DWORD
	;; [unrolled: 2-line block ×4, first 2 shown]
	v_pk_fma_f16 v49, v34, v65, v49
	v_pk_fma_f16 v50, v34, v37, v50
	;; [unrolled: 1-line block ×8, first 2 shown]
	ds_read_b128 v[37:40], v142 offset:656
	s_waitcnt lgkmcnt(0)
	v_mul_u32_u24_sdwa v56, v37, v162 dst_sel:DWORD dst_unused:UNUSED_PAD src0_sel:WORD_0 src1_sel:DWORD
	v_mul_u32_u24_sdwa v57, v37, v162 dst_sel:DWORD dst_unused:UNUSED_PAD src0_sel:WORD_1 src1_sel:DWORD
	v_mul_u32_u24_sdwa v58, v38, v162 dst_sel:DWORD dst_unused:UNUSED_PAD src0_sel:WORD_0 src1_sel:DWORD
	v_mul_u32_u24_sdwa v59, v38, v162 dst_sel:DWORD dst_unused:UNUSED_PAD src0_sel:WORD_1 src1_sel:DWORD
	;; [unrolled: 2-line block ×4, first 2 shown]
	ds_read_b128 v[37:40], v142 offset:1680
	v_pk_fma_f16 v41, v35, v56, v41
	v_pk_fma_f16 v42, v35, v57, v42
	;; [unrolled: 1-line block ×8, first 2 shown]
	s_waitcnt lgkmcnt(0)
	v_mul_u32_u24_sdwa v64, v37, v162 dst_sel:DWORD dst_unused:UNUSED_PAD src0_sel:WORD_0 src1_sel:DWORD
	v_mul_u32_u24_sdwa v37, v37, v162 dst_sel:DWORD dst_unused:UNUSED_PAD src0_sel:WORD_1 src1_sel:DWORD
	v_mul_u32_u24_sdwa v65, v38, v162 dst_sel:DWORD dst_unused:UNUSED_PAD src0_sel:WORD_0 src1_sel:DWORD
	v_mul_u32_u24_sdwa v38, v38, v162 dst_sel:DWORD dst_unused:UNUSED_PAD src0_sel:WORD_1 src1_sel:DWORD
	;; [unrolled: 2-line block ×4, first 2 shown]
	v_pk_fma_f16 v49, v35, v64, v49
	v_pk_fma_f16 v50, v35, v37, v50
	;; [unrolled: 1-line block ×8, first 2 shown]
	ds_read2_b32 v[34:35], v36 offset0:64 offset1:96
	ds_read_b128 v[37:40], v142 offset:672
	s_waitcnt lgkmcnt(0)
	v_mul_u32_u24_sdwa v57, v37, v162 dst_sel:DWORD dst_unused:UNUSED_PAD src0_sel:WORD_0 src1_sel:DWORD
	v_mul_u32_u24_sdwa v58, v37, v162 dst_sel:DWORD dst_unused:UNUSED_PAD src0_sel:WORD_1 src1_sel:DWORD
	v_mul_u32_u24_sdwa v59, v38, v162 dst_sel:DWORD dst_unused:UNUSED_PAD src0_sel:WORD_0 src1_sel:DWORD
	v_mul_u32_u24_sdwa v60, v38, v162 dst_sel:DWORD dst_unused:UNUSED_PAD src0_sel:WORD_1 src1_sel:DWORD
	;; [unrolled: 2-line block ×4, first 2 shown]
	ds_read_b128 v[37:40], v142 offset:1696
	v_pk_fma_f16 v41, v34, v57, v41
	v_pk_fma_f16 v42, v34, v58, v42
	;; [unrolled: 1-line block ×8, first 2 shown]
	s_waitcnt lgkmcnt(0)
	v_mul_u32_u24_sdwa v65, v37, v162 dst_sel:DWORD dst_unused:UNUSED_PAD src0_sel:WORD_0 src1_sel:DWORD
	v_mul_u32_u24_sdwa v37, v37, v162 dst_sel:DWORD dst_unused:UNUSED_PAD src0_sel:WORD_1 src1_sel:DWORD
	v_mul_u32_u24_sdwa v66, v38, v162 dst_sel:DWORD dst_unused:UNUSED_PAD src0_sel:WORD_0 src1_sel:DWORD
	v_mul_u32_u24_sdwa v38, v38, v162 dst_sel:DWORD dst_unused:UNUSED_PAD src0_sel:WORD_1 src1_sel:DWORD
	;; [unrolled: 2-line block ×4, first 2 shown]
	v_pk_fma_f16 v49, v34, v65, v49
	v_pk_fma_f16 v50, v34, v37, v50
	;; [unrolled: 1-line block ×8, first 2 shown]
	ds_read_b128 v[37:40], v142 offset:688
	s_waitcnt lgkmcnt(0)
	v_mul_u32_u24_sdwa v56, v37, v162 dst_sel:DWORD dst_unused:UNUSED_PAD src0_sel:WORD_0 src1_sel:DWORD
	v_mul_u32_u24_sdwa v57, v37, v162 dst_sel:DWORD dst_unused:UNUSED_PAD src0_sel:WORD_1 src1_sel:DWORD
	v_mul_u32_u24_sdwa v58, v38, v162 dst_sel:DWORD dst_unused:UNUSED_PAD src0_sel:WORD_0 src1_sel:DWORD
	v_mul_u32_u24_sdwa v59, v38, v162 dst_sel:DWORD dst_unused:UNUSED_PAD src0_sel:WORD_1 src1_sel:DWORD
	;; [unrolled: 2-line block ×4, first 2 shown]
	ds_read_b128 v[37:40], v142 offset:1712
	v_pk_fma_f16 v41, v35, v56, v41
	v_pk_fma_f16 v42, v35, v57, v42
	;; [unrolled: 1-line block ×8, first 2 shown]
	s_waitcnt lgkmcnt(0)
	v_mul_u32_u24_sdwa v64, v37, v162 dst_sel:DWORD dst_unused:UNUSED_PAD src0_sel:WORD_0 src1_sel:DWORD
	v_mul_u32_u24_sdwa v37, v37, v162 dst_sel:DWORD dst_unused:UNUSED_PAD src0_sel:WORD_1 src1_sel:DWORD
	v_mul_u32_u24_sdwa v65, v38, v162 dst_sel:DWORD dst_unused:UNUSED_PAD src0_sel:WORD_0 src1_sel:DWORD
	v_mul_u32_u24_sdwa v38, v38, v162 dst_sel:DWORD dst_unused:UNUSED_PAD src0_sel:WORD_1 src1_sel:DWORD
	;; [unrolled: 2-line block ×4, first 2 shown]
	v_pk_fma_f16 v49, v35, v64, v49
	v_pk_fma_f16 v50, v35, v37, v50
	;; [unrolled: 1-line block ×8, first 2 shown]
	ds_read2_b32 v[34:35], v36 offset0:128 offset1:160
	ds_read_b128 v[37:40], v142 offset:704
	s_waitcnt lgkmcnt(0)
	v_mul_u32_u24_sdwa v57, v37, v162 dst_sel:DWORD dst_unused:UNUSED_PAD src0_sel:WORD_0 src1_sel:DWORD
	v_mul_u32_u24_sdwa v58, v37, v162 dst_sel:DWORD dst_unused:UNUSED_PAD src0_sel:WORD_1 src1_sel:DWORD
	v_mul_u32_u24_sdwa v59, v38, v162 dst_sel:DWORD dst_unused:UNUSED_PAD src0_sel:WORD_0 src1_sel:DWORD
	v_mul_u32_u24_sdwa v60, v38, v162 dst_sel:DWORD dst_unused:UNUSED_PAD src0_sel:WORD_1 src1_sel:DWORD
	;; [unrolled: 2-line block ×4, first 2 shown]
	ds_read_b128 v[37:40], v142 offset:1728
	v_pk_fma_f16 v41, v34, v57, v41
	v_pk_fma_f16 v42, v34, v58, v42
	;; [unrolled: 1-line block ×8, first 2 shown]
	s_waitcnt lgkmcnt(0)
	v_mul_u32_u24_sdwa v65, v37, v162 dst_sel:DWORD dst_unused:UNUSED_PAD src0_sel:WORD_0 src1_sel:DWORD
	v_mul_u32_u24_sdwa v37, v37, v162 dst_sel:DWORD dst_unused:UNUSED_PAD src0_sel:WORD_1 src1_sel:DWORD
	v_mul_u32_u24_sdwa v66, v38, v162 dst_sel:DWORD dst_unused:UNUSED_PAD src0_sel:WORD_0 src1_sel:DWORD
	v_mul_u32_u24_sdwa v38, v38, v162 dst_sel:DWORD dst_unused:UNUSED_PAD src0_sel:WORD_1 src1_sel:DWORD
	;; [unrolled: 2-line block ×4, first 2 shown]
	v_pk_fma_f16 v49, v34, v65, v49
	v_pk_fma_f16 v50, v34, v37, v50
	v_pk_fma_f16 v51, v34, v66, v51
	v_pk_fma_f16 v52, v34, v38, v52
	v_pk_fma_f16 v53, v34, v67, v53
	v_pk_fma_f16 v55, v34, v39, v55
	v_pk_fma_f16 v54, v34, v68, v54
	v_pk_fma_f16 v34, v34, v40, v56
	ds_read_b128 v[37:40], v142 offset:720
	s_waitcnt lgkmcnt(0)
	v_mul_u32_u24_sdwa v56, v37, v162 dst_sel:DWORD dst_unused:UNUSED_PAD src0_sel:WORD_0 src1_sel:DWORD
	v_mul_u32_u24_sdwa v57, v37, v162 dst_sel:DWORD dst_unused:UNUSED_PAD src0_sel:WORD_1 src1_sel:DWORD
	v_mul_u32_u24_sdwa v58, v38, v162 dst_sel:DWORD dst_unused:UNUSED_PAD src0_sel:WORD_0 src1_sel:DWORD
	v_mul_u32_u24_sdwa v59, v38, v162 dst_sel:DWORD dst_unused:UNUSED_PAD src0_sel:WORD_1 src1_sel:DWORD
	;; [unrolled: 2-line block ×4, first 2 shown]
	ds_read_b128 v[37:40], v142 offset:1744
	v_pk_fma_f16 v41, v35, v56, v41
	v_pk_fma_f16 v42, v35, v57, v42
	v_pk_fma_f16 v43, v35, v58, v43
	v_pk_fma_f16 v44, v35, v59, v44
	v_pk_fma_f16 v45, v35, v60, v45
	v_pk_fma_f16 v46, v35, v61, v46
	v_pk_fma_f16 v47, v35, v62, v47
	v_pk_fma_f16 v48, v35, v63, v48
	s_waitcnt lgkmcnt(0)
	v_mul_u32_u24_sdwa v64, v37, v162 dst_sel:DWORD dst_unused:UNUSED_PAD src0_sel:WORD_0 src1_sel:DWORD
	v_mul_u32_u24_sdwa v37, v37, v162 dst_sel:DWORD dst_unused:UNUSED_PAD src0_sel:WORD_1 src1_sel:DWORD
	v_mul_u32_u24_sdwa v65, v38, v162 dst_sel:DWORD dst_unused:UNUSED_PAD src0_sel:WORD_0 src1_sel:DWORD
	v_mul_u32_u24_sdwa v38, v38, v162 dst_sel:DWORD dst_unused:UNUSED_PAD src0_sel:WORD_1 src1_sel:DWORD
	;; [unrolled: 2-line block ×4, first 2 shown]
	v_pk_fma_f16 v49, v35, v64, v49
	v_pk_fma_f16 v50, v35, v37, v50
	;; [unrolled: 1-line block ×8, first 2 shown]
	ds_read2_b32 v[34:35], v36 offset0:192 offset1:224
	ds_read_b128 v[36:39], v142 offset:736
	s_waitcnt lgkmcnt(0)
	v_mul_u32_u24_sdwa v56, v36, v162 dst_sel:DWORD dst_unused:UNUSED_PAD src0_sel:WORD_0 src1_sel:DWORD
	v_mul_u32_u24_sdwa v57, v36, v162 dst_sel:DWORD dst_unused:UNUSED_PAD src0_sel:WORD_1 src1_sel:DWORD
	v_mul_u32_u24_sdwa v58, v37, v162 dst_sel:DWORD dst_unused:UNUSED_PAD src0_sel:WORD_0 src1_sel:DWORD
	v_mul_u32_u24_sdwa v59, v37, v162 dst_sel:DWORD dst_unused:UNUSED_PAD src0_sel:WORD_1 src1_sel:DWORD
	;; [unrolled: 2-line block ×4, first 2 shown]
	ds_read_b128 v[36:39], v142 offset:1760
	v_pk_fma_f16 v41, v34, v56, v41
	v_pk_fma_f16 v42, v34, v57, v42
	;; [unrolled: 1-line block ×8, first 2 shown]
	s_waitcnt lgkmcnt(0)
	v_mul_u32_u24_sdwa v64, v36, v162 dst_sel:DWORD dst_unused:UNUSED_PAD src0_sel:WORD_0 src1_sel:DWORD
	v_mul_u32_u24_sdwa v36, v36, v162 dst_sel:DWORD dst_unused:UNUSED_PAD src0_sel:WORD_1 src1_sel:DWORD
	v_mul_u32_u24_sdwa v65, v37, v162 dst_sel:DWORD dst_unused:UNUSED_PAD src0_sel:WORD_0 src1_sel:DWORD
	v_mul_u32_u24_sdwa v37, v37, v162 dst_sel:DWORD dst_unused:UNUSED_PAD src0_sel:WORD_1 src1_sel:DWORD
	;; [unrolled: 2-line block ×4, first 2 shown]
	v_pk_fma_f16 v49, v34, v64, v49
	v_pk_fma_f16 v50, v34, v36, v50
	;; [unrolled: 1-line block ×8, first 2 shown]
	ds_read_b128 v[36:39], v142 offset:752
	s_waitcnt lgkmcnt(0)
	v_mul_u32_u24_sdwa v40, v36, v162 dst_sel:DWORD dst_unused:UNUSED_PAD src0_sel:WORD_0 src1_sel:DWORD
	v_mul_u32_u24_sdwa v56, v36, v162 dst_sel:DWORD dst_unused:UNUSED_PAD src0_sel:WORD_1 src1_sel:DWORD
	v_mul_u32_u24_sdwa v57, v37, v162 dst_sel:DWORD dst_unused:UNUSED_PAD src0_sel:WORD_0 src1_sel:DWORD
	v_mul_u32_u24_sdwa v58, v37, v162 dst_sel:DWORD dst_unused:UNUSED_PAD src0_sel:WORD_1 src1_sel:DWORD
	;; [unrolled: 2-line block ×4, first 2 shown]
	ds_read_b128 v[36:39], v142 offset:1776
	v_pk_fma_f16 v41, v35, v40, v41
	v_pk_fma_f16 v42, v35, v56, v42
	;; [unrolled: 1-line block ×8, first 2 shown]
	s_waitcnt lgkmcnt(0)
	v_mul_u32_u24_sdwa v63, v36, v162 dst_sel:DWORD dst_unused:UNUSED_PAD src0_sel:WORD_0 src1_sel:DWORD
	v_mul_u32_u24_sdwa v36, v36, v162 dst_sel:DWORD dst_unused:UNUSED_PAD src0_sel:WORD_1 src1_sel:DWORD
	v_mul_u32_u24_sdwa v64, v37, v162 dst_sel:DWORD dst_unused:UNUSED_PAD src0_sel:WORD_0 src1_sel:DWORD
	v_mul_u32_u24_sdwa v37, v37, v162 dst_sel:DWORD dst_unused:UNUSED_PAD src0_sel:WORD_1 src1_sel:DWORD
	v_mul_u32_u24_sdwa v65, v38, v162 dst_sel:DWORD dst_unused:UNUSED_PAD src0_sel:WORD_0 src1_sel:DWORD
	v_mul_u32_u24_sdwa v38, v38, v162 dst_sel:DWORD dst_unused:UNUSED_PAD src0_sel:WORD_1 src1_sel:DWORD
	v_mul_u32_u24_sdwa v66, v39, v162 dst_sel:DWORD dst_unused:UNUSED_PAD src0_sel:WORD_0 src1_sel:DWORD
	v_mul_u32_u24_sdwa v39, v39, v162 dst_sel:DWORD dst_unused:UNUSED_PAD src0_sel:WORD_1 src1_sel:DWORD
	v_pk_fma_f16 v50, v35, v36, v50
	v_add_nc_u32_e32 v36, 0x1800, v140
	v_pk_fma_f16 v49, v35, v63, v49
	v_pk_fma_f16 v51, v35, v64, v51
	;; [unrolled: 1-line block ×7, first 2 shown]
	ds_read2_b32 v[34:35], v36 offset1:32
	ds_read_b128 v[37:40], v142 offset:768
	s_waitcnt lgkmcnt(0)
	v_mul_u32_u24_sdwa v57, v37, v162 dst_sel:DWORD dst_unused:UNUSED_PAD src0_sel:WORD_0 src1_sel:DWORD
	v_mul_u32_u24_sdwa v58, v37, v162 dst_sel:DWORD dst_unused:UNUSED_PAD src0_sel:WORD_1 src1_sel:DWORD
	v_mul_u32_u24_sdwa v59, v38, v162 dst_sel:DWORD dst_unused:UNUSED_PAD src0_sel:WORD_0 src1_sel:DWORD
	v_mul_u32_u24_sdwa v60, v38, v162 dst_sel:DWORD dst_unused:UNUSED_PAD src0_sel:WORD_1 src1_sel:DWORD
	;; [unrolled: 2-line block ×4, first 2 shown]
	ds_read_b128 v[37:40], v142 offset:1792
	v_pk_fma_f16 v41, v34, v57, v41
	v_pk_fma_f16 v42, v34, v58, v42
	;; [unrolled: 1-line block ×8, first 2 shown]
	s_waitcnt lgkmcnt(0)
	v_mul_u32_u24_sdwa v65, v37, v162 dst_sel:DWORD dst_unused:UNUSED_PAD src0_sel:WORD_0 src1_sel:DWORD
	v_mul_u32_u24_sdwa v37, v37, v162 dst_sel:DWORD dst_unused:UNUSED_PAD src0_sel:WORD_1 src1_sel:DWORD
	v_mul_u32_u24_sdwa v66, v38, v162 dst_sel:DWORD dst_unused:UNUSED_PAD src0_sel:WORD_0 src1_sel:DWORD
	v_mul_u32_u24_sdwa v38, v38, v162 dst_sel:DWORD dst_unused:UNUSED_PAD src0_sel:WORD_1 src1_sel:DWORD
	;; [unrolled: 2-line block ×4, first 2 shown]
	v_pk_fma_f16 v49, v34, v65, v49
	v_pk_fma_f16 v50, v34, v37, v50
	;; [unrolled: 1-line block ×8, first 2 shown]
	ds_read_b128 v[37:40], v142 offset:784
	s_waitcnt lgkmcnt(0)
	v_mul_u32_u24_sdwa v56, v37, v162 dst_sel:DWORD dst_unused:UNUSED_PAD src0_sel:WORD_0 src1_sel:DWORD
	v_mul_u32_u24_sdwa v57, v37, v162 dst_sel:DWORD dst_unused:UNUSED_PAD src0_sel:WORD_1 src1_sel:DWORD
	v_mul_u32_u24_sdwa v58, v38, v162 dst_sel:DWORD dst_unused:UNUSED_PAD src0_sel:WORD_0 src1_sel:DWORD
	v_mul_u32_u24_sdwa v59, v38, v162 dst_sel:DWORD dst_unused:UNUSED_PAD src0_sel:WORD_1 src1_sel:DWORD
	;; [unrolled: 2-line block ×4, first 2 shown]
	ds_read_b128 v[37:40], v142 offset:1808
	v_pk_fma_f16 v41, v35, v56, v41
	v_pk_fma_f16 v42, v35, v57, v42
	v_pk_fma_f16 v43, v35, v58, v43
	v_pk_fma_f16 v44, v35, v59, v44
	v_pk_fma_f16 v45, v35, v60, v45
	v_pk_fma_f16 v46, v35, v61, v46
	v_pk_fma_f16 v47, v35, v62, v47
	v_pk_fma_f16 v48, v35, v63, v48
	s_waitcnt lgkmcnt(0)
	v_mul_u32_u24_sdwa v64, v37, v162 dst_sel:DWORD dst_unused:UNUSED_PAD src0_sel:WORD_0 src1_sel:DWORD
	v_mul_u32_u24_sdwa v37, v37, v162 dst_sel:DWORD dst_unused:UNUSED_PAD src0_sel:WORD_1 src1_sel:DWORD
	v_mul_u32_u24_sdwa v65, v38, v162 dst_sel:DWORD dst_unused:UNUSED_PAD src0_sel:WORD_0 src1_sel:DWORD
	v_mul_u32_u24_sdwa v38, v38, v162 dst_sel:DWORD dst_unused:UNUSED_PAD src0_sel:WORD_1 src1_sel:DWORD
	;; [unrolled: 2-line block ×4, first 2 shown]
	v_pk_fma_f16 v49, v35, v64, v49
	v_pk_fma_f16 v50, v35, v37, v50
	;; [unrolled: 1-line block ×8, first 2 shown]
	ds_read2_b32 v[34:35], v36 offset0:64 offset1:96
	ds_read_b128 v[37:40], v142 offset:800
	s_waitcnt lgkmcnt(0)
	v_mul_u32_u24_sdwa v57, v37, v162 dst_sel:DWORD dst_unused:UNUSED_PAD src0_sel:WORD_0 src1_sel:DWORD
	v_mul_u32_u24_sdwa v58, v37, v162 dst_sel:DWORD dst_unused:UNUSED_PAD src0_sel:WORD_1 src1_sel:DWORD
	v_mul_u32_u24_sdwa v59, v38, v162 dst_sel:DWORD dst_unused:UNUSED_PAD src0_sel:WORD_0 src1_sel:DWORD
	v_mul_u32_u24_sdwa v60, v38, v162 dst_sel:DWORD dst_unused:UNUSED_PAD src0_sel:WORD_1 src1_sel:DWORD
	;; [unrolled: 2-line block ×4, first 2 shown]
	ds_read_b128 v[37:40], v142 offset:1824
	v_pk_fma_f16 v41, v34, v57, v41
	v_pk_fma_f16 v42, v34, v58, v42
	;; [unrolled: 1-line block ×8, first 2 shown]
	s_waitcnt lgkmcnt(0)
	v_mul_u32_u24_sdwa v65, v37, v162 dst_sel:DWORD dst_unused:UNUSED_PAD src0_sel:WORD_0 src1_sel:DWORD
	v_mul_u32_u24_sdwa v37, v37, v162 dst_sel:DWORD dst_unused:UNUSED_PAD src0_sel:WORD_1 src1_sel:DWORD
	v_mul_u32_u24_sdwa v66, v38, v162 dst_sel:DWORD dst_unused:UNUSED_PAD src0_sel:WORD_0 src1_sel:DWORD
	v_mul_u32_u24_sdwa v38, v38, v162 dst_sel:DWORD dst_unused:UNUSED_PAD src0_sel:WORD_1 src1_sel:DWORD
	;; [unrolled: 2-line block ×4, first 2 shown]
	v_pk_fma_f16 v49, v34, v65, v49
	v_pk_fma_f16 v50, v34, v37, v50
	;; [unrolled: 1-line block ×8, first 2 shown]
	ds_read_b128 v[37:40], v142 offset:816
	s_waitcnt lgkmcnt(0)
	v_mul_u32_u24_sdwa v56, v37, v162 dst_sel:DWORD dst_unused:UNUSED_PAD src0_sel:WORD_0 src1_sel:DWORD
	v_mul_u32_u24_sdwa v57, v37, v162 dst_sel:DWORD dst_unused:UNUSED_PAD src0_sel:WORD_1 src1_sel:DWORD
	v_mul_u32_u24_sdwa v58, v38, v162 dst_sel:DWORD dst_unused:UNUSED_PAD src0_sel:WORD_0 src1_sel:DWORD
	v_mul_u32_u24_sdwa v59, v38, v162 dst_sel:DWORD dst_unused:UNUSED_PAD src0_sel:WORD_1 src1_sel:DWORD
	;; [unrolled: 2-line block ×4, first 2 shown]
	ds_read_b128 v[37:40], v142 offset:1840
	v_pk_fma_f16 v41, v35, v56, v41
	v_pk_fma_f16 v42, v35, v57, v42
	;; [unrolled: 1-line block ×8, first 2 shown]
	s_waitcnt lgkmcnt(0)
	v_mul_u32_u24_sdwa v64, v37, v162 dst_sel:DWORD dst_unused:UNUSED_PAD src0_sel:WORD_0 src1_sel:DWORD
	v_mul_u32_u24_sdwa v37, v37, v162 dst_sel:DWORD dst_unused:UNUSED_PAD src0_sel:WORD_1 src1_sel:DWORD
	v_mul_u32_u24_sdwa v65, v38, v162 dst_sel:DWORD dst_unused:UNUSED_PAD src0_sel:WORD_0 src1_sel:DWORD
	v_mul_u32_u24_sdwa v38, v38, v162 dst_sel:DWORD dst_unused:UNUSED_PAD src0_sel:WORD_1 src1_sel:DWORD
	;; [unrolled: 2-line block ×4, first 2 shown]
	v_pk_fma_f16 v49, v35, v64, v49
	v_pk_fma_f16 v50, v35, v37, v50
	;; [unrolled: 1-line block ×8, first 2 shown]
	ds_read2_b32 v[34:35], v36 offset0:128 offset1:160
	ds_read_b128 v[37:40], v142 offset:832
	s_waitcnt lgkmcnt(0)
	v_mul_u32_u24_sdwa v57, v37, v162 dst_sel:DWORD dst_unused:UNUSED_PAD src0_sel:WORD_0 src1_sel:DWORD
	v_mul_u32_u24_sdwa v58, v37, v162 dst_sel:DWORD dst_unused:UNUSED_PAD src0_sel:WORD_1 src1_sel:DWORD
	v_mul_u32_u24_sdwa v59, v38, v162 dst_sel:DWORD dst_unused:UNUSED_PAD src0_sel:WORD_0 src1_sel:DWORD
	v_mul_u32_u24_sdwa v60, v38, v162 dst_sel:DWORD dst_unused:UNUSED_PAD src0_sel:WORD_1 src1_sel:DWORD
	;; [unrolled: 2-line block ×4, first 2 shown]
	ds_read_b128 v[37:40], v142 offset:1856
	v_pk_fma_f16 v41, v34, v57, v41
	v_pk_fma_f16 v42, v34, v58, v42
	;; [unrolled: 1-line block ×8, first 2 shown]
	s_waitcnt lgkmcnt(0)
	v_mul_u32_u24_sdwa v65, v37, v162 dst_sel:DWORD dst_unused:UNUSED_PAD src0_sel:WORD_0 src1_sel:DWORD
	v_mul_u32_u24_sdwa v37, v37, v162 dst_sel:DWORD dst_unused:UNUSED_PAD src0_sel:WORD_1 src1_sel:DWORD
	v_mul_u32_u24_sdwa v66, v38, v162 dst_sel:DWORD dst_unused:UNUSED_PAD src0_sel:WORD_0 src1_sel:DWORD
	v_mul_u32_u24_sdwa v38, v38, v162 dst_sel:DWORD dst_unused:UNUSED_PAD src0_sel:WORD_1 src1_sel:DWORD
	;; [unrolled: 2-line block ×4, first 2 shown]
	v_pk_fma_f16 v49, v34, v65, v49
	v_pk_fma_f16 v50, v34, v37, v50
	;; [unrolled: 1-line block ×8, first 2 shown]
	ds_read_b128 v[37:40], v142 offset:848
	s_waitcnt lgkmcnt(0)
	v_mul_u32_u24_sdwa v56, v37, v162 dst_sel:DWORD dst_unused:UNUSED_PAD src0_sel:WORD_0 src1_sel:DWORD
	v_mul_u32_u24_sdwa v57, v37, v162 dst_sel:DWORD dst_unused:UNUSED_PAD src0_sel:WORD_1 src1_sel:DWORD
	v_mul_u32_u24_sdwa v58, v38, v162 dst_sel:DWORD dst_unused:UNUSED_PAD src0_sel:WORD_0 src1_sel:DWORD
	v_mul_u32_u24_sdwa v59, v38, v162 dst_sel:DWORD dst_unused:UNUSED_PAD src0_sel:WORD_1 src1_sel:DWORD
	;; [unrolled: 2-line block ×4, first 2 shown]
	ds_read_b128 v[37:40], v142 offset:1872
	v_pk_fma_f16 v41, v35, v56, v41
	v_pk_fma_f16 v42, v35, v57, v42
	;; [unrolled: 1-line block ×8, first 2 shown]
	s_waitcnt lgkmcnt(0)
	v_mul_u32_u24_sdwa v64, v37, v162 dst_sel:DWORD dst_unused:UNUSED_PAD src0_sel:WORD_0 src1_sel:DWORD
	v_mul_u32_u24_sdwa v37, v37, v162 dst_sel:DWORD dst_unused:UNUSED_PAD src0_sel:WORD_1 src1_sel:DWORD
	v_mul_u32_u24_sdwa v65, v38, v162 dst_sel:DWORD dst_unused:UNUSED_PAD src0_sel:WORD_0 src1_sel:DWORD
	v_mul_u32_u24_sdwa v38, v38, v162 dst_sel:DWORD dst_unused:UNUSED_PAD src0_sel:WORD_1 src1_sel:DWORD
	v_mul_u32_u24_sdwa v66, v39, v162 dst_sel:DWORD dst_unused:UNUSED_PAD src0_sel:WORD_0 src1_sel:DWORD
	v_mul_u32_u24_sdwa v39, v39, v162 dst_sel:DWORD dst_unused:UNUSED_PAD src0_sel:WORD_1 src1_sel:DWORD
	v_mul_u32_u24_sdwa v67, v40, v162 dst_sel:DWORD dst_unused:UNUSED_PAD src0_sel:WORD_0 src1_sel:DWORD
	v_mul_u32_u24_sdwa v40, v40, v162 dst_sel:DWORD dst_unused:UNUSED_PAD src0_sel:WORD_1 src1_sel:DWORD
	v_pk_fma_f16 v49, v35, v64, v49
	v_pk_fma_f16 v50, v35, v37, v50
	;; [unrolled: 1-line block ×8, first 2 shown]
	ds_read2_b32 v[34:35], v36 offset0:192 offset1:224
	ds_read_b128 v[36:39], v142 offset:864
	s_waitcnt lgkmcnt(0)
	v_mul_u32_u24_sdwa v56, v36, v162 dst_sel:DWORD dst_unused:UNUSED_PAD src0_sel:WORD_0 src1_sel:DWORD
	v_mul_u32_u24_sdwa v57, v36, v162 dst_sel:DWORD dst_unused:UNUSED_PAD src0_sel:WORD_1 src1_sel:DWORD
	v_mul_u32_u24_sdwa v58, v37, v162 dst_sel:DWORD dst_unused:UNUSED_PAD src0_sel:WORD_0 src1_sel:DWORD
	v_mul_u32_u24_sdwa v59, v37, v162 dst_sel:DWORD dst_unused:UNUSED_PAD src0_sel:WORD_1 src1_sel:DWORD
	;; [unrolled: 2-line block ×4, first 2 shown]
	ds_read_b128 v[36:39], v142 offset:1888
	v_pk_fma_f16 v41, v34, v56, v41
	v_pk_fma_f16 v42, v34, v57, v42
	v_pk_fma_f16 v43, v34, v58, v43
	v_pk_fma_f16 v44, v34, v59, v44
	v_pk_fma_f16 v45, v34, v60, v45
	v_pk_fma_f16 v46, v34, v61, v46
	v_pk_fma_f16 v47, v34, v62, v47
	v_pk_fma_f16 v48, v34, v63, v48
	s_waitcnt lgkmcnt(0)
	v_mul_u32_u24_sdwa v64, v36, v162 dst_sel:DWORD dst_unused:UNUSED_PAD src0_sel:WORD_0 src1_sel:DWORD
	v_mul_u32_u24_sdwa v36, v36, v162 dst_sel:DWORD dst_unused:UNUSED_PAD src0_sel:WORD_1 src1_sel:DWORD
	v_mul_u32_u24_sdwa v65, v37, v162 dst_sel:DWORD dst_unused:UNUSED_PAD src0_sel:WORD_0 src1_sel:DWORD
	v_mul_u32_u24_sdwa v37, v37, v162 dst_sel:DWORD dst_unused:UNUSED_PAD src0_sel:WORD_1 src1_sel:DWORD
	;; [unrolled: 2-line block ×4, first 2 shown]
	v_pk_fma_f16 v49, v34, v64, v49
	v_pk_fma_f16 v50, v34, v36, v50
	;; [unrolled: 1-line block ×8, first 2 shown]
	ds_read_b128 v[36:39], v142 offset:880
	s_waitcnt lgkmcnt(0)
	v_mul_u32_u24_sdwa v40, v36, v162 dst_sel:DWORD dst_unused:UNUSED_PAD src0_sel:WORD_0 src1_sel:DWORD
	v_mul_u32_u24_sdwa v56, v36, v162 dst_sel:DWORD dst_unused:UNUSED_PAD src0_sel:WORD_1 src1_sel:DWORD
	v_mul_u32_u24_sdwa v57, v37, v162 dst_sel:DWORD dst_unused:UNUSED_PAD src0_sel:WORD_0 src1_sel:DWORD
	v_mul_u32_u24_sdwa v58, v37, v162 dst_sel:DWORD dst_unused:UNUSED_PAD src0_sel:WORD_1 src1_sel:DWORD
	;; [unrolled: 2-line block ×4, first 2 shown]
	ds_read_b128 v[36:39], v142 offset:1904
	v_pk_fma_f16 v41, v35, v40, v41
	v_pk_fma_f16 v42, v35, v56, v42
	v_pk_fma_f16 v43, v35, v57, v43
	v_pk_fma_f16 v44, v35, v58, v44
	v_pk_fma_f16 v45, v35, v59, v45
	v_pk_fma_f16 v46, v35, v60, v46
	v_pk_fma_f16 v47, v35, v61, v47
	v_pk_fma_f16 v48, v35, v62, v48
	s_waitcnt lgkmcnt(0)
	v_mul_u32_u24_sdwa v63, v36, v162 dst_sel:DWORD dst_unused:UNUSED_PAD src0_sel:WORD_0 src1_sel:DWORD
	v_mul_u32_u24_sdwa v36, v36, v162 dst_sel:DWORD dst_unused:UNUSED_PAD src0_sel:WORD_1 src1_sel:DWORD
	v_mul_u32_u24_sdwa v64, v37, v162 dst_sel:DWORD dst_unused:UNUSED_PAD src0_sel:WORD_0 src1_sel:DWORD
	v_mul_u32_u24_sdwa v37, v37, v162 dst_sel:DWORD dst_unused:UNUSED_PAD src0_sel:WORD_1 src1_sel:DWORD
	;; [unrolled: 2-line block ×4, first 2 shown]
	v_pk_fma_f16 v50, v35, v36, v50
	v_add_nc_u32_e32 v36, 0x1c00, v140
	v_pk_fma_f16 v49, v35, v63, v49
	v_pk_fma_f16 v51, v35, v64, v51
	;; [unrolled: 1-line block ×7, first 2 shown]
	ds_read2_b32 v[34:35], v36 offset1:32
	ds_read_b128 v[37:40], v142 offset:896
	s_waitcnt lgkmcnt(0)
	v_mul_u32_u24_sdwa v57, v37, v162 dst_sel:DWORD dst_unused:UNUSED_PAD src0_sel:WORD_0 src1_sel:DWORD
	v_mul_u32_u24_sdwa v58, v37, v162 dst_sel:DWORD dst_unused:UNUSED_PAD src0_sel:WORD_1 src1_sel:DWORD
	v_mul_u32_u24_sdwa v59, v38, v162 dst_sel:DWORD dst_unused:UNUSED_PAD src0_sel:WORD_0 src1_sel:DWORD
	v_mul_u32_u24_sdwa v60, v38, v162 dst_sel:DWORD dst_unused:UNUSED_PAD src0_sel:WORD_1 src1_sel:DWORD
	;; [unrolled: 2-line block ×4, first 2 shown]
	ds_read_b128 v[37:40], v142 offset:1920
	v_pk_fma_f16 v41, v34, v57, v41
	v_pk_fma_f16 v42, v34, v58, v42
	;; [unrolled: 1-line block ×8, first 2 shown]
	s_waitcnt lgkmcnt(0)
	v_mul_u32_u24_sdwa v65, v37, v162 dst_sel:DWORD dst_unused:UNUSED_PAD src0_sel:WORD_0 src1_sel:DWORD
	v_mul_u32_u24_sdwa v37, v37, v162 dst_sel:DWORD dst_unused:UNUSED_PAD src0_sel:WORD_1 src1_sel:DWORD
	v_mul_u32_u24_sdwa v66, v38, v162 dst_sel:DWORD dst_unused:UNUSED_PAD src0_sel:WORD_0 src1_sel:DWORD
	v_mul_u32_u24_sdwa v38, v38, v162 dst_sel:DWORD dst_unused:UNUSED_PAD src0_sel:WORD_1 src1_sel:DWORD
	;; [unrolled: 2-line block ×4, first 2 shown]
	v_pk_fma_f16 v49, v34, v65, v49
	v_pk_fma_f16 v50, v34, v37, v50
	;; [unrolled: 1-line block ×8, first 2 shown]
	ds_read_b128 v[37:40], v142 offset:912
	s_waitcnt lgkmcnt(0)
	v_mul_u32_u24_sdwa v56, v37, v162 dst_sel:DWORD dst_unused:UNUSED_PAD src0_sel:WORD_0 src1_sel:DWORD
	v_mul_u32_u24_sdwa v57, v37, v162 dst_sel:DWORD dst_unused:UNUSED_PAD src0_sel:WORD_1 src1_sel:DWORD
	v_mul_u32_u24_sdwa v58, v38, v162 dst_sel:DWORD dst_unused:UNUSED_PAD src0_sel:WORD_0 src1_sel:DWORD
	v_mul_u32_u24_sdwa v59, v38, v162 dst_sel:DWORD dst_unused:UNUSED_PAD src0_sel:WORD_1 src1_sel:DWORD
	;; [unrolled: 2-line block ×4, first 2 shown]
	ds_read_b128 v[37:40], v142 offset:1936
	v_pk_fma_f16 v41, v35, v56, v41
	v_pk_fma_f16 v42, v35, v57, v42
	;; [unrolled: 1-line block ×8, first 2 shown]
	s_waitcnt lgkmcnt(0)
	v_mul_u32_u24_sdwa v64, v37, v162 dst_sel:DWORD dst_unused:UNUSED_PAD src0_sel:WORD_0 src1_sel:DWORD
	v_mul_u32_u24_sdwa v37, v37, v162 dst_sel:DWORD dst_unused:UNUSED_PAD src0_sel:WORD_1 src1_sel:DWORD
	v_mul_u32_u24_sdwa v65, v38, v162 dst_sel:DWORD dst_unused:UNUSED_PAD src0_sel:WORD_0 src1_sel:DWORD
	v_mul_u32_u24_sdwa v38, v38, v162 dst_sel:DWORD dst_unused:UNUSED_PAD src0_sel:WORD_1 src1_sel:DWORD
	;; [unrolled: 2-line block ×4, first 2 shown]
	v_pk_fma_f16 v49, v35, v64, v49
	v_pk_fma_f16 v50, v35, v37, v50
	;; [unrolled: 1-line block ×8, first 2 shown]
	ds_read2_b32 v[34:35], v36 offset0:64 offset1:96
	ds_read_b128 v[37:40], v142 offset:928
	s_waitcnt lgkmcnt(0)
	v_mul_u32_u24_sdwa v57, v37, v162 dst_sel:DWORD dst_unused:UNUSED_PAD src0_sel:WORD_0 src1_sel:DWORD
	v_mul_u32_u24_sdwa v58, v37, v162 dst_sel:DWORD dst_unused:UNUSED_PAD src0_sel:WORD_1 src1_sel:DWORD
	v_mul_u32_u24_sdwa v59, v38, v162 dst_sel:DWORD dst_unused:UNUSED_PAD src0_sel:WORD_0 src1_sel:DWORD
	v_mul_u32_u24_sdwa v60, v38, v162 dst_sel:DWORD dst_unused:UNUSED_PAD src0_sel:WORD_1 src1_sel:DWORD
	;; [unrolled: 2-line block ×4, first 2 shown]
	ds_read_b128 v[37:40], v142 offset:1952
	v_pk_fma_f16 v41, v34, v57, v41
	v_pk_fma_f16 v42, v34, v58, v42
	v_pk_fma_f16 v43, v34, v59, v43
	v_pk_fma_f16 v44, v34, v60, v44
	v_pk_fma_f16 v45, v34, v61, v45
	v_pk_fma_f16 v46, v34, v62, v46
	v_pk_fma_f16 v47, v34, v63, v47
	v_pk_fma_f16 v48, v34, v64, v48
	s_waitcnt lgkmcnt(0)
	v_mul_u32_u24_sdwa v65, v37, v162 dst_sel:DWORD dst_unused:UNUSED_PAD src0_sel:WORD_0 src1_sel:DWORD
	v_mul_u32_u24_sdwa v37, v37, v162 dst_sel:DWORD dst_unused:UNUSED_PAD src0_sel:WORD_1 src1_sel:DWORD
	v_mul_u32_u24_sdwa v66, v38, v162 dst_sel:DWORD dst_unused:UNUSED_PAD src0_sel:WORD_0 src1_sel:DWORD
	v_mul_u32_u24_sdwa v38, v38, v162 dst_sel:DWORD dst_unused:UNUSED_PAD src0_sel:WORD_1 src1_sel:DWORD
	;; [unrolled: 2-line block ×4, first 2 shown]
	v_pk_fma_f16 v49, v34, v65, v49
	v_pk_fma_f16 v50, v34, v37, v50
	;; [unrolled: 1-line block ×8, first 2 shown]
	ds_read_b128 v[37:40], v142 offset:944
	s_waitcnt lgkmcnt(0)
	v_mul_u32_u24_sdwa v56, v37, v162 dst_sel:DWORD dst_unused:UNUSED_PAD src0_sel:WORD_0 src1_sel:DWORD
	v_mul_u32_u24_sdwa v57, v37, v162 dst_sel:DWORD dst_unused:UNUSED_PAD src0_sel:WORD_1 src1_sel:DWORD
	v_mul_u32_u24_sdwa v58, v38, v162 dst_sel:DWORD dst_unused:UNUSED_PAD src0_sel:WORD_0 src1_sel:DWORD
	v_mul_u32_u24_sdwa v59, v38, v162 dst_sel:DWORD dst_unused:UNUSED_PAD src0_sel:WORD_1 src1_sel:DWORD
	;; [unrolled: 2-line block ×4, first 2 shown]
	ds_read_b128 v[37:40], v142 offset:1968
	v_pk_fma_f16 v41, v35, v56, v41
	v_pk_fma_f16 v42, v35, v57, v42
	;; [unrolled: 1-line block ×8, first 2 shown]
	s_waitcnt lgkmcnt(0)
	v_mul_u32_u24_sdwa v64, v37, v162 dst_sel:DWORD dst_unused:UNUSED_PAD src0_sel:WORD_0 src1_sel:DWORD
	v_mul_u32_u24_sdwa v37, v37, v162 dst_sel:DWORD dst_unused:UNUSED_PAD src0_sel:WORD_1 src1_sel:DWORD
	v_mul_u32_u24_sdwa v65, v38, v162 dst_sel:DWORD dst_unused:UNUSED_PAD src0_sel:WORD_0 src1_sel:DWORD
	v_mul_u32_u24_sdwa v38, v38, v162 dst_sel:DWORD dst_unused:UNUSED_PAD src0_sel:WORD_1 src1_sel:DWORD
	;; [unrolled: 2-line block ×4, first 2 shown]
	v_pk_fma_f16 v49, v35, v64, v49
	v_pk_fma_f16 v50, v35, v37, v50
	;; [unrolled: 1-line block ×8, first 2 shown]
	ds_read2_b32 v[34:35], v36 offset0:128 offset1:160
	ds_read_b128 v[37:40], v142 offset:960
	s_waitcnt lgkmcnt(0)
	v_mul_u32_u24_sdwa v57, v37, v162 dst_sel:DWORD dst_unused:UNUSED_PAD src0_sel:WORD_0 src1_sel:DWORD
	v_mul_u32_u24_sdwa v58, v37, v162 dst_sel:DWORD dst_unused:UNUSED_PAD src0_sel:WORD_1 src1_sel:DWORD
	v_mul_u32_u24_sdwa v59, v38, v162 dst_sel:DWORD dst_unused:UNUSED_PAD src0_sel:WORD_0 src1_sel:DWORD
	v_mul_u32_u24_sdwa v60, v38, v162 dst_sel:DWORD dst_unused:UNUSED_PAD src0_sel:WORD_1 src1_sel:DWORD
	;; [unrolled: 2-line block ×4, first 2 shown]
	ds_read_b128 v[37:40], v142 offset:1984
	v_pk_fma_f16 v41, v34, v57, v41
	v_pk_fma_f16 v42, v34, v58, v42
	;; [unrolled: 1-line block ×8, first 2 shown]
	s_waitcnt lgkmcnt(0)
	v_mul_u32_u24_sdwa v65, v37, v162 dst_sel:DWORD dst_unused:UNUSED_PAD src0_sel:WORD_0 src1_sel:DWORD
	v_mul_u32_u24_sdwa v37, v37, v162 dst_sel:DWORD dst_unused:UNUSED_PAD src0_sel:WORD_1 src1_sel:DWORD
	v_mul_u32_u24_sdwa v66, v38, v162 dst_sel:DWORD dst_unused:UNUSED_PAD src0_sel:WORD_0 src1_sel:DWORD
	v_mul_u32_u24_sdwa v38, v38, v162 dst_sel:DWORD dst_unused:UNUSED_PAD src0_sel:WORD_1 src1_sel:DWORD
	;; [unrolled: 2-line block ×4, first 2 shown]
	v_pk_fma_f16 v49, v34, v65, v49
	v_pk_fma_f16 v50, v34, v37, v50
	;; [unrolled: 1-line block ×8, first 2 shown]
	ds_read_b128 v[37:40], v142 offset:976
	s_waitcnt lgkmcnt(0)
	v_mul_u32_u24_sdwa v56, v37, v162 dst_sel:DWORD dst_unused:UNUSED_PAD src0_sel:WORD_0 src1_sel:DWORD
	v_mul_u32_u24_sdwa v57, v37, v162 dst_sel:DWORD dst_unused:UNUSED_PAD src0_sel:WORD_1 src1_sel:DWORD
	v_mul_u32_u24_sdwa v58, v38, v162 dst_sel:DWORD dst_unused:UNUSED_PAD src0_sel:WORD_0 src1_sel:DWORD
	v_mul_u32_u24_sdwa v59, v38, v162 dst_sel:DWORD dst_unused:UNUSED_PAD src0_sel:WORD_1 src1_sel:DWORD
	;; [unrolled: 2-line block ×4, first 2 shown]
	ds_read_b128 v[37:40], v142 offset:2000
	v_pk_fma_f16 v41, v35, v56, v41
	v_pk_fma_f16 v42, v35, v57, v42
	;; [unrolled: 1-line block ×8, first 2 shown]
	s_waitcnt lgkmcnt(0)
	v_mul_u32_u24_sdwa v64, v37, v162 dst_sel:DWORD dst_unused:UNUSED_PAD src0_sel:WORD_0 src1_sel:DWORD
	v_mul_u32_u24_sdwa v37, v37, v162 dst_sel:DWORD dst_unused:UNUSED_PAD src0_sel:WORD_1 src1_sel:DWORD
	v_mul_u32_u24_sdwa v65, v38, v162 dst_sel:DWORD dst_unused:UNUSED_PAD src0_sel:WORD_0 src1_sel:DWORD
	v_mul_u32_u24_sdwa v38, v38, v162 dst_sel:DWORD dst_unused:UNUSED_PAD src0_sel:WORD_1 src1_sel:DWORD
	;; [unrolled: 2-line block ×4, first 2 shown]
	v_pk_fma_f16 v49, v35, v64, v49
	v_pk_fma_f16 v50, v35, v37, v50
	;; [unrolled: 1-line block ×8, first 2 shown]
	ds_read2_b32 v[34:35], v36 offset0:192 offset1:224
	ds_read_b128 v[36:39], v142 offset:992
	s_waitcnt lgkmcnt(0)
	v_mul_u32_u24_sdwa v56, v36, v162 dst_sel:DWORD dst_unused:UNUSED_PAD src0_sel:WORD_0 src1_sel:DWORD
	v_mul_u32_u24_sdwa v57, v36, v162 dst_sel:DWORD dst_unused:UNUSED_PAD src0_sel:WORD_1 src1_sel:DWORD
	v_mul_u32_u24_sdwa v58, v37, v162 dst_sel:DWORD dst_unused:UNUSED_PAD src0_sel:WORD_0 src1_sel:DWORD
	v_mul_u32_u24_sdwa v59, v37, v162 dst_sel:DWORD dst_unused:UNUSED_PAD src0_sel:WORD_1 src1_sel:DWORD
	;; [unrolled: 2-line block ×4, first 2 shown]
	ds_read_b128 v[36:39], v142 offset:2016
	v_pk_fma_f16 v41, v34, v56, v41
	v_pk_fma_f16 v42, v34, v57, v42
	;; [unrolled: 1-line block ×8, first 2 shown]
	s_waitcnt lgkmcnt(0)
	v_mul_u32_u24_sdwa v64, v36, v162 dst_sel:DWORD dst_unused:UNUSED_PAD src0_sel:WORD_0 src1_sel:DWORD
	v_mul_u32_u24_sdwa v36, v36, v162 dst_sel:DWORD dst_unused:UNUSED_PAD src0_sel:WORD_1 src1_sel:DWORD
	v_mul_u32_u24_sdwa v65, v37, v162 dst_sel:DWORD dst_unused:UNUSED_PAD src0_sel:WORD_0 src1_sel:DWORD
	v_mul_u32_u24_sdwa v37, v37, v162 dst_sel:DWORD dst_unused:UNUSED_PAD src0_sel:WORD_1 src1_sel:DWORD
	;; [unrolled: 2-line block ×4, first 2 shown]
	v_pk_fma_f16 v49, v34, v64, v49
	v_pk_fma_f16 v50, v34, v36, v50
	;; [unrolled: 1-line block ×8, first 2 shown]
	ds_read_b128 v[36:39], v142 offset:1008
	s_waitcnt lgkmcnt(0)
	v_mul_u32_u24_sdwa v40, v36, v162 dst_sel:DWORD dst_unused:UNUSED_PAD src0_sel:WORD_0 src1_sel:DWORD
	v_mul_u32_u24_sdwa v56, v36, v162 dst_sel:DWORD dst_unused:UNUSED_PAD src0_sel:WORD_1 src1_sel:DWORD
	v_mul_u32_u24_sdwa v57, v37, v162 dst_sel:DWORD dst_unused:UNUSED_PAD src0_sel:WORD_0 src1_sel:DWORD
	v_mul_u32_u24_sdwa v58, v37, v162 dst_sel:DWORD dst_unused:UNUSED_PAD src0_sel:WORD_1 src1_sel:DWORD
	;; [unrolled: 2-line block ×4, first 2 shown]
	ds_read_b128 v[36:39], v142 offset:2032
	s_waitcnt lgkmcnt(0)
	s_barrier
	buffer_gl0_inv
	s_load_dword s16, s[6:7], 0x4
	v_pk_fma_f16 v178, v35, v40, v41
	v_pk_fma_f16 v177, v35, v56, v42
	;; [unrolled: 1-line block ×8, first 2 shown]
	v_mul_u32_u24_sdwa v63, v36, v162 dst_sel:DWORD dst_unused:UNUSED_PAD src0_sel:WORD_0 src1_sel:DWORD
	v_mul_u32_u24_sdwa v36, v36, v162 dst_sel:DWORD dst_unused:UNUSED_PAD src0_sel:WORD_1 src1_sel:DWORD
	v_mul_u32_u24_sdwa v64, v37, v162 dst_sel:DWORD dst_unused:UNUSED_PAD src0_sel:WORD_0 src1_sel:DWORD
	v_mul_u32_u24_sdwa v37, v37, v162 dst_sel:DWORD dst_unused:UNUSED_PAD src0_sel:WORD_1 src1_sel:DWORD
	;; [unrolled: 2-line block ×4, first 2 shown]
	s_waitcnt lgkmcnt(0)
	s_lshl_b32 s16, s16, 6
	v_pk_fma_f16 v170, v35, v63, v49
	v_pk_fma_f16 v169, v35, v36, v50
	v_pk_fma_f16 v168, v35, v64, v51
	v_pk_fma_f16 v167, v35, v37, v52
	v_pk_fma_f16 v166, v35, v65, v53
	v_pk_fma_f16 v165, v35, v38, v55
	v_pk_fma_f16 v164, v35, v66, v54
	v_pk_fma_f16 v163, v35, v39, v34
	s_add_i32 s12, s16, s12
	s_cmp_lt_i32 s12, s10
	s_cbranch_scc0 .LBB52_78
; %bb.74:                               ;   in Loop: Header=BB52_8 Depth=1
	v_mov_b32_e32 v144, v2
	v_mov_b32_e32 v143, v3
	;; [unrolled: 1-line block ×32, first 2 shown]
	s_branch .LBB52_8
.LBB52_75:
	v_mov_b32_e32 v18, 0
	v_mov_b32_e32 v2, 0xfeffffff
	;; [unrolled: 1-line block ×48, first 2 shown]
	v_lshlrev_b32_e32 v160, 1, v190
	s_cmp_gt_i32 s48, s12
	s_cbranch_scc0 .LBB52_79
.LBB52_76:
                                        ; implicit-def: $vgpr34
                                        ; implicit-def: $vgpr70
                                        ; implicit-def: $vgpr66
                                        ; implicit-def: $vgpr67
                                        ; implicit-def: $vgpr68
                                        ; implicit-def: $vgpr71
                                        ; implicit-def: $vgpr69
	s_branch .LBB52_80
.LBB52_77:
	v_mov_b32_e32 v111, v34
	s_branch .LBB52_240
.LBB52_78:
	s_clause 0x4
	buffer_load_dword v49, off, s[0:3], 0 offset:240
	buffer_load_dword v155, off, s[0:3], 0 offset:220
	;; [unrolled: 1-line block ×5, first 2 shown]
	v_mov_b32_e32 v190, v79
	v_mbcnt_lo_u32_b32 v111, -1, 0
	s_waitcnt vmcnt(4)
	v_lshlrev_b32_e32 v0, 4, v49
	v_or_b32_e32 v138, 13, v0
	v_or_b32_e32 v156, 12, v0
	;; [unrolled: 1-line block ×4, first 2 shown]
	s_clause 0x1
	buffer_load_dword v113, off, s[0:3], 0 offset:236
	buffer_load_dword v0, off, s[0:3], 0 offset:244
	v_lshlrev_b32_e32 v160, 1, v190
	s_cmp_gt_i32 s48, s12
	s_cbranch_scc1 .LBB52_76
.LBB52_79:
	v_mbcnt_lo_u32_b32 v34, -1, 0
	v_mov_b32_e32 v70, 32
	v_xor_b32_e32 v66, 16, v34
	v_xor_b32_e32 v67, 8, v34
	;; [unrolled: 1-line block ×5, first 2 shown]
	s_cbranch_execnz .LBB52_77
.LBB52_80:
	s_waitcnt vmcnt(0)
	v_lshl_add_u32 v180, v49, 2, v0
	v_and_b32_e32 v0, 28, v140
	s_mul_hi_i32 s7, s12, s22
	s_mul_i32 s6, s12, s22
	s_sub_i32 s16, s48, s12
	s_lshl_b64 s[6:7], s[6:7], 2
	v_lshlrev_b32_e32 v107, 2, v0
	v_mul_lo_u32 v0, s22, v180
	s_add_u32 s17, s8, s6
	s_mov_b64 s[10:11], src_private_base
	s_addc_u32 s23, s9, s7
	s_lshl_b32 s10, s22, 4
	v_cmp_gt_i32_e64 s9, s16, v180
	v_mov_b32_e32 v121, 0
	buffer_store_dword v121, off, s[0:3], 0
	buffer_store_dword v121, off, s[0:3], 0 offset:4
	buffer_store_dword v121, off, s[0:3], 0 offset:8
	;; [unrolled: 1-line block ×3, first 2 shown]
	v_ashrrev_i32_e32 v1, 31, v0
	v_add_nc_u32_e32 v38, s10, v0
	v_add_nc_u32_e32 v179, 16, v180
	v_mad_u32_u24 v44, 0x90, v180, v107
	v_add_nc_u32_e32 v162, 32, v180
	v_lshlrev_b64 v[0:1], 2, v[0:1]
	v_ashrrev_i32_e32 v39, 31, v38
	v_cmp_gt_i32_e64 s8, s16, v179
	v_add_nc_u32_e32 v40, s10, v38
	v_cmp_gt_i32_e64 s7, s16, v162
	v_add_nc_u32_e32 v161, 48, v180
	v_add_co_u32 v0, vcc_lo, s17, v0
	v_add_co_ci_u32_e64 v1, null, s23, v1, vcc_lo
	v_ashrrev_i32_e32 v41, 31, v40
	v_add_co_u32 v0, vcc_lo, v0, v107
	v_add_co_ci_u32_e64 v1, null, 0, v1, vcc_lo
	v_add_nc_u32_e32 v42, s10, v40
	v_cndmask_b32_e64 v0, 0, v0, s9
	v_cmp_gt_i32_e64 s6, s16, v161
	v_cndmask_b32_e64 v1, s11, v1, s9
	v_mov_b32_e32 v188, 0
	v_ashrrev_i32_e32 v43, 31, v42
	v_mov_b32_e32 v187, 0
	v_mov_b32_e32 v120, 0
	flat_load_dwordx4 v[34:37], v[0:1]
	v_lshlrev_b64 v[0:1], 2, v[38:39]
	v_mov_b32_e32 v186, 0
	v_mov_b32_e32 v185, 0
	;; [unrolled: 1-line block ×5, first 2 shown]
	v_add_co_u32 v0, vcc_lo, s17, v0
	v_add_co_ci_u32_e64 v1, null, s23, v1, vcc_lo
	v_mov_b32_e32 v181, 0
	v_add_co_u32 v0, vcc_lo, v0, v107
	v_add_co_ci_u32_e64 v1, null, 0, v1, vcc_lo
	v_mov_b32_e32 v118, 0
	v_cndmask_b32_e64 v0, 0, v0, s8
	v_mov_b32_e32 v116, 0
	v_cndmask_b32_e64 v1, s11, v1, s8
	v_mov_b32_e32 v114, 0
	v_mov_b32_e32 v112, 0
	;; [unrolled: 1-line block ×5, first 2 shown]
	s_cmp_lg_u64 s[46:47], 0
	v_cmp_gt_i32_e64 s10, s16, v190
	s_waitcnt vmcnt(0) lgkmcnt(0)
	ds_write_b128 v44, v[34:37]
	buffer_store_dword v121, off, s[0:3], 0
	buffer_store_dword v121, off, s[0:3], 0 offset:4
	buffer_store_dword v121, off, s[0:3], 0 offset:8
	buffer_store_dword v121, off, s[0:3], 0 offset:12
	flat_load_dwordx4 v[34:37], v[0:1]
	v_lshlrev_b64 v[0:1], 2, v[40:41]
	v_add_co_u32 v0, vcc_lo, s17, v0
	v_add_co_ci_u32_e64 v1, null, s23, v1, vcc_lo
	v_add_co_u32 v0, vcc_lo, v0, v107
	v_add_co_ci_u32_e64 v1, null, 0, v1, vcc_lo
	v_cndmask_b32_e64 v0, 0, v0, s7
	v_cndmask_b32_e64 v1, s11, v1, s7
	s_waitcnt vmcnt(0) lgkmcnt(0)
	ds_write_b128 v44, v[34:37] offset:2304
	buffer_store_dword v121, off, s[0:3], 0
	buffer_store_dword v121, off, s[0:3], 0 offset:4
	buffer_store_dword v121, off, s[0:3], 0 offset:8
	;; [unrolled: 1-line block ×3, first 2 shown]
	flat_load_dwordx4 v[34:37], v[0:1]
	v_lshlrev_b64 v[0:1], 2, v[42:43]
	v_add_co_u32 v0, vcc_lo, s17, v0
	v_add_co_ci_u32_e64 v1, null, s23, v1, vcc_lo
	v_add_co_u32 v0, vcc_lo, v0, v107
	v_add_co_ci_u32_e64 v1, null, 0, v1, vcc_lo
	v_cndmask_b32_e64 v0, 0, v0, s6
	v_cndmask_b32_e64 v1, s11, v1, s6
	s_cselect_b32 s11, -1, 0
	s_waitcnt vmcnt(0) lgkmcnt(0)
	ds_write_b128 v44, v[34:37] offset:4608
	buffer_store_dword v121, off, s[0:3], 0
	buffer_store_dword v121, off, s[0:3], 0 offset:4
	buffer_store_dword v121, off, s[0:3], 0 offset:8
	;; [unrolled: 1-line block ×3, first 2 shown]
	flat_load_dwordx4 v[34:37], v[0:1]
	s_waitcnt vmcnt(0) lgkmcnt(0)
	ds_write_b128 v44, v[34:37] offset:6912
	s_waitcnt lgkmcnt(0)
	s_waitcnt_vscnt null, 0x0
	s_barrier
	buffer_gl0_inv
	ds_read_b128 v[102:105], v159
	ds_read_b128 v[34:37], v159 offset:4608
	ds_read_b128 v[98:101], v139 offset:17408
	;; [unrolled: 1-line block ×17, first 2 shown]
	s_waitcnt lgkmcnt(15)
	;;#ASMSTART
	v_dot2_f32_f16 v188, v102, v98, v188
	;;#ASMEND
	;;#ASMSTART
	v_dot2_f32_f16 v188, v103, v99, v188
	;;#ASMEND
	;;#ASMSTART
	v_dot2_f32_f16 v188, v104, v100, v188
	;;#ASMEND
	;;#ASMSTART
	v_dot2_f32_f16 v188, v105, v101, v188
	;;#ASMEND
	s_waitcnt lgkmcnt(14)
	;;#ASMSTART
	v_dot2_f32_f16 v187, v102, v94, v187
	;;#ASMEND
	;;#ASMSTART
	v_dot2_f32_f16 v187, v103, v95, v187
	;;#ASMEND
	;;#ASMSTART
	v_dot2_f32_f16 v187, v104, v96, v187
	;;#ASMEND
	;;#ASMSTART
	v_dot2_f32_f16 v187, v105, v97, v187
	;;#ASMEND
	;; [unrolled: 13-line block ×15, first 2 shown]
	s_waitcnt lgkmcnt(0)
	;;#ASMSTART
	v_dot2_f32_f16 v106, v102, v38, v106
	;;#ASMEND
	;;#ASMSTART
	v_dot2_f32_f16 v106, v103, v39, v106
	;;#ASMEND
	;;#ASMSTART
	v_dot2_f32_f16 v106, v104, v40, v106
	;;#ASMEND
	v_mov_b32_e32 v102, 0
	;;#ASMSTART
	v_dot2_f32_f16 v106, v105, v41, v106
	;;#ASMEND
	;;#ASMSTART
	v_dot2_f32_f16 v102, v34, v98, v102
	;;#ASMEND
	;;#ASMSTART
	v_dot2_f32_f16 v102, v35, v99, v102
	;;#ASMEND
	;;#ASMSTART
	v_dot2_f32_f16 v102, v36, v100, v102
	;;#ASMEND
	v_mov_b32_e32 v98, 0
	;;#ASMSTART
	v_dot2_f32_f16 v102, v37, v101, v102
	;;#ASMEND
	;; [unrolled: 13-line block ×4, first 2 shown]
	;;#ASMSTART
	v_dot2_f32_f16 v90, v34, v86, v90
	;;#ASMEND
	;;#ASMSTART
	v_dot2_f32_f16 v90, v35, v87, v90
	;;#ASMEND
	;; [unrolled: 3-line block ×4, first 2 shown]
	v_mov_b32_e32 v89, 0
	;;#ASMSTART
	v_dot2_f32_f16 v89, v34, v82, v89
	;;#ASMEND
	;;#ASMSTART
	v_dot2_f32_f16 v89, v35, v83, v89
	;;#ASMEND
	;;#ASMSTART
	v_dot2_f32_f16 v89, v36, v84, v89
	;;#ASMEND
	v_mov_b32_e32 v88, 0
	;;#ASMSTART
	v_dot2_f32_f16 v89, v37, v85, v89
	;;#ASMEND
	;;#ASMSTART
	v_dot2_f32_f16 v88, v34, v78, v88
	;;#ASMEND
	;;#ASMSTART
	v_dot2_f32_f16 v88, v35, v79, v88
	;;#ASMEND
	;;#ASMSTART
	v_dot2_f32_f16 v88, v36, v80, v88
	;;#ASMEND
	v_mov_b32_e32 v87, 0
	;;#ASMSTART
	v_dot2_f32_f16 v88, v37, v81, v88
	;;#ASMEND
	;; [unrolled: 13-line block ×11, first 2 shown]
	;;#ASMSTART
	v_dot2_f32_f16 v78, v34, v38, v78
	;;#ASMEND
	;;#ASMSTART
	v_dot2_f32_f16 v78, v35, v39, v78
	;;#ASMEND
	;; [unrolled: 3-line block ×4, first 2 shown]
	ds_read_b128 v[122:125], v159 offset:16
	ds_read_b128 v[34:37], v159 offset:4624
	ds_read_b128 v[126:129], v139 offset:17424
	ds_read_b128 v[130:133], v139 offset:17552
	ds_read_b128 v[134:137], v139 offset:17680
	ds_read_b128 v[143:146], v139 offset:17808
	ds_read_b128 v[147:150], v139 offset:17936
	ds_read_b128 v[151:154], v139 offset:18064
	ds_read_b128 v[74:77], v139 offset:18192
	ds_read_b128 v[70:73], v139 offset:18320
	ds_read_b128 v[66:69], v139 offset:18448
	ds_read_b128 v[62:65], v139 offset:18576
	ds_read_b128 v[58:61], v139 offset:18704
	ds_read_b128 v[54:57], v139 offset:18832
	ds_read_b128 v[50:53], v139 offset:18960
	ds_read_b128 v[46:49], v139 offset:19088
	ds_read_b128 v[42:45], v139 offset:19216
	ds_read_b128 v[38:41], v139 offset:19344
	s_waitcnt lgkmcnt(15)
	;;#ASMSTART
	v_dot2_f32_f16 v188, v122, v126, v188
	;;#ASMEND
	;;#ASMSTART
	v_dot2_f32_f16 v188, v123, v127, v188
	;;#ASMEND
	;;#ASMSTART
	v_dot2_f32_f16 v188, v124, v128, v188
	;;#ASMEND
	;;#ASMSTART
	v_dot2_f32_f16 v188, v125, v129, v188
	;;#ASMEND
	s_waitcnt lgkmcnt(14)
	;;#ASMSTART
	v_dot2_f32_f16 v187, v122, v130, v187
	;;#ASMEND
	;;#ASMSTART
	v_dot2_f32_f16 v187, v123, v131, v187
	;;#ASMEND
	;;#ASMSTART
	v_dot2_f32_f16 v187, v124, v132, v187
	;;#ASMEND
	;;#ASMSTART
	v_dot2_f32_f16 v187, v125, v133, v187
	;;#ASMEND
	;; [unrolled: 13-line block ×16, first 2 shown]
	;;#ASMSTART
	v_dot2_f32_f16 v102, v34, v126, v102
	;;#ASMEND
	;;#ASMSTART
	v_dot2_f32_f16 v102, v35, v127, v102
	;;#ASMEND
	;; [unrolled: 3-line block ×64, first 2 shown]
	ds_read_b128 v[122:125], v159 offset:32
	ds_read_b128 v[34:37], v159 offset:4640
	;; [unrolled: 1-line block ×18, first 2 shown]
	s_waitcnt lgkmcnt(15)
	;;#ASMSTART
	v_dot2_f32_f16 v188, v122, v126, v188
	;;#ASMEND
	;;#ASMSTART
	v_dot2_f32_f16 v188, v123, v127, v188
	;;#ASMEND
	;;#ASMSTART
	v_dot2_f32_f16 v188, v124, v128, v188
	;;#ASMEND
	;;#ASMSTART
	v_dot2_f32_f16 v188, v125, v129, v188
	;;#ASMEND
	s_waitcnt lgkmcnt(14)
	;;#ASMSTART
	v_dot2_f32_f16 v187, v122, v130, v187
	;;#ASMEND
	;;#ASMSTART
	v_dot2_f32_f16 v187, v123, v131, v187
	;;#ASMEND
	;;#ASMSTART
	v_dot2_f32_f16 v187, v124, v132, v187
	;;#ASMEND
	;;#ASMSTART
	v_dot2_f32_f16 v187, v125, v133, v187
	;;#ASMEND
	;; [unrolled: 13-line block ×16, first 2 shown]
	;;#ASMSTART
	v_dot2_f32_f16 v102, v34, v126, v102
	;;#ASMEND
	;;#ASMSTART
	v_dot2_f32_f16 v102, v35, v127, v102
	;;#ASMEND
	;;#ASMSTART
	v_dot2_f32_f16 v102, v36, v128, v102
	;;#ASMEND
	;;#ASMSTART
	v_dot2_f32_f16 v102, v37, v129, v102
	;;#ASMEND
	;;#ASMSTART
	v_dot2_f32_f16 v98, v34, v130, v98
	;;#ASMEND
	;;#ASMSTART
	v_dot2_f32_f16 v98, v35, v131, v98
	;;#ASMEND
	;;#ASMSTART
	v_dot2_f32_f16 v98, v36, v132, v98
	;;#ASMEND
	;;#ASMSTART
	v_dot2_f32_f16 v98, v37, v133, v98
	;;#ASMEND
	;;#ASMSTART
	v_dot2_f32_f16 v94, v34, v134, v94
	;;#ASMEND
	;;#ASMSTART
	v_dot2_f32_f16 v94, v35, v135, v94
	;;#ASMEND
	;;#ASMSTART
	v_dot2_f32_f16 v94, v36, v136, v94
	;;#ASMEND
	;;#ASMSTART
	v_dot2_f32_f16 v94, v37, v137, v94
	;;#ASMEND
	;;#ASMSTART
	v_dot2_f32_f16 v90, v34, v143, v90
	;;#ASMEND
	;;#ASMSTART
	v_dot2_f32_f16 v90, v35, v144, v90
	;;#ASMEND
	;;#ASMSTART
	v_dot2_f32_f16 v90, v36, v145, v90
	;;#ASMEND
	;;#ASMSTART
	v_dot2_f32_f16 v90, v37, v146, v90
	;;#ASMEND
	;;#ASMSTART
	v_dot2_f32_f16 v89, v34, v147, v89
	;;#ASMEND
	;;#ASMSTART
	v_dot2_f32_f16 v89, v35, v148, v89
	;;#ASMEND
	;;#ASMSTART
	v_dot2_f32_f16 v89, v36, v149, v89
	;;#ASMEND
	;;#ASMSTART
	v_dot2_f32_f16 v89, v37, v150, v89
	;;#ASMEND
	;;#ASMSTART
	v_dot2_f32_f16 v88, v34, v151, v88
	;;#ASMEND
	;;#ASMSTART
	v_dot2_f32_f16 v88, v35, v152, v88
	;;#ASMEND
	;;#ASMSTART
	v_dot2_f32_f16 v88, v36, v153, v88
	;;#ASMEND
	;;#ASMSTART
	v_dot2_f32_f16 v88, v37, v154, v88
	;;#ASMEND
	;;#ASMSTART
	v_dot2_f32_f16 v87, v34, v74, v87
	;;#ASMEND
	;;#ASMSTART
	v_dot2_f32_f16 v87, v35, v75, v87
	;;#ASMEND
	;;#ASMSTART
	v_dot2_f32_f16 v87, v36, v76, v87
	;;#ASMEND
	;;#ASMSTART
	v_dot2_f32_f16 v87, v37, v77, v87
	;;#ASMEND
	;;#ASMSTART
	v_dot2_f32_f16 v86, v34, v70, v86
	;;#ASMEND
	;;#ASMSTART
	v_dot2_f32_f16 v86, v35, v71, v86
	;;#ASMEND
	;;#ASMSTART
	v_dot2_f32_f16 v86, v36, v72, v86
	;;#ASMEND
	;;#ASMSTART
	v_dot2_f32_f16 v86, v37, v73, v86
	;;#ASMEND
	;;#ASMSTART
	v_dot2_f32_f16 v85, v34, v66, v85
	;;#ASMEND
	;;#ASMSTART
	v_dot2_f32_f16 v85, v35, v67, v85
	;;#ASMEND
	;;#ASMSTART
	v_dot2_f32_f16 v85, v36, v68, v85
	;;#ASMEND
	;;#ASMSTART
	v_dot2_f32_f16 v85, v37, v69, v85
	;;#ASMEND
	;;#ASMSTART
	v_dot2_f32_f16 v84, v34, v62, v84
	;;#ASMEND
	;;#ASMSTART
	v_dot2_f32_f16 v84, v35, v63, v84
	;;#ASMEND
	;;#ASMSTART
	v_dot2_f32_f16 v84, v36, v64, v84
	;;#ASMEND
	;;#ASMSTART
	v_dot2_f32_f16 v84, v37, v65, v84
	;;#ASMEND
	;;#ASMSTART
	v_dot2_f32_f16 v83, v34, v58, v83
	;;#ASMEND
	;;#ASMSTART
	v_dot2_f32_f16 v83, v35, v59, v83
	;;#ASMEND
	;;#ASMSTART
	v_dot2_f32_f16 v83, v36, v60, v83
	;;#ASMEND
	;;#ASMSTART
	v_dot2_f32_f16 v83, v37, v61, v83
	;;#ASMEND
	;;#ASMSTART
	v_dot2_f32_f16 v82, v34, v54, v82
	;;#ASMEND
	;;#ASMSTART
	v_dot2_f32_f16 v82, v35, v55, v82
	;;#ASMEND
	;;#ASMSTART
	v_dot2_f32_f16 v82, v36, v56, v82
	;;#ASMEND
	;;#ASMSTART
	v_dot2_f32_f16 v82, v37, v57, v82
	;;#ASMEND
	;;#ASMSTART
	v_dot2_f32_f16 v81, v34, v50, v81
	;;#ASMEND
	;;#ASMSTART
	v_dot2_f32_f16 v81, v35, v51, v81
	;;#ASMEND
	;;#ASMSTART
	v_dot2_f32_f16 v81, v36, v52, v81
	;;#ASMEND
	;;#ASMSTART
	v_dot2_f32_f16 v81, v37, v53, v81
	;;#ASMEND
	;;#ASMSTART
	v_dot2_f32_f16 v80, v34, v46, v80
	;;#ASMEND
	;;#ASMSTART
	v_dot2_f32_f16 v80, v35, v47, v80
	;;#ASMEND
	;;#ASMSTART
	v_dot2_f32_f16 v80, v36, v48, v80
	;;#ASMEND
	;;#ASMSTART
	v_dot2_f32_f16 v80, v37, v49, v80
	;;#ASMEND
	;;#ASMSTART
	v_dot2_f32_f16 v79, v34, v42, v79
	;;#ASMEND
	;;#ASMSTART
	v_dot2_f32_f16 v79, v35, v43, v79
	;;#ASMEND
	;;#ASMSTART
	v_dot2_f32_f16 v79, v36, v44, v79
	;;#ASMEND
	;;#ASMSTART
	v_dot2_f32_f16 v79, v37, v45, v79
	;;#ASMEND
	;;#ASMSTART
	v_dot2_f32_f16 v78, v34, v38, v78
	;;#ASMEND
	;;#ASMSTART
	v_dot2_f32_f16 v78, v35, v39, v78
	;;#ASMEND
	;;#ASMSTART
	v_dot2_f32_f16 v78, v36, v40, v78
	;;#ASMEND
	;;#ASMSTART
	v_dot2_f32_f16 v78, v37, v41, v78
	;;#ASMEND
	ds_read_b128 v[122:125], v159 offset:48
	ds_read_b128 v[34:37], v159 offset:4656
	;; [unrolled: 1-line block ×18, first 2 shown]
	s_waitcnt lgkmcnt(15)
	;;#ASMSTART
	v_dot2_f32_f16 v188, v122, v126, v188
	;;#ASMEND
	;;#ASMSTART
	v_dot2_f32_f16 v188, v123, v127, v188
	;;#ASMEND
	;;#ASMSTART
	v_dot2_f32_f16 v188, v124, v128, v188
	;;#ASMEND
	;;#ASMSTART
	v_dot2_f32_f16 v188, v125, v129, v188
	;;#ASMEND
	s_waitcnt lgkmcnt(14)
	;;#ASMSTART
	v_dot2_f32_f16 v187, v122, v130, v187
	;;#ASMEND
	;;#ASMSTART
	v_dot2_f32_f16 v187, v123, v131, v187
	;;#ASMEND
	;;#ASMSTART
	v_dot2_f32_f16 v187, v124, v132, v187
	;;#ASMEND
	;;#ASMSTART
	v_dot2_f32_f16 v187, v125, v133, v187
	;;#ASMEND
	s_waitcnt lgkmcnt(13)
	;;#ASMSTART
	v_dot2_f32_f16 v120, v122, v134, v120
	;;#ASMEND
	;;#ASMSTART
	v_dot2_f32_f16 v120, v123, v135, v120
	;;#ASMEND
	;;#ASMSTART
	v_dot2_f32_f16 v120, v124, v136, v120
	;;#ASMEND
	;;#ASMSTART
	v_dot2_f32_f16 v120, v125, v137, v120
	;;#ASMEND
	s_waitcnt lgkmcnt(12)
	;;#ASMSTART
	v_dot2_f32_f16 v186, v122, v143, v186
	;;#ASMEND
	;;#ASMSTART
	v_dot2_f32_f16 v186, v123, v144, v186
	;;#ASMEND
	;;#ASMSTART
	v_dot2_f32_f16 v186, v124, v145, v186
	;;#ASMEND
	;;#ASMSTART
	v_dot2_f32_f16 v186, v125, v146, v186
	;;#ASMEND
	s_waitcnt lgkmcnt(11)
	;;#ASMSTART
	v_dot2_f32_f16 v185, v122, v147, v185
	;;#ASMEND
	;;#ASMSTART
	v_dot2_f32_f16 v185, v123, v148, v185
	;;#ASMEND
	;;#ASMSTART
	v_dot2_f32_f16 v185, v124, v149, v185
	;;#ASMEND
	;;#ASMSTART
	v_dot2_f32_f16 v185, v125, v150, v185
	;;#ASMEND
	s_waitcnt lgkmcnt(10)
	;;#ASMSTART
	v_dot2_f32_f16 v184, v122, v151, v184
	;;#ASMEND
	;;#ASMSTART
	v_dot2_f32_f16 v184, v123, v152, v184
	;;#ASMEND
	;;#ASMSTART
	v_dot2_f32_f16 v184, v124, v153, v184
	;;#ASMEND
	;;#ASMSTART
	v_dot2_f32_f16 v184, v125, v154, v184
	;;#ASMEND
	s_waitcnt lgkmcnt(9)
	;;#ASMSTART
	v_dot2_f32_f16 v183, v122, v74, v183
	;;#ASMEND
	;;#ASMSTART
	v_dot2_f32_f16 v183, v123, v75, v183
	;;#ASMEND
	;;#ASMSTART
	v_dot2_f32_f16 v183, v124, v76, v183
	;;#ASMEND
	;;#ASMSTART
	v_dot2_f32_f16 v183, v125, v77, v183
	;;#ASMEND
	s_waitcnt lgkmcnt(8)
	;;#ASMSTART
	v_dot2_f32_f16 v182, v122, v70, v182
	;;#ASMEND
	;;#ASMSTART
	v_dot2_f32_f16 v182, v123, v71, v182
	;;#ASMEND
	;;#ASMSTART
	v_dot2_f32_f16 v182, v124, v72, v182
	;;#ASMEND
	;;#ASMSTART
	v_dot2_f32_f16 v182, v125, v73, v182
	;;#ASMEND
	s_waitcnt lgkmcnt(7)
	;;#ASMSTART
	v_dot2_f32_f16 v181, v122, v66, v181
	;;#ASMEND
	;;#ASMSTART
	v_dot2_f32_f16 v181, v123, v67, v181
	;;#ASMEND
	;;#ASMSTART
	v_dot2_f32_f16 v181, v124, v68, v181
	;;#ASMEND
	;;#ASMSTART
	v_dot2_f32_f16 v181, v125, v69, v181
	;;#ASMEND
	s_waitcnt lgkmcnt(6)
	;;#ASMSTART
	v_dot2_f32_f16 v118, v122, v62, v118
	;;#ASMEND
	;;#ASMSTART
	v_dot2_f32_f16 v118, v123, v63, v118
	;;#ASMEND
	;;#ASMSTART
	v_dot2_f32_f16 v118, v124, v64, v118
	;;#ASMEND
	;;#ASMSTART
	v_dot2_f32_f16 v118, v125, v65, v118
	;;#ASMEND
	s_waitcnt lgkmcnt(5)
	;;#ASMSTART
	v_dot2_f32_f16 v116, v122, v58, v116
	;;#ASMEND
	;;#ASMSTART
	v_dot2_f32_f16 v116, v123, v59, v116
	;;#ASMEND
	;;#ASMSTART
	v_dot2_f32_f16 v116, v124, v60, v116
	;;#ASMEND
	;;#ASMSTART
	v_dot2_f32_f16 v116, v125, v61, v116
	;;#ASMEND
	s_waitcnt lgkmcnt(4)
	;;#ASMSTART
	v_dot2_f32_f16 v114, v122, v54, v114
	;;#ASMEND
	;;#ASMSTART
	v_dot2_f32_f16 v114, v123, v55, v114
	;;#ASMEND
	;;#ASMSTART
	v_dot2_f32_f16 v114, v124, v56, v114
	;;#ASMEND
	;;#ASMSTART
	v_dot2_f32_f16 v114, v125, v57, v114
	;;#ASMEND
	s_waitcnt lgkmcnt(3)
	;;#ASMSTART
	v_dot2_f32_f16 v112, v122, v50, v112
	;;#ASMEND
	;;#ASMSTART
	v_dot2_f32_f16 v112, v123, v51, v112
	;;#ASMEND
	;;#ASMSTART
	v_dot2_f32_f16 v112, v124, v52, v112
	;;#ASMEND
	;;#ASMSTART
	v_dot2_f32_f16 v112, v125, v53, v112
	;;#ASMEND
	s_waitcnt lgkmcnt(2)
	;;#ASMSTART
	v_dot2_f32_f16 v110, v122, v46, v110
	;;#ASMEND
	;;#ASMSTART
	v_dot2_f32_f16 v110, v123, v47, v110
	;;#ASMEND
	;;#ASMSTART
	v_dot2_f32_f16 v110, v124, v48, v110
	;;#ASMEND
	;;#ASMSTART
	v_dot2_f32_f16 v110, v125, v49, v110
	;;#ASMEND
	s_waitcnt lgkmcnt(1)
	;;#ASMSTART
	v_dot2_f32_f16 v108, v122, v42, v108
	;;#ASMEND
	;;#ASMSTART
	v_dot2_f32_f16 v108, v123, v43, v108
	;;#ASMEND
	;;#ASMSTART
	v_dot2_f32_f16 v108, v124, v44, v108
	;;#ASMEND
	;;#ASMSTART
	v_dot2_f32_f16 v108, v125, v45, v108
	;;#ASMEND
	s_waitcnt lgkmcnt(0)
	;;#ASMSTART
	v_dot2_f32_f16 v106, v122, v38, v106
	;;#ASMEND
	;;#ASMSTART
	v_dot2_f32_f16 v106, v123, v39, v106
	;;#ASMEND
	;;#ASMSTART
	v_dot2_f32_f16 v106, v124, v40, v106
	;;#ASMEND
	;;#ASMSTART
	v_dot2_f32_f16 v106, v125, v41, v106
	;;#ASMEND
	;;#ASMSTART
	v_dot2_f32_f16 v102, v34, v126, v102
	;;#ASMEND
	;;#ASMSTART
	v_dot2_f32_f16 v102, v35, v127, v102
	;;#ASMEND
	;; [unrolled: 3-line block ×64, first 2 shown]
	ds_read_b128 v[122:125], v159 offset:64
	ds_read_b128 v[34:37], v159 offset:4672
	;; [unrolled: 1-line block ×18, first 2 shown]
	s_waitcnt lgkmcnt(15)
	;;#ASMSTART
	v_dot2_f32_f16 v188, v122, v126, v188
	;;#ASMEND
	;;#ASMSTART
	v_dot2_f32_f16 v188, v123, v127, v188
	;;#ASMEND
	;;#ASMSTART
	v_dot2_f32_f16 v188, v124, v128, v188
	;;#ASMEND
	;;#ASMSTART
	v_dot2_f32_f16 v188, v125, v129, v188
	;;#ASMEND
	s_waitcnt lgkmcnt(14)
	;;#ASMSTART
	v_dot2_f32_f16 v187, v122, v130, v187
	;;#ASMEND
	;;#ASMSTART
	v_dot2_f32_f16 v187, v123, v131, v187
	;;#ASMEND
	;;#ASMSTART
	v_dot2_f32_f16 v187, v124, v132, v187
	;;#ASMEND
	;;#ASMSTART
	v_dot2_f32_f16 v187, v125, v133, v187
	;;#ASMEND
	;; [unrolled: 13-line block ×16, first 2 shown]
	;;#ASMSTART
	v_dot2_f32_f16 v102, v34, v126, v102
	;;#ASMEND
	;;#ASMSTART
	v_dot2_f32_f16 v102, v35, v127, v102
	;;#ASMEND
	;; [unrolled: 3-line block ×64, first 2 shown]
	ds_read_b128 v[122:125], v159 offset:80
	ds_read_b128 v[34:37], v159 offset:4688
	;; [unrolled: 1-line block ×18, first 2 shown]
	s_waitcnt lgkmcnt(15)
	;;#ASMSTART
	v_dot2_f32_f16 v188, v122, v126, v188
	;;#ASMEND
	;;#ASMSTART
	v_dot2_f32_f16 v188, v123, v127, v188
	;;#ASMEND
	;;#ASMSTART
	v_dot2_f32_f16 v188, v124, v128, v188
	;;#ASMEND
	;;#ASMSTART
	v_dot2_f32_f16 v188, v125, v129, v188
	;;#ASMEND
	s_waitcnt lgkmcnt(14)
	;;#ASMSTART
	v_dot2_f32_f16 v187, v122, v130, v187
	;;#ASMEND
	;;#ASMSTART
	v_dot2_f32_f16 v187, v123, v131, v187
	;;#ASMEND
	;;#ASMSTART
	v_dot2_f32_f16 v187, v124, v132, v187
	;;#ASMEND
	;;#ASMSTART
	v_dot2_f32_f16 v187, v125, v133, v187
	;;#ASMEND
	s_waitcnt lgkmcnt(13)
	;;#ASMSTART
	v_dot2_f32_f16 v120, v122, v134, v120
	;;#ASMEND
	;;#ASMSTART
	v_dot2_f32_f16 v120, v123, v135, v120
	;;#ASMEND
	;;#ASMSTART
	v_dot2_f32_f16 v120, v124, v136, v120
	;;#ASMEND
	;;#ASMSTART
	v_dot2_f32_f16 v120, v125, v137, v120
	;;#ASMEND
	s_waitcnt lgkmcnt(12)
	;;#ASMSTART
	v_dot2_f32_f16 v186, v122, v143, v186
	;;#ASMEND
	;;#ASMSTART
	v_dot2_f32_f16 v186, v123, v144, v186
	;;#ASMEND
	;;#ASMSTART
	v_dot2_f32_f16 v186, v124, v145, v186
	;;#ASMEND
	;;#ASMSTART
	v_dot2_f32_f16 v186, v125, v146, v186
	;;#ASMEND
	s_waitcnt lgkmcnt(11)
	;;#ASMSTART
	v_dot2_f32_f16 v185, v122, v147, v185
	;;#ASMEND
	;;#ASMSTART
	v_dot2_f32_f16 v185, v123, v148, v185
	;;#ASMEND
	;;#ASMSTART
	v_dot2_f32_f16 v185, v124, v149, v185
	;;#ASMEND
	;;#ASMSTART
	v_dot2_f32_f16 v185, v125, v150, v185
	;;#ASMEND
	s_waitcnt lgkmcnt(10)
	;;#ASMSTART
	v_dot2_f32_f16 v184, v122, v151, v184
	;;#ASMEND
	;;#ASMSTART
	v_dot2_f32_f16 v184, v123, v152, v184
	;;#ASMEND
	;;#ASMSTART
	v_dot2_f32_f16 v184, v124, v153, v184
	;;#ASMEND
	;;#ASMSTART
	v_dot2_f32_f16 v184, v125, v154, v184
	;;#ASMEND
	s_waitcnt lgkmcnt(9)
	;;#ASMSTART
	v_dot2_f32_f16 v183, v122, v74, v183
	;;#ASMEND
	;;#ASMSTART
	v_dot2_f32_f16 v183, v123, v75, v183
	;;#ASMEND
	;;#ASMSTART
	v_dot2_f32_f16 v183, v124, v76, v183
	;;#ASMEND
	;;#ASMSTART
	v_dot2_f32_f16 v183, v125, v77, v183
	;;#ASMEND
	s_waitcnt lgkmcnt(8)
	;;#ASMSTART
	v_dot2_f32_f16 v182, v122, v70, v182
	;;#ASMEND
	;;#ASMSTART
	v_dot2_f32_f16 v182, v123, v71, v182
	;;#ASMEND
	;;#ASMSTART
	v_dot2_f32_f16 v182, v124, v72, v182
	;;#ASMEND
	;;#ASMSTART
	v_dot2_f32_f16 v182, v125, v73, v182
	;;#ASMEND
	s_waitcnt lgkmcnt(7)
	;;#ASMSTART
	v_dot2_f32_f16 v181, v122, v66, v181
	;;#ASMEND
	;;#ASMSTART
	v_dot2_f32_f16 v181, v123, v67, v181
	;;#ASMEND
	;;#ASMSTART
	v_dot2_f32_f16 v181, v124, v68, v181
	;;#ASMEND
	;;#ASMSTART
	v_dot2_f32_f16 v181, v125, v69, v181
	;;#ASMEND
	s_waitcnt lgkmcnt(6)
	;;#ASMSTART
	v_dot2_f32_f16 v118, v122, v62, v118
	;;#ASMEND
	;;#ASMSTART
	v_dot2_f32_f16 v118, v123, v63, v118
	;;#ASMEND
	;;#ASMSTART
	v_dot2_f32_f16 v118, v124, v64, v118
	;;#ASMEND
	;;#ASMSTART
	v_dot2_f32_f16 v118, v125, v65, v118
	;;#ASMEND
	s_waitcnt lgkmcnt(5)
	;;#ASMSTART
	v_dot2_f32_f16 v116, v122, v58, v116
	;;#ASMEND
	;;#ASMSTART
	v_dot2_f32_f16 v116, v123, v59, v116
	;;#ASMEND
	;;#ASMSTART
	v_dot2_f32_f16 v116, v124, v60, v116
	;;#ASMEND
	;;#ASMSTART
	v_dot2_f32_f16 v116, v125, v61, v116
	;;#ASMEND
	s_waitcnt lgkmcnt(4)
	;;#ASMSTART
	v_dot2_f32_f16 v114, v122, v54, v114
	;;#ASMEND
	;;#ASMSTART
	v_dot2_f32_f16 v114, v123, v55, v114
	;;#ASMEND
	;;#ASMSTART
	v_dot2_f32_f16 v114, v124, v56, v114
	;;#ASMEND
	;;#ASMSTART
	v_dot2_f32_f16 v114, v125, v57, v114
	;;#ASMEND
	s_waitcnt lgkmcnt(3)
	;;#ASMSTART
	v_dot2_f32_f16 v112, v122, v50, v112
	;;#ASMEND
	;;#ASMSTART
	v_dot2_f32_f16 v112, v123, v51, v112
	;;#ASMEND
	;;#ASMSTART
	v_dot2_f32_f16 v112, v124, v52, v112
	;;#ASMEND
	;;#ASMSTART
	v_dot2_f32_f16 v112, v125, v53, v112
	;;#ASMEND
	s_waitcnt lgkmcnt(2)
	;;#ASMSTART
	v_dot2_f32_f16 v110, v122, v46, v110
	;;#ASMEND
	;;#ASMSTART
	v_dot2_f32_f16 v110, v123, v47, v110
	;;#ASMEND
	;;#ASMSTART
	v_dot2_f32_f16 v110, v124, v48, v110
	;;#ASMEND
	;;#ASMSTART
	v_dot2_f32_f16 v110, v125, v49, v110
	;;#ASMEND
	s_waitcnt lgkmcnt(1)
	;;#ASMSTART
	v_dot2_f32_f16 v108, v122, v42, v108
	;;#ASMEND
	;;#ASMSTART
	v_dot2_f32_f16 v108, v123, v43, v108
	;;#ASMEND
	;;#ASMSTART
	v_dot2_f32_f16 v108, v124, v44, v108
	;;#ASMEND
	;;#ASMSTART
	v_dot2_f32_f16 v108, v125, v45, v108
	;;#ASMEND
	s_waitcnt lgkmcnt(0)
	;;#ASMSTART
	v_dot2_f32_f16 v106, v122, v38, v106
	;;#ASMEND
	;;#ASMSTART
	v_dot2_f32_f16 v106, v123, v39, v106
	;;#ASMEND
	;;#ASMSTART
	v_dot2_f32_f16 v106, v124, v40, v106
	;;#ASMEND
	;;#ASMSTART
	v_dot2_f32_f16 v106, v125, v41, v106
	;;#ASMEND
	;;#ASMSTART
	v_dot2_f32_f16 v102, v34, v126, v102
	;;#ASMEND
	;;#ASMSTART
	v_dot2_f32_f16 v102, v35, v127, v102
	;;#ASMEND
	;; [unrolled: 3-line block ×64, first 2 shown]
	ds_read_b128 v[34:37], v159 offset:96
	ds_read_b128 v[38:41], v159 offset:4704
	;; [unrolled: 1-line block ×18, first 2 shown]
	s_waitcnt lgkmcnt(15)
	;;#ASMSTART
	v_dot2_f32_f16 v188, v34, v42, v188
	;;#ASMEND
	;;#ASMSTART
	v_dot2_f32_f16 v188, v35, v43, v188
	;;#ASMEND
	;;#ASMSTART
	v_dot2_f32_f16 v188, v36, v44, v188
	;;#ASMEND
	;;#ASMSTART
	v_dot2_f32_f16 v188, v37, v45, v188
	;;#ASMEND
	s_waitcnt lgkmcnt(14)
	;;#ASMSTART
	v_dot2_f32_f16 v187, v34, v46, v187
	;;#ASMEND
	;;#ASMSTART
	v_dot2_f32_f16 v187, v35, v47, v187
	;;#ASMEND
	;;#ASMSTART
	v_dot2_f32_f16 v187, v36, v48, v187
	;;#ASMEND
	;;#ASMSTART
	v_dot2_f32_f16 v187, v37, v49, v187
	;;#ASMEND
	;; [unrolled: 13-line block ×16, first 2 shown]
	;;#ASMSTART
	v_dot2_f32_f16 v102, v38, v42, v102
	;;#ASMEND
	;;#ASMSTART
	v_dot2_f32_f16 v102, v39, v43, v102
	;;#ASMEND
	;; [unrolled: 3-line block ×64, first 2 shown]
	ds_read_b128 v[34:37], v159 offset:112
	ds_read_b128 v[38:41], v159 offset:4720
	;; [unrolled: 1-line block ×18, first 2 shown]
	s_waitcnt lgkmcnt(15)
	;;#ASMSTART
	v_dot2_f32_f16 v188, v34, v42, v188
	;;#ASMEND
	;;#ASMSTART
	v_dot2_f32_f16 v188, v35, v43, v188
	;;#ASMEND
	;;#ASMSTART
	v_dot2_f32_f16 v188, v36, v44, v188
	;;#ASMEND
	;;#ASMSTART
	v_dot2_f32_f16 v188, v37, v45, v188
	;;#ASMEND
	s_waitcnt lgkmcnt(14)
	;;#ASMSTART
	v_dot2_f32_f16 v187, v34, v46, v187
	;;#ASMEND
	;;#ASMSTART
	v_dot2_f32_f16 v187, v35, v47, v187
	;;#ASMEND
	;;#ASMSTART
	v_dot2_f32_f16 v187, v36, v48, v187
	;;#ASMEND
	;;#ASMSTART
	v_dot2_f32_f16 v187, v37, v49, v187
	;;#ASMEND
	;; [unrolled: 13-line block ×16, first 2 shown]
	;;#ASMSTART
	v_dot2_f32_f16 v102, v38, v42, v102
	;;#ASMEND
	;;#ASMSTART
	v_dot2_f32_f16 v102, v39, v43, v102
	;;#ASMEND
	;; [unrolled: 3-line block ×64, first 2 shown]
	buffer_load_dword v0, off, s[0:3], 0 offset:16 ; 4-byte Folded Reload
	v_cndmask_b32_e64 v36, 0, 1, s11
	s_waitcnt vmcnt(0)
	v_mad_u64_u32 v[34:35], null, v0, s19, s[12:13]
	v_mov_b32_e32 v35, v2
	s_and_saveexec_b32 s17, s10
	s_cbranch_execz .LBB52_84
; %bb.81:
	s_andn2_b32 vcc_lo, exec_lo, s11
	s_cbranch_vccnz .LBB52_83
; %bb.82:
	v_add_nc_u32_e32 v0, v34, v190
	v_ashrrev_i32_e32 v1, 31, v0
	v_lshlrev_b64 v[0:1], 1, v[0:1]
	v_add_co_u32 v0, vcc_lo, s46, v0
	v_add_co_ci_u32_e64 v1, null, s47, v1, vcc_lo
	global_load_ushort v0, v[0:1], off
	s_waitcnt vmcnt(0)
	v_cvt_f32_f16_e32 v0, v0
	v_mul_f32_e32 v121, v141, v0
.LBB52_83:
	v_add_f32_e32 v188, v188, v121
	v_max_f32_e32 v1, v2, v2
	v_add_f32_e32 v0, 0x40051340, v188
	v_max_f32_e32 v35, v1, v0
.LBB52_84:
	s_or_b32 exec_lo, exec_lo, s17
	v_add_nc_u32_e32 v58, 32, v190
	v_cmp_gt_i32_e64 s11, s16, v58
	s_and_saveexec_b32 s17, s11
	s_cbranch_execz .LBB52_89
; %bb.85:
	v_cmp_ne_u32_e32 vcc_lo, 1, v36
	s_cbranch_vccnz .LBB52_87
; %bb.86:
	v_ashrrev_i32_e32 v1, 31, v34
	v_add_co_u32 v0, vcc_lo, v34, v190
	v_add_co_ci_u32_e64 v1, null, 0, v1, vcc_lo
	v_lshlrev_b64 v[0:1], 1, v[0:1]
	v_add_co_u32 v0, vcc_lo, s46, v0
	v_add_co_ci_u32_e64 v1, null, s47, v1, vcc_lo
	global_load_ushort v0, v[0:1], off offset:64
	s_waitcnt vmcnt(0)
	v_cvt_f32_f16_e32 v0, v0
	v_mul_f32_e32 v34, v141, v0
	s_branch .LBB52_88
.LBB52_87:
	v_mov_b32_e32 v34, 0
.LBB52_88:
	v_add_f32_e32 v102, v102, v34
	v_max_f32_e32 v1, v35, v35
	v_add_f32_e32 v0, 0x40051340, v102
	v_max_f32_e32 v35, v1, v0
.LBB52_89:
	s_or_b32 exec_lo, exec_lo, s17
	buffer_load_dword v37, off, s[0:3], 0 offset:128 ; 4-byte Folded Reload
	v_xor_b32_e32 v66, 16, v111
	v_xor_b32_e32 v67, 8, v111
	v_max_f32_e32 v34, v35, v35
	v_xor_b32_e32 v68, 4, v111
	v_xor_b32_e32 v71, 2, v111
	v_cmp_gt_i32_e32 vcc_lo, 32, v66
	v_xor_b32_e32 v69, 1, v111
	v_mov_b32_e32 v70, 32
	v_cndmask_b32_e32 v0, v111, v66, vcc_lo
	v_cmp_gt_i32_e32 vcc_lo, 32, v67
	v_lshlrev_b32_e32 v49, 2, v0
	v_cndmask_b32_e32 v1, v111, v67, vcc_lo
	v_cmp_gt_i32_e32 vcc_lo, 32, v68
	ds_bpermute_b32 v0, v49, v35
	v_lshlrev_b32_e32 v50, 2, v1
	s_waitcnt lgkmcnt(0)
	v_max_f32_e32 v0, v0, v0
	v_max_f32_e32 v0, v34, v0
	v_cndmask_b32_e32 v34, v111, v68, vcc_lo
	v_cmp_gt_i32_e32 vcc_lo, 32, v71
	ds_bpermute_b32 v1, v50, v0
	v_lshlrev_b32_e32 v51, 2, v34
	v_cndmask_b32_e32 v34, v111, v71, vcc_lo
	v_cmp_gt_i32_e32 vcc_lo, 32, v69
	v_lshlrev_b32_e32 v52, 2, v34
	v_cndmask_b32_e32 v35, v111, v69, vcc_lo
	v_lshlrev_b32_e32 v53, 2, v35
	s_waitcnt lgkmcnt(0)
	v_max_f32_e32 v1, v1, v1
	v_max_f32_e32 v0, v0, v1
	ds_bpermute_b32 v1, v51, v0
	s_waitcnt lgkmcnt(0)
	v_max_f32_e32 v1, v1, v1
	v_max_f32_e32 v0, v0, v1
	ds_bpermute_b32 v1, v52, v0
	;; [unrolled: 4-line block ×3, first 2 shown]
	s_waitcnt vmcnt(0)
	v_mul_hi_u32 v34, s28, v37
	v_add_nc_u32_e32 v34, v37, v34
	v_lshrrev_b32_e32 v34, s29, v34
	v_mul_lo_u32 v0, v34, s30
	v_sub_nc_u32_e32 v0, v37, v0
	v_mad_u64_u32 v[34:35], null, v0, s19, s[12:13]
	v_mov_b32_e32 v35, v3
	s_and_saveexec_b32 s17, s10
	s_cbranch_execz .LBB52_94
; %bb.90:
	v_cmp_ne_u32_e32 vcc_lo, 1, v36
	s_cbranch_vccnz .LBB52_92
; %bb.91:
	v_add_nc_u32_e32 v0, v34, v190
	v_ashrrev_i32_e32 v1, 31, v0
	v_lshlrev_b64 v[0:1], 1, v[0:1]
	v_add_co_u32 v0, vcc_lo, s46, v0
	v_add_co_ci_u32_e64 v1, null, s47, v1, vcc_lo
	global_load_ushort v0, v[0:1], off
	s_waitcnt vmcnt(0)
	v_cvt_f32_f16_e32 v0, v0
	v_mul_f32_e32 v35, v141, v0
	s_branch .LBB52_93
.LBB52_92:
	v_mov_b32_e32 v35, 0
.LBB52_93:
	v_add_f32_e32 v187, v187, v35
	v_max_f32_e32 v1, v3, v3
	v_add_f32_e32 v0, 0x40051340, v187
	v_max_f32_e32 v35, v1, v0
.LBB52_94:
	s_or_b32 exec_lo, exec_lo, s17
	s_and_saveexec_b32 s17, s11
	s_cbranch_execz .LBB52_99
; %bb.95:
	v_cmp_ne_u32_e32 vcc_lo, 1, v36
	s_cbranch_vccnz .LBB52_97
; %bb.96:
	v_ashrrev_i32_e32 v1, 31, v34
	v_add_co_u32 v0, vcc_lo, v34, v190
	v_add_co_ci_u32_e64 v1, null, 0, v1, vcc_lo
	v_lshlrev_b64 v[0:1], 1, v[0:1]
	v_add_co_u32 v0, vcc_lo, s46, v0
	v_add_co_ci_u32_e64 v1, null, s47, v1, vcc_lo
	global_load_ushort v0, v[0:1], off offset:64
	s_waitcnt vmcnt(0)
	v_cvt_f32_f16_e32 v0, v0
	v_mul_f32_e32 v34, v141, v0
	s_branch .LBB52_98
.LBB52_97:
	v_mov_b32_e32 v34, 0
.LBB52_98:
	v_add_f32_e32 v98, v98, v34
	v_max_f32_e32 v1, v35, v35
	v_add_f32_e32 v0, 0x40051340, v98
	v_max_f32_e32 v35, v1, v0
.LBB52_99:
	s_or_b32 exec_lo, exec_lo, s17
	ds_bpermute_b32 v0, v49, v35
	v_max_f32_e32 v1, v35, v35
	buffer_load_dword v35, off, s[0:3], 0 offset:124 ; 4-byte Folded Reload
	s_waitcnt lgkmcnt(0)
	v_max_f32_e32 v0, v0, v0
	v_max_f32_e32 v0, v1, v0
	ds_bpermute_b32 v1, v50, v0
	s_waitcnt lgkmcnt(0)
	v_max_f32_e32 v1, v1, v1
	v_max_f32_e32 v0, v0, v1
	ds_bpermute_b32 v1, v51, v0
	;; [unrolled: 4-line block ×4, first 2 shown]
	s_waitcnt vmcnt(0)
	v_mul_hi_u32 v34, s28, v35
	v_add_nc_u32_e32 v34, v35, v34
	v_lshrrev_b32_e32 v34, s29, v34
	v_mul_lo_u32 v0, v34, s30
	v_sub_nc_u32_e32 v0, v35, v0
	v_mad_u64_u32 v[34:35], null, v0, s19, s[12:13]
	v_mov_b32_e32 v35, v4
	s_and_saveexec_b32 s17, s10
	s_cbranch_execz .LBB52_104
; %bb.100:
	v_cmp_ne_u32_e32 vcc_lo, 1, v36
	s_cbranch_vccnz .LBB52_102
; %bb.101:
	v_add_nc_u32_e32 v0, v34, v190
	v_ashrrev_i32_e32 v1, 31, v0
	v_lshlrev_b64 v[0:1], 1, v[0:1]
	v_add_co_u32 v0, vcc_lo, s46, v0
	v_add_co_ci_u32_e64 v1, null, s47, v1, vcc_lo
	global_load_ushort v0, v[0:1], off
	s_waitcnt vmcnt(0)
	v_cvt_f32_f16_e32 v0, v0
	v_mul_f32_e32 v35, v141, v0
	s_branch .LBB52_103
.LBB52_102:
	v_mov_b32_e32 v35, 0
.LBB52_103:
	v_add_f32_e32 v120, v120, v35
	v_max_f32_e32 v1, v4, v4
	v_add_f32_e32 v0, 0x40051340, v120
	v_max_f32_e32 v35, v1, v0
.LBB52_104:
	s_or_b32 exec_lo, exec_lo, s17
	s_and_saveexec_b32 s17, s11
	s_cbranch_execz .LBB52_109
; %bb.105:
	v_cmp_ne_u32_e32 vcc_lo, 1, v36
	s_cbranch_vccnz .LBB52_107
; %bb.106:
	v_ashrrev_i32_e32 v1, 31, v34
	v_add_co_u32 v0, vcc_lo, v34, v190
	v_add_co_ci_u32_e64 v1, null, 0, v1, vcc_lo
	v_lshlrev_b64 v[0:1], 1, v[0:1]
	v_add_co_u32 v0, vcc_lo, s46, v0
	v_add_co_ci_u32_e64 v1, null, s47, v1, vcc_lo
	global_load_ushort v0, v[0:1], off offset:64
	s_waitcnt vmcnt(0)
	v_cvt_f32_f16_e32 v0, v0
	v_mul_f32_e32 v34, v141, v0
	s_branch .LBB52_108
.LBB52_107:
	v_mov_b32_e32 v34, 0
.LBB52_108:
	v_add_f32_e32 v94, v94, v34
	v_max_f32_e32 v1, v35, v35
	v_add_f32_e32 v0, 0x40051340, v94
	v_max_f32_e32 v35, v1, v0
.LBB52_109:
	s_or_b32 exec_lo, exec_lo, s17
	ds_bpermute_b32 v0, v49, v35
	v_max_f32_e32 v1, v35, v35
	buffer_load_dword v35, off, s[0:3], 0 offset:120 ; 4-byte Folded Reload
	s_waitcnt lgkmcnt(0)
	v_max_f32_e32 v0, v0, v0
	v_max_f32_e32 v0, v1, v0
	ds_bpermute_b32 v1, v50, v0
	s_waitcnt lgkmcnt(0)
	v_max_f32_e32 v1, v1, v1
	v_max_f32_e32 v0, v0, v1
	ds_bpermute_b32 v1, v51, v0
	s_waitcnt lgkmcnt(0)
	v_max_f32_e32 v1, v1, v1
	v_max_f32_e32 v0, v0, v1
	ds_bpermute_b32 v1, v52, v0
	s_waitcnt lgkmcnt(0)
	v_max_f32_e32 v1, v1, v1
	v_max_f32_e32 v59, v0, v1
	ds_bpermute_b32 v60, v53, v59
	s_waitcnt vmcnt(0)
	v_mul_hi_u32 v34, s28, v35
	v_add_nc_u32_e32 v34, v35, v34
	v_lshrrev_b32_e32 v34, s29, v34
	v_mul_lo_u32 v0, v34, s30
	v_sub_nc_u32_e32 v0, v35, v0
	v_mad_u64_u32 v[34:35], null, v0, s19, s[12:13]
	v_mov_b32_e32 v35, v5
	s_and_saveexec_b32 s17, s10
	s_cbranch_execz .LBB52_114
; %bb.110:
	v_cmp_ne_u32_e32 vcc_lo, 1, v36
	s_cbranch_vccnz .LBB52_112
; %bb.111:
	v_add_nc_u32_e32 v0, v34, v190
	v_ashrrev_i32_e32 v1, 31, v0
	v_lshlrev_b64 v[0:1], 1, v[0:1]
	v_add_co_u32 v0, vcc_lo, s46, v0
	v_add_co_ci_u32_e64 v1, null, s47, v1, vcc_lo
	global_load_ushort v0, v[0:1], off
	s_waitcnt vmcnt(0)
	v_cvt_f32_f16_e32 v0, v0
	v_mul_f32_e32 v35, v141, v0
	s_branch .LBB52_113
.LBB52_112:
	v_mov_b32_e32 v35, 0
.LBB52_113:
	v_add_f32_e32 v186, v186, v35
	v_max_f32_e32 v1, v5, v5
	v_add_f32_e32 v0, 0x40051340, v186
	v_max_f32_e32 v35, v1, v0
.LBB52_114:
	s_or_b32 exec_lo, exec_lo, s17
	s_and_saveexec_b32 s17, s11
	s_cbranch_execz .LBB52_119
; %bb.115:
	v_cmp_ne_u32_e32 vcc_lo, 1, v36
	s_cbranch_vccnz .LBB52_117
; %bb.116:
	v_ashrrev_i32_e32 v1, 31, v34
	v_add_co_u32 v0, vcc_lo, v34, v190
	v_add_co_ci_u32_e64 v1, null, 0, v1, vcc_lo
	v_lshlrev_b64 v[0:1], 1, v[0:1]
	v_add_co_u32 v0, vcc_lo, s46, v0
	v_add_co_ci_u32_e64 v1, null, s47, v1, vcc_lo
	global_load_ushort v0, v[0:1], off offset:64
	s_waitcnt vmcnt(0)
	v_cvt_f32_f16_e32 v0, v0
	v_mul_f32_e32 v34, v141, v0
	s_branch .LBB52_118
.LBB52_117:
	v_mov_b32_e32 v34, 0
.LBB52_118:
	v_add_f32_e32 v90, v90, v34
	v_max_f32_e32 v1, v35, v35
	v_add_f32_e32 v0, 0x40051340, v90
	v_max_f32_e32 v35, v1, v0
.LBB52_119:
	s_or_b32 exec_lo, exec_lo, s17
	ds_bpermute_b32 v0, v49, v35
	v_max_f32_e32 v1, v35, v35
	buffer_load_dword v35, off, s[0:3], 0 offset:116 ; 4-byte Folded Reload
	s_waitcnt lgkmcnt(0)
	v_max_f32_e32 v0, v0, v0
	v_max_f32_e32 v0, v1, v0
	ds_bpermute_b32 v1, v50, v0
	s_waitcnt lgkmcnt(0)
	v_max_f32_e32 v1, v1, v1
	v_max_f32_e32 v0, v0, v1
	ds_bpermute_b32 v1, v51, v0
	s_waitcnt lgkmcnt(0)
	v_max_f32_e32 v1, v1, v1
	v_max_f32_e32 v0, v0, v1
	ds_bpermute_b32 v1, v52, v0
	s_waitcnt lgkmcnt(0)
	v_max_f32_e32 v1, v1, v1
	v_max_f32_e32 v37, v0, v1
	ds_bpermute_b32 v61, v53, v37
	s_waitcnt vmcnt(0)
	v_mul_hi_u32 v34, s28, v35
	v_add_nc_u32_e32 v34, v35, v34
	v_lshrrev_b32_e32 v34, s29, v34
	v_mul_lo_u32 v0, v34, s30
	v_sub_nc_u32_e32 v0, v35, v0
	v_mad_u64_u32 v[34:35], null, v0, s19, s[12:13]
	v_mov_b32_e32 v35, v6
	s_and_saveexec_b32 s17, s10
	s_cbranch_execz .LBB52_124
; %bb.120:
	v_cmp_ne_u32_e32 vcc_lo, 1, v36
	s_cbranch_vccnz .LBB52_122
; %bb.121:
	v_add_nc_u32_e32 v0, v34, v190
	v_ashrrev_i32_e32 v1, 31, v0
	v_lshlrev_b64 v[0:1], 1, v[0:1]
	v_add_co_u32 v0, vcc_lo, s46, v0
	v_add_co_ci_u32_e64 v1, null, s47, v1, vcc_lo
	global_load_ushort v0, v[0:1], off
	s_waitcnt vmcnt(0)
	v_cvt_f32_f16_e32 v0, v0
	v_mul_f32_e32 v35, v141, v0
	s_branch .LBB52_123
.LBB52_122:
	v_mov_b32_e32 v35, 0
.LBB52_123:
	v_add_f32_e32 v185, v185, v35
	v_max_f32_e32 v1, v6, v6
	v_add_f32_e32 v0, 0x40051340, v185
	v_max_f32_e32 v35, v1, v0
.LBB52_124:
	s_or_b32 exec_lo, exec_lo, s17
	s_and_saveexec_b32 s17, s11
	s_cbranch_execz .LBB52_129
; %bb.125:
	v_cmp_ne_u32_e32 vcc_lo, 1, v36
	s_cbranch_vccnz .LBB52_127
; %bb.126:
	v_ashrrev_i32_e32 v1, 31, v34
	v_add_co_u32 v0, vcc_lo, v34, v190
	v_add_co_ci_u32_e64 v1, null, 0, v1, vcc_lo
	v_lshlrev_b64 v[0:1], 1, v[0:1]
	v_add_co_u32 v0, vcc_lo, s46, v0
	v_add_co_ci_u32_e64 v1, null, s47, v1, vcc_lo
	global_load_ushort v0, v[0:1], off offset:64
	s_waitcnt vmcnt(0)
	v_cvt_f32_f16_e32 v0, v0
	v_mul_f32_e32 v34, v141, v0
	s_branch .LBB52_128
.LBB52_127:
	v_mov_b32_e32 v34, 0
.LBB52_128:
	v_add_f32_e32 v89, v89, v34
	v_max_f32_e32 v1, v35, v35
	v_add_f32_e32 v0, 0x40051340, v89
	v_max_f32_e32 v35, v1, v0
.LBB52_129:
	s_or_b32 exec_lo, exec_lo, s17
	ds_bpermute_b32 v0, v49, v35
	v_max_f32_e32 v1, v35, v35
	buffer_load_dword v35, off, s[0:3], 0 offset:112 ; 4-byte Folded Reload
	s_waitcnt lgkmcnt(0)
	v_max_f32_e32 v0, v0, v0
	v_max_f32_e32 v0, v1, v0
	ds_bpermute_b32 v1, v50, v0
	s_waitcnt lgkmcnt(0)
	v_max_f32_e32 v1, v1, v1
	v_max_f32_e32 v0, v0, v1
	ds_bpermute_b32 v1, v51, v0
	;; [unrolled: 4-line block ×4, first 2 shown]
	s_waitcnt vmcnt(0)
	v_mul_hi_u32 v34, s28, v35
	v_add_nc_u32_e32 v34, v35, v34
	v_lshrrev_b32_e32 v34, s29, v34
	v_mul_lo_u32 v0, v34, s30
	v_sub_nc_u32_e32 v0, v35, v0
	v_mad_u64_u32 v[34:35], null, v0, s19, s[12:13]
	v_mov_b32_e32 v35, v7
	s_and_saveexec_b32 s17, s10
	s_cbranch_execz .LBB52_134
; %bb.130:
	v_cmp_ne_u32_e32 vcc_lo, 1, v36
	s_cbranch_vccnz .LBB52_132
; %bb.131:
	v_add_nc_u32_e32 v0, v34, v190
	v_ashrrev_i32_e32 v1, 31, v0
	v_lshlrev_b64 v[0:1], 1, v[0:1]
	v_add_co_u32 v0, vcc_lo, s46, v0
	v_add_co_ci_u32_e64 v1, null, s47, v1, vcc_lo
	global_load_ushort v0, v[0:1], off
	s_waitcnt vmcnt(0)
	v_cvt_f32_f16_e32 v0, v0
	v_mul_f32_e32 v35, v141, v0
	s_branch .LBB52_133
.LBB52_132:
	v_mov_b32_e32 v35, 0
.LBB52_133:
	v_add_f32_e32 v184, v184, v35
	v_max_f32_e32 v1, v7, v7
	v_add_f32_e32 v0, 0x40051340, v184
	v_max_f32_e32 v35, v1, v0
.LBB52_134:
	s_or_b32 exec_lo, exec_lo, s17
	s_and_saveexec_b32 s17, s11
	s_cbranch_execz .LBB52_139
; %bb.135:
	v_cmp_ne_u32_e32 vcc_lo, 1, v36
	s_cbranch_vccnz .LBB52_137
; %bb.136:
	v_ashrrev_i32_e32 v1, 31, v34
	v_add_co_u32 v0, vcc_lo, v34, v190
	v_add_co_ci_u32_e64 v1, null, 0, v1, vcc_lo
	v_lshlrev_b64 v[0:1], 1, v[0:1]
	v_add_co_u32 v0, vcc_lo, s46, v0
	v_add_co_ci_u32_e64 v1, null, s47, v1, vcc_lo
	global_load_ushort v0, v[0:1], off offset:64
	s_waitcnt vmcnt(0)
	v_cvt_f32_f16_e32 v0, v0
	v_mul_f32_e32 v34, v141, v0
	s_branch .LBB52_138
.LBB52_137:
	v_mov_b32_e32 v34, 0
.LBB52_138:
	v_add_f32_e32 v88, v88, v34
	v_max_f32_e32 v1, v35, v35
	v_add_f32_e32 v0, 0x40051340, v88
	v_max_f32_e32 v35, v1, v0
.LBB52_139:
	s_or_b32 exec_lo, exec_lo, s17
	ds_bpermute_b32 v0, v49, v35
	v_max_f32_e32 v1, v35, v35
	buffer_load_dword v35, off, s[0:3], 0 offset:108 ; 4-byte Folded Reload
	s_waitcnt lgkmcnt(0)
	v_max_f32_e32 v0, v0, v0
	v_max_f32_e32 v0, v1, v0
	ds_bpermute_b32 v1, v50, v0
	s_waitcnt lgkmcnt(0)
	v_max_f32_e32 v1, v1, v1
	v_max_f32_e32 v0, v0, v1
	ds_bpermute_b32 v1, v51, v0
	s_waitcnt lgkmcnt(0)
	v_max_f32_e32 v1, v1, v1
	v_max_f32_e32 v0, v0, v1
	ds_bpermute_b32 v1, v52, v0
	s_waitcnt lgkmcnt(0)
	v_max_f32_e32 v1, v1, v1
	v_max_f32_e32 v39, v0, v1
	ds_bpermute_b32 v63, v53, v39
	s_waitcnt vmcnt(0)
	v_mul_hi_u32 v34, s28, v35
	v_add_nc_u32_e32 v34, v35, v34
	v_lshrrev_b32_e32 v34, s29, v34
	v_mul_lo_u32 v0, v34, s30
	v_sub_nc_u32_e32 v0, v35, v0
	v_mad_u64_u32 v[34:35], null, v0, s19, s[12:13]
	v_mov_b32_e32 v35, v8
	s_and_saveexec_b32 s17, s10
	s_cbranch_execz .LBB52_144
; %bb.140:
	v_cmp_ne_u32_e32 vcc_lo, 1, v36
	s_cbranch_vccnz .LBB52_142
; %bb.141:
	v_add_nc_u32_e32 v0, v34, v190
	v_ashrrev_i32_e32 v1, 31, v0
	v_lshlrev_b64 v[0:1], 1, v[0:1]
	v_add_co_u32 v0, vcc_lo, s46, v0
	v_add_co_ci_u32_e64 v1, null, s47, v1, vcc_lo
	global_load_ushort v0, v[0:1], off
	s_waitcnt vmcnt(0)
	v_cvt_f32_f16_e32 v0, v0
	v_mul_f32_e32 v35, v141, v0
	s_branch .LBB52_143
.LBB52_142:
	v_mov_b32_e32 v35, 0
.LBB52_143:
	v_add_f32_e32 v183, v183, v35
	v_max_f32_e32 v1, v8, v8
	v_add_f32_e32 v0, 0x40051340, v183
	v_max_f32_e32 v35, v1, v0
.LBB52_144:
	s_or_b32 exec_lo, exec_lo, s17
	s_and_saveexec_b32 s17, s11
	s_cbranch_execz .LBB52_149
; %bb.145:
	v_cmp_ne_u32_e32 vcc_lo, 1, v36
	s_cbranch_vccnz .LBB52_147
; %bb.146:
	v_ashrrev_i32_e32 v1, 31, v34
	v_add_co_u32 v0, vcc_lo, v34, v190
	v_add_co_ci_u32_e64 v1, null, 0, v1, vcc_lo
	v_lshlrev_b64 v[0:1], 1, v[0:1]
	v_add_co_u32 v0, vcc_lo, s46, v0
	v_add_co_ci_u32_e64 v1, null, s47, v1, vcc_lo
	global_load_ushort v0, v[0:1], off offset:64
	s_waitcnt vmcnt(0)
	v_cvt_f32_f16_e32 v0, v0
	v_mul_f32_e32 v34, v141, v0
	s_branch .LBB52_148
.LBB52_147:
	v_mov_b32_e32 v34, 0
.LBB52_148:
	v_add_f32_e32 v87, v87, v34
	v_max_f32_e32 v1, v35, v35
	v_add_f32_e32 v0, 0x40051340, v87
	v_max_f32_e32 v35, v1, v0
.LBB52_149:
	s_or_b32 exec_lo, exec_lo, s17
	ds_bpermute_b32 v0, v49, v35
	v_max_f32_e32 v1, v35, v35
	buffer_load_dword v35, off, s[0:3], 0 offset:104 ; 4-byte Folded Reload
	s_waitcnt lgkmcnt(0)
	v_max_f32_e32 v0, v0, v0
	v_max_f32_e32 v0, v1, v0
	ds_bpermute_b32 v1, v50, v0
	s_waitcnt lgkmcnt(0)
	v_max_f32_e32 v1, v1, v1
	v_max_f32_e32 v0, v0, v1
	ds_bpermute_b32 v1, v51, v0
	;; [unrolled: 4-line block ×4, first 2 shown]
	s_waitcnt vmcnt(0)
	v_mul_hi_u32 v34, s28, v35
	v_add_nc_u32_e32 v34, v35, v34
	v_lshrrev_b32_e32 v34, s29, v34
	v_mul_lo_u32 v0, v34, s30
	v_sub_nc_u32_e32 v0, v35, v0
	v_mad_u64_u32 v[34:35], null, v0, s19, s[12:13]
	v_mov_b32_e32 v35, v9
	s_and_saveexec_b32 s17, s10
	s_cbranch_execz .LBB52_154
; %bb.150:
	v_cmp_ne_u32_e32 vcc_lo, 1, v36
	s_cbranch_vccnz .LBB52_152
; %bb.151:
	v_add_nc_u32_e32 v0, v34, v190
	v_ashrrev_i32_e32 v1, 31, v0
	v_lshlrev_b64 v[0:1], 1, v[0:1]
	v_add_co_u32 v0, vcc_lo, s46, v0
	v_add_co_ci_u32_e64 v1, null, s47, v1, vcc_lo
	global_load_ushort v0, v[0:1], off
	s_waitcnt vmcnt(0)
	v_cvt_f32_f16_e32 v0, v0
	v_mul_f32_e32 v35, v141, v0
	s_branch .LBB52_153
.LBB52_152:
	v_mov_b32_e32 v35, 0
.LBB52_153:
	v_add_f32_e32 v182, v182, v35
	v_max_f32_e32 v1, v9, v9
	v_add_f32_e32 v0, 0x40051340, v182
	v_max_f32_e32 v35, v1, v0
.LBB52_154:
	s_or_b32 exec_lo, exec_lo, s17
	s_and_saveexec_b32 s17, s11
	s_cbranch_execz .LBB52_159
; %bb.155:
	v_cmp_ne_u32_e32 vcc_lo, 1, v36
	s_cbranch_vccnz .LBB52_157
; %bb.156:
	v_ashrrev_i32_e32 v1, 31, v34
	v_add_co_u32 v0, vcc_lo, v34, v190
	v_add_co_ci_u32_e64 v1, null, 0, v1, vcc_lo
	v_lshlrev_b64 v[0:1], 1, v[0:1]
	v_add_co_u32 v0, vcc_lo, s46, v0
	v_add_co_ci_u32_e64 v1, null, s47, v1, vcc_lo
	global_load_ushort v0, v[0:1], off offset:64
	s_waitcnt vmcnt(0)
	v_cvt_f32_f16_e32 v0, v0
	v_mul_f32_e32 v34, v141, v0
	s_branch .LBB52_158
.LBB52_157:
	v_mov_b32_e32 v34, 0
.LBB52_158:
	v_add_f32_e32 v86, v86, v34
	v_max_f32_e32 v1, v35, v35
	v_add_f32_e32 v0, 0x40051340, v86
	v_max_f32_e32 v35, v1, v0
.LBB52_159:
	s_or_b32 exec_lo, exec_lo, s17
	ds_bpermute_b32 v0, v49, v35
	v_max_f32_e32 v1, v35, v35
	buffer_load_dword v35, off, s[0:3], 0 offset:100 ; 4-byte Folded Reload
	s_waitcnt lgkmcnt(0)
	v_max_f32_e32 v0, v0, v0
	v_max_f32_e32 v0, v1, v0
	ds_bpermute_b32 v1, v50, v0
	s_waitcnt lgkmcnt(0)
	v_max_f32_e32 v1, v1, v1
	v_max_f32_e32 v0, v0, v1
	ds_bpermute_b32 v1, v51, v0
	;; [unrolled: 4-line block ×4, first 2 shown]
	s_waitcnt vmcnt(0)
	v_mul_hi_u32 v34, s28, v35
	v_add_nc_u32_e32 v34, v35, v34
	v_lshrrev_b32_e32 v34, s29, v34
	v_mul_lo_u32 v0, v34, s30
	v_sub_nc_u32_e32 v0, v35, v0
	v_mad_u64_u32 v[34:35], null, v0, s19, s[12:13]
	v_mov_b32_e32 v35, v10
	s_and_saveexec_b32 s17, s10
	s_cbranch_execz .LBB52_164
; %bb.160:
	v_cmp_ne_u32_e32 vcc_lo, 1, v36
	s_cbranch_vccnz .LBB52_162
; %bb.161:
	v_add_nc_u32_e32 v0, v34, v190
	v_ashrrev_i32_e32 v1, 31, v0
	v_lshlrev_b64 v[0:1], 1, v[0:1]
	v_add_co_u32 v0, vcc_lo, s46, v0
	v_add_co_ci_u32_e64 v1, null, s47, v1, vcc_lo
	global_load_ushort v0, v[0:1], off
	s_waitcnt vmcnt(0)
	v_cvt_f32_f16_e32 v0, v0
	v_mul_f32_e32 v35, v141, v0
	s_branch .LBB52_163
.LBB52_162:
	v_mov_b32_e32 v35, 0
.LBB52_163:
	v_add_f32_e32 v181, v181, v35
	v_max_f32_e32 v1, v10, v10
	v_add_f32_e32 v0, 0x40051340, v181
	v_max_f32_e32 v35, v1, v0
.LBB52_164:
	s_or_b32 exec_lo, exec_lo, s17
	s_and_saveexec_b32 s17, s11
	s_cbranch_execz .LBB52_169
; %bb.165:
	v_cmp_ne_u32_e32 vcc_lo, 1, v36
	s_cbranch_vccnz .LBB52_167
; %bb.166:
	v_ashrrev_i32_e32 v1, 31, v34
	v_add_co_u32 v0, vcc_lo, v34, v190
	v_add_co_ci_u32_e64 v1, null, 0, v1, vcc_lo
	v_lshlrev_b64 v[0:1], 1, v[0:1]
	v_add_co_u32 v0, vcc_lo, s46, v0
	v_add_co_ci_u32_e64 v1, null, s47, v1, vcc_lo
	global_load_ushort v0, v[0:1], off offset:64
	s_waitcnt vmcnt(0)
	v_cvt_f32_f16_e32 v0, v0
	v_mul_f32_e32 v34, v141, v0
	s_branch .LBB52_168
.LBB52_167:
	v_mov_b32_e32 v34, 0
.LBB52_168:
	v_add_f32_e32 v85, v85, v34
	v_max_f32_e32 v1, v35, v35
	v_add_f32_e32 v0, 0x40051340, v85
	v_max_f32_e32 v35, v1, v0
.LBB52_169:
	s_or_b32 exec_lo, exec_lo, s17
	ds_bpermute_b32 v0, v49, v35
	v_max_f32_e32 v1, v35, v35
	buffer_load_dword v35, off, s[0:3], 0 offset:96 ; 4-byte Folded Reload
	s_waitcnt lgkmcnt(0)
	v_max_f32_e32 v0, v0, v0
	v_max_f32_e32 v0, v1, v0
	ds_bpermute_b32 v1, v50, v0
	s_waitcnt lgkmcnt(0)
	v_max_f32_e32 v1, v1, v1
	v_max_f32_e32 v0, v0, v1
	ds_bpermute_b32 v1, v51, v0
	;; [unrolled: 4-line block ×4, first 2 shown]
	s_waitcnt vmcnt(0)
	v_mul_hi_u32 v34, s28, v35
	v_add_nc_u32_e32 v34, v35, v34
	v_lshrrev_b32_e32 v34, s29, v34
	v_mul_lo_u32 v0, v34, s30
	v_sub_nc_u32_e32 v0, v35, v0
	v_mad_u64_u32 v[34:35], null, v0, s19, s[12:13]
	v_mov_b32_e32 v35, v11
	s_and_saveexec_b32 s17, s10
	s_cbranch_execz .LBB52_174
; %bb.170:
	v_cmp_ne_u32_e32 vcc_lo, 1, v36
	s_cbranch_vccnz .LBB52_172
; %bb.171:
	v_add_nc_u32_e32 v0, v34, v190
	v_ashrrev_i32_e32 v1, 31, v0
	v_lshlrev_b64 v[0:1], 1, v[0:1]
	v_add_co_u32 v0, vcc_lo, s46, v0
	v_add_co_ci_u32_e64 v1, null, s47, v1, vcc_lo
	global_load_ushort v0, v[0:1], off
	s_waitcnt vmcnt(0)
	v_cvt_f32_f16_e32 v0, v0
	v_mul_f32_e32 v35, v141, v0
	s_branch .LBB52_173
.LBB52_172:
	v_mov_b32_e32 v35, 0
.LBB52_173:
	v_add_f32_e32 v118, v118, v35
	v_max_f32_e32 v1, v11, v11
	v_add_f32_e32 v0, 0x40051340, v118
	v_max_f32_e32 v35, v1, v0
.LBB52_174:
	s_or_b32 exec_lo, exec_lo, s17
	s_and_saveexec_b32 s17, s11
	s_cbranch_execz .LBB52_179
; %bb.175:
	v_cmp_ne_u32_e32 vcc_lo, 1, v36
	s_cbranch_vccnz .LBB52_177
; %bb.176:
	v_ashrrev_i32_e32 v1, 31, v34
	v_add_co_u32 v0, vcc_lo, v34, v190
	v_add_co_ci_u32_e64 v1, null, 0, v1, vcc_lo
	v_lshlrev_b64 v[0:1], 1, v[0:1]
	v_add_co_u32 v0, vcc_lo, s46, v0
	v_add_co_ci_u32_e64 v1, null, s47, v1, vcc_lo
	global_load_ushort v0, v[0:1], off offset:64
	s_waitcnt vmcnt(0)
	v_cvt_f32_f16_e32 v0, v0
	v_mul_f32_e32 v34, v141, v0
	s_branch .LBB52_178
.LBB52_177:
	v_mov_b32_e32 v34, 0
.LBB52_178:
	v_add_f32_e32 v84, v84, v34
	v_max_f32_e32 v1, v35, v35
	v_add_f32_e32 v0, 0x40051340, v84
	v_max_f32_e32 v35, v1, v0
.LBB52_179:
	s_or_b32 exec_lo, exec_lo, s17
	ds_bpermute_b32 v0, v49, v35
	v_max_f32_e32 v1, v35, v35
	buffer_load_dword v35, off, s[0:3], 0 offset:92 ; 4-byte Folded Reload
	s_waitcnt lgkmcnt(0)
	v_max_f32_e32 v0, v0, v0
	v_max_f32_e32 v0, v1, v0
	ds_bpermute_b32 v1, v50, v0
	s_waitcnt lgkmcnt(0)
	v_max_f32_e32 v1, v1, v1
	v_max_f32_e32 v0, v0, v1
	ds_bpermute_b32 v1, v51, v0
	;; [unrolled: 4-line block ×4, first 2 shown]
	s_waitcnt vmcnt(0)
	v_mul_hi_u32 v34, s28, v35
	v_add_nc_u32_e32 v34, v35, v34
	v_lshrrev_b32_e32 v34, s29, v34
	v_mul_lo_u32 v0, v34, s30
	v_sub_nc_u32_e32 v0, v35, v0
	v_mad_u64_u32 v[34:35], null, v0, s19, s[12:13]
	v_mov_b32_e32 v35, v12
	s_and_saveexec_b32 s17, s10
	s_cbranch_execz .LBB52_184
; %bb.180:
	v_cmp_ne_u32_e32 vcc_lo, 1, v36
	s_cbranch_vccnz .LBB52_182
; %bb.181:
	v_add_nc_u32_e32 v0, v34, v190
	v_ashrrev_i32_e32 v1, 31, v0
	v_lshlrev_b64 v[0:1], 1, v[0:1]
	v_add_co_u32 v0, vcc_lo, s46, v0
	v_add_co_ci_u32_e64 v1, null, s47, v1, vcc_lo
	global_load_ushort v0, v[0:1], off
	s_waitcnt vmcnt(0)
	v_cvt_f32_f16_e32 v0, v0
	v_mul_f32_e32 v35, v141, v0
	s_branch .LBB52_183
.LBB52_182:
	v_mov_b32_e32 v35, 0
.LBB52_183:
	v_add_f32_e32 v116, v116, v35
	v_max_f32_e32 v1, v12, v12
	v_add_f32_e32 v0, 0x40051340, v116
	v_max_f32_e32 v35, v1, v0
.LBB52_184:
	s_or_b32 exec_lo, exec_lo, s17
	s_and_saveexec_b32 s17, s11
	s_cbranch_execz .LBB52_189
; %bb.185:
	v_cmp_ne_u32_e32 vcc_lo, 1, v36
	s_cbranch_vccnz .LBB52_187
; %bb.186:
	v_ashrrev_i32_e32 v1, 31, v34
	v_add_co_u32 v0, vcc_lo, v34, v190
	v_add_co_ci_u32_e64 v1, null, 0, v1, vcc_lo
	v_lshlrev_b64 v[0:1], 1, v[0:1]
	v_add_co_u32 v0, vcc_lo, s46, v0
	v_add_co_ci_u32_e64 v1, null, s47, v1, vcc_lo
	global_load_ushort v0, v[0:1], off offset:64
	s_waitcnt vmcnt(0)
	v_cvt_f32_f16_e32 v0, v0
	v_mul_f32_e32 v34, v141, v0
	s_branch .LBB52_188
.LBB52_187:
	v_mov_b32_e32 v34, 0
.LBB52_188:
	v_add_f32_e32 v83, v83, v34
	v_max_f32_e32 v1, v35, v35
	v_add_f32_e32 v0, 0x40051340, v83
	v_max_f32_e32 v35, v1, v0
.LBB52_189:
	s_or_b32 exec_lo, exec_lo, s17
	ds_bpermute_b32 v0, v49, v35
	v_max_f32_e32 v1, v35, v35
	buffer_load_dword v35, off, s[0:3], 0 offset:88 ; 4-byte Folded Reload
	s_waitcnt lgkmcnt(0)
	v_max_f32_e32 v0, v0, v0
	v_max_f32_e32 v0, v1, v0
	ds_bpermute_b32 v1, v50, v0
	s_waitcnt lgkmcnt(0)
	v_max_f32_e32 v1, v1, v1
	v_max_f32_e32 v0, v0, v1
	ds_bpermute_b32 v1, v51, v0
	;; [unrolled: 4-line block ×4, first 2 shown]
	s_waitcnt vmcnt(0)
	v_mul_hi_u32 v34, s28, v35
	v_add_nc_u32_e32 v34, v35, v34
	v_lshrrev_b32_e32 v34, s29, v34
	v_mul_lo_u32 v0, v34, s30
	v_sub_nc_u32_e32 v0, v35, v0
	v_mad_u64_u32 v[34:35], null, v0, s19, s[12:13]
	v_mov_b32_e32 v35, v13
	s_and_saveexec_b32 s17, s10
	s_cbranch_execz .LBB52_194
; %bb.190:
	v_cmp_ne_u32_e32 vcc_lo, 1, v36
	s_cbranch_vccnz .LBB52_192
; %bb.191:
	v_add_nc_u32_e32 v0, v34, v190
	v_ashrrev_i32_e32 v1, 31, v0
	v_lshlrev_b64 v[0:1], 1, v[0:1]
	v_add_co_u32 v0, vcc_lo, s46, v0
	v_add_co_ci_u32_e64 v1, null, s47, v1, vcc_lo
	global_load_ushort v0, v[0:1], off
	s_waitcnt vmcnt(0)
	v_cvt_f32_f16_e32 v0, v0
	v_mul_f32_e32 v35, v141, v0
	s_branch .LBB52_193
.LBB52_192:
	v_mov_b32_e32 v35, 0
.LBB52_193:
	v_add_f32_e32 v114, v114, v35
	v_max_f32_e32 v1, v13, v13
	v_add_f32_e32 v0, 0x40051340, v114
	v_max_f32_e32 v35, v1, v0
.LBB52_194:
	s_or_b32 exec_lo, exec_lo, s17
	s_and_saveexec_b32 s17, s11
	s_cbranch_execz .LBB52_199
; %bb.195:
	v_cmp_ne_u32_e32 vcc_lo, 1, v36
	s_cbranch_vccnz .LBB52_197
; %bb.196:
	v_ashrrev_i32_e32 v1, 31, v34
	v_add_co_u32 v0, vcc_lo, v34, v190
	v_add_co_ci_u32_e64 v1, null, 0, v1, vcc_lo
	v_lshlrev_b64 v[0:1], 1, v[0:1]
	v_add_co_u32 v0, vcc_lo, s46, v0
	v_add_co_ci_u32_e64 v1, null, s47, v1, vcc_lo
	global_load_ushort v0, v[0:1], off offset:64
	s_waitcnt vmcnt(0)
	v_cvt_f32_f16_e32 v0, v0
	v_mul_f32_e32 v34, v141, v0
	s_branch .LBB52_198
.LBB52_197:
	v_mov_b32_e32 v34, 0
.LBB52_198:
	v_add_f32_e32 v82, v82, v34
	v_max_f32_e32 v1, v35, v35
	v_add_f32_e32 v0, 0x40051340, v82
	v_max_f32_e32 v35, v1, v0
.LBB52_199:
	s_or_b32 exec_lo, exec_lo, s17
	ds_bpermute_b32 v0, v49, v35
	v_max_f32_e32 v1, v35, v35
	buffer_load_dword v35, off, s[0:3], 0 offset:84 ; 4-byte Folded Reload
	s_waitcnt lgkmcnt(0)
	v_max_f32_e32 v0, v0, v0
	v_max_f32_e32 v0, v1, v0
	ds_bpermute_b32 v1, v50, v0
	s_waitcnt lgkmcnt(0)
	v_max_f32_e32 v1, v1, v1
	v_max_f32_e32 v0, v0, v1
	ds_bpermute_b32 v1, v51, v0
	s_waitcnt lgkmcnt(0)
	v_max_f32_e32 v1, v1, v1
	v_max_f32_e32 v0, v0, v1
	ds_bpermute_b32 v1, v52, v0
	s_waitcnt lgkmcnt(0)
	v_max_f32_e32 v1, v1, v1
	v_max_f32_e32 v45, v0, v1
	ds_bpermute_b32 v75, v53, v45
	s_waitcnt vmcnt(0)
	v_mul_hi_u32 v34, s28, v35
	v_add_nc_u32_e32 v34, v35, v34
	v_lshrrev_b32_e32 v34, s29, v34
	v_mul_lo_u32 v0, v34, s30
	v_sub_nc_u32_e32 v0, v35, v0
	v_mad_u64_u32 v[34:35], null, v0, s19, s[12:13]
	v_mov_b32_e32 v35, v14
	s_and_saveexec_b32 s17, s10
	s_cbranch_execz .LBB52_204
; %bb.200:
	v_cmp_ne_u32_e32 vcc_lo, 1, v36
	s_cbranch_vccnz .LBB52_202
; %bb.201:
	v_add_nc_u32_e32 v0, v34, v190
	v_ashrrev_i32_e32 v1, 31, v0
	v_lshlrev_b64 v[0:1], 1, v[0:1]
	v_add_co_u32 v0, vcc_lo, s46, v0
	v_add_co_ci_u32_e64 v1, null, s47, v1, vcc_lo
	global_load_ushort v0, v[0:1], off
	s_waitcnt vmcnt(0)
	v_cvt_f32_f16_e32 v0, v0
	v_mul_f32_e32 v35, v141, v0
	s_branch .LBB52_203
.LBB52_202:
	v_mov_b32_e32 v35, 0
.LBB52_203:
	v_add_f32_e32 v112, v112, v35
	v_max_f32_e32 v1, v14, v14
	v_add_f32_e32 v0, 0x40051340, v112
	v_max_f32_e32 v35, v1, v0
.LBB52_204:
	s_or_b32 exec_lo, exec_lo, s17
	s_and_saveexec_b32 s17, s11
	s_cbranch_execz .LBB52_209
; %bb.205:
	v_cmp_ne_u32_e32 vcc_lo, 1, v36
	s_cbranch_vccnz .LBB52_207
; %bb.206:
	v_ashrrev_i32_e32 v1, 31, v34
	v_add_co_u32 v0, vcc_lo, v34, v190
	v_add_co_ci_u32_e64 v1, null, 0, v1, vcc_lo
	v_lshlrev_b64 v[0:1], 1, v[0:1]
	v_add_co_u32 v0, vcc_lo, s46, v0
	v_add_co_ci_u32_e64 v1, null, s47, v1, vcc_lo
	global_load_ushort v0, v[0:1], off offset:64
	s_waitcnt vmcnt(0)
	v_cvt_f32_f16_e32 v0, v0
	v_mul_f32_e32 v34, v141, v0
	s_branch .LBB52_208
.LBB52_207:
	v_mov_b32_e32 v34, 0
.LBB52_208:
	v_add_f32_e32 v81, v81, v34
	v_max_f32_e32 v1, v35, v35
	v_add_f32_e32 v0, 0x40051340, v81
	v_max_f32_e32 v35, v1, v0
.LBB52_209:
	s_or_b32 exec_lo, exec_lo, s17
	ds_bpermute_b32 v0, v49, v35
	v_max_f32_e32 v1, v35, v35
	buffer_load_dword v35, off, s[0:3], 0 offset:80 ; 4-byte Folded Reload
	s_waitcnt lgkmcnt(0)
	v_max_f32_e32 v0, v0, v0
	v_max_f32_e32 v0, v1, v0
	ds_bpermute_b32 v1, v50, v0
	s_waitcnt lgkmcnt(0)
	v_max_f32_e32 v1, v1, v1
	v_max_f32_e32 v0, v0, v1
	ds_bpermute_b32 v1, v51, v0
	;; [unrolled: 4-line block ×4, first 2 shown]
	s_waitcnt vmcnt(0)
	v_mul_hi_u32 v34, s28, v35
	v_add_nc_u32_e32 v34, v35, v34
	v_lshrrev_b32_e32 v34, s29, v34
	v_mul_lo_u32 v0, v34, s30
	v_sub_nc_u32_e32 v0, v35, v0
	v_mad_u64_u32 v[34:35], null, v0, s19, s[12:13]
	v_mov_b32_e32 v35, v15
	s_and_saveexec_b32 s17, s10
	s_cbranch_execz .LBB52_214
; %bb.210:
	v_cmp_ne_u32_e32 vcc_lo, 1, v36
	s_cbranch_vccnz .LBB52_212
; %bb.211:
	v_add_nc_u32_e32 v0, v34, v190
	v_ashrrev_i32_e32 v1, 31, v0
	v_lshlrev_b64 v[0:1], 1, v[0:1]
	v_add_co_u32 v0, vcc_lo, s46, v0
	v_add_co_ci_u32_e64 v1, null, s47, v1, vcc_lo
	global_load_ushort v0, v[0:1], off
	s_waitcnt vmcnt(0)
	v_cvt_f32_f16_e32 v0, v0
	v_mul_f32_e32 v35, v141, v0
	s_branch .LBB52_213
.LBB52_212:
	v_mov_b32_e32 v35, 0
.LBB52_213:
	v_add_f32_e32 v110, v110, v35
	v_max_f32_e32 v1, v15, v15
	v_add_f32_e32 v0, 0x40051340, v110
	v_max_f32_e32 v35, v1, v0
.LBB52_214:
	s_or_b32 exec_lo, exec_lo, s17
	s_and_saveexec_b32 s17, s11
	s_cbranch_execz .LBB52_219
; %bb.215:
	v_cmp_ne_u32_e32 vcc_lo, 1, v36
	s_cbranch_vccnz .LBB52_217
; %bb.216:
	v_ashrrev_i32_e32 v1, 31, v34
	v_add_co_u32 v0, vcc_lo, v34, v190
	v_add_co_ci_u32_e64 v1, null, 0, v1, vcc_lo
	v_lshlrev_b64 v[0:1], 1, v[0:1]
	v_add_co_u32 v0, vcc_lo, s46, v0
	v_add_co_ci_u32_e64 v1, null, s47, v1, vcc_lo
	global_load_ushort v0, v[0:1], off offset:64
	s_waitcnt vmcnt(0)
	v_cvt_f32_f16_e32 v0, v0
	v_mul_f32_e32 v34, v141, v0
	s_branch .LBB52_218
.LBB52_217:
	v_mov_b32_e32 v34, 0
.LBB52_218:
	v_add_f32_e32 v80, v80, v34
	v_max_f32_e32 v1, v35, v35
	v_add_f32_e32 v0, 0x40051340, v80
	v_max_f32_e32 v35, v1, v0
.LBB52_219:
	s_or_b32 exec_lo, exec_lo, s17
	ds_bpermute_b32 v0, v49, v35
	v_max_f32_e32 v1, v35, v35
	buffer_load_dword v35, off, s[0:3], 0 offset:76 ; 4-byte Folded Reload
	s_waitcnt lgkmcnt(0)
	v_max_f32_e32 v0, v0, v0
	v_max_f32_e32 v0, v1, v0
	ds_bpermute_b32 v1, v50, v0
	s_waitcnt lgkmcnt(0)
	v_max_f32_e32 v1, v1, v1
	v_max_f32_e32 v0, v0, v1
	ds_bpermute_b32 v1, v51, v0
	;; [unrolled: 4-line block ×4, first 2 shown]
	s_waitcnt vmcnt(0)
	v_mul_hi_u32 v34, s28, v35
	v_add_nc_u32_e32 v34, v35, v34
	v_lshrrev_b32_e32 v34, s29, v34
	v_mul_lo_u32 v0, v34, s30
	v_sub_nc_u32_e32 v0, v35, v0
	v_mad_u64_u32 v[34:35], null, v0, s19, s[12:13]
	v_mov_b32_e32 v35, v16
	s_and_saveexec_b32 s17, s10
	s_cbranch_execz .LBB52_224
; %bb.220:
	v_cmp_ne_u32_e32 vcc_lo, 1, v36
	s_cbranch_vccnz .LBB52_222
; %bb.221:
	v_add_nc_u32_e32 v0, v34, v190
	v_ashrrev_i32_e32 v1, 31, v0
	v_lshlrev_b64 v[0:1], 1, v[0:1]
	v_add_co_u32 v0, vcc_lo, s46, v0
	v_add_co_ci_u32_e64 v1, null, s47, v1, vcc_lo
	global_load_ushort v0, v[0:1], off
	s_waitcnt vmcnt(0)
	v_cvt_f32_f16_e32 v0, v0
	v_mul_f32_e32 v35, v141, v0
	s_branch .LBB52_223
.LBB52_222:
	v_mov_b32_e32 v35, 0
.LBB52_223:
	v_add_f32_e32 v108, v108, v35
	v_max_f32_e32 v1, v16, v16
	v_add_f32_e32 v0, 0x40051340, v108
	v_max_f32_e32 v35, v1, v0
.LBB52_224:
	s_or_b32 exec_lo, exec_lo, s17
	s_and_saveexec_b32 s17, s11
	s_cbranch_execz .LBB52_229
; %bb.225:
	v_cmp_ne_u32_e32 vcc_lo, 1, v36
	s_cbranch_vccnz .LBB52_227
; %bb.226:
	v_ashrrev_i32_e32 v1, 31, v34
	v_add_co_u32 v0, vcc_lo, v34, v190
	v_add_co_ci_u32_e64 v1, null, 0, v1, vcc_lo
	v_lshlrev_b64 v[0:1], 1, v[0:1]
	v_add_co_u32 v0, vcc_lo, s46, v0
	v_add_co_ci_u32_e64 v1, null, s47, v1, vcc_lo
	global_load_ushort v0, v[0:1], off offset:64
	s_waitcnt vmcnt(0)
	v_cvt_f32_f16_e32 v0, v0
	v_mul_f32_e32 v34, v141, v0
	s_branch .LBB52_228
.LBB52_227:
	v_mov_b32_e32 v34, 0
.LBB52_228:
	v_add_f32_e32 v79, v79, v34
	v_max_f32_e32 v1, v35, v35
	v_add_f32_e32 v0, 0x40051340, v79
	v_max_f32_e32 v35, v1, v0
.LBB52_229:
	s_or_b32 exec_lo, exec_lo, s17
	ds_bpermute_b32 v0, v49, v35
	v_max_f32_e32 v1, v35, v35
	v_mul_hi_u32 v34, s28, v113
	v_mov_b32_e32 v91, v17
	v_add_nc_u32_e32 v34, v113, v34
	v_lshrrev_b32_e32 v34, s29, v34
	s_waitcnt lgkmcnt(0)
	v_max_f32_e32 v0, v0, v0
	v_max_f32_e32 v0, v1, v0
	ds_bpermute_b32 v1, v50, v0
	s_waitcnt lgkmcnt(0)
	v_max_f32_e32 v1, v1, v1
	v_max_f32_e32 v0, v0, v1
	ds_bpermute_b32 v1, v51, v0
	;; [unrolled: 4-line block ×3, first 2 shown]
	s_waitcnt lgkmcnt(0)
	v_max_f32_e32 v1, v1, v1
	v_max_f32_e32 v48, v0, v1
	v_mul_lo_u32 v0, v34, s30
	ds_bpermute_b32 v92, v53, v48
	v_sub_nc_u32_e32 v0, v113, v0
	v_mad_u64_u32 v[34:35], null, v0, s19, s[12:13]
	s_and_saveexec_b32 s17, s10
	s_cbranch_execz .LBB52_234
; %bb.230:
	v_cmp_ne_u32_e32 vcc_lo, 1, v36
	s_cbranch_vccnz .LBB52_232
; %bb.231:
	v_add_nc_u32_e32 v0, v34, v190
	v_ashrrev_i32_e32 v1, 31, v0
	v_lshlrev_b64 v[0:1], 1, v[0:1]
	v_add_co_u32 v0, vcc_lo, s46, v0
	v_add_co_ci_u32_e64 v1, null, s47, v1, vcc_lo
	global_load_ushort v0, v[0:1], off
	s_waitcnt vmcnt(0)
	v_cvt_f32_f16_e32 v0, v0
	v_mul_f32_e32 v35, v141, v0
	s_branch .LBB52_233
.LBB52_232:
	v_mov_b32_e32 v35, 0
.LBB52_233:
	v_add_f32_e32 v106, v106, v35
	v_max_f32_e32 v1, v17, v17
	v_add_f32_e32 v0, 0x40051340, v106
	v_max_f32_e32 v91, v1, v0
.LBB52_234:
	s_or_b32 exec_lo, exec_lo, s17
	s_and_saveexec_b32 s10, s11
	s_cbranch_execz .LBB52_239
; %bb.235:
	v_cmp_ne_u32_e32 vcc_lo, 1, v36
	s_cbranch_vccnz .LBB52_237
; %bb.236:
	v_ashrrev_i32_e32 v1, 31, v34
	v_add_co_u32 v0, vcc_lo, v34, v190
	v_add_co_ci_u32_e64 v1, null, 0, v1, vcc_lo
	v_lshlrev_b64 v[0:1], 1, v[0:1]
	v_add_co_u32 v0, vcc_lo, s46, v0
	v_add_co_ci_u32_e64 v1, null, s47, v1, vcc_lo
	global_load_ushort v0, v[0:1], off offset:64
	s_waitcnt vmcnt(0)
	v_cvt_f32_f16_e32 v0, v0
	v_mul_f32_e32 v34, v141, v0
	s_branch .LBB52_238
.LBB52_237:
	v_mov_b32_e32 v34, 0
.LBB52_238:
	v_add_f32_e32 v78, v78, v34
	v_max_f32_e32 v1, v91, v91
	v_add_f32_e32 v0, 0x40051340, v78
	v_max_f32_e32 v91, v1, v0
.LBB52_239:
	s_or_b32 exec_lo, exec_lo, s10
	s_waitcnt lgkmcnt(0)
	v_max_f32_e32 v0, v92, v92
	v_max_f32_e32 v1, v48, v48
	v_cmp_gt_u32_e32 vcc_lo, s16, v190
	s_barrier
	buffer_gl0_inv
	v_max_f32_e32 v48, v1, v0
	v_max_f32_e32 v0, v77, v77
	v_max_f32_e32 v1, v47, v47
	v_max_f32_e32 v47, v1, v0
	v_max_f32_e32 v0, v76, v76
	v_max_f32_e32 v1, v46, v46
	v_max_f32_e32 v46, v1, v0
	v_max_f32_e32 v0, v75, v75
	v_max_f32_e32 v1, v45, v45
	v_max_f32_e32 v45, v1, v0
	v_max_f32_e32 v0, v74, v74
	v_max_f32_e32 v1, v44, v44
	v_max_f32_e32 v44, v1, v0
	v_max_f32_e32 v0, v73, v73
	v_max_f32_e32 v1, v43, v43
	v_max_f32_e32 v43, v1, v0
	v_max_f32_e32 v0, v72, v72
	v_max_f32_e32 v1, v42, v42
	v_max_f32_e32 v42, v1, v0
	v_max_f32_e32 v0, v65, v65
	v_max_f32_e32 v1, v41, v41
	v_max_f32_e32 v41, v1, v0
	v_max_f32_e32 v0, v64, v64
	v_max_f32_e32 v1, v40, v40
	v_max_f32_e32 v40, v1, v0
	v_max_f32_e32 v0, v63, v63
	v_max_f32_e32 v1, v39, v39
	v_max_f32_e32 v39, v1, v0
	v_max_f32_e32 v0, v62, v62
	v_max_f32_e32 v1, v38, v38
	v_max_f32_e32 v38, v1, v0
	v_max_f32_e32 v0, v61, v61
	v_max_f32_e32 v1, v37, v37
	v_max_f32_e32 v37, v1, v0
	v_max_f32_e32 v0, v60, v60
	v_max_f32_e32 v1, v59, v59
	v_max_f32_e32 v36, v1, v0
	v_max_f32_e32 v0, v57, v57
	v_max_f32_e32 v1, v56, v56
	v_max_f32_e32 v35, v1, v0
	v_max_f32_e32 v0, v55, v55
	v_max_f32_e32 v1, v54, v54
	v_max_f32_e32 v34, v1, v0
	ds_bpermute_b32 v0, v49, v91
	v_max_f32_e32 v1, v91, v91
	s_waitcnt lgkmcnt(0)
	v_max_f32_e32 v0, v0, v0
	v_max_f32_e32 v0, v1, v0
	ds_bpermute_b32 v1, v50, v0
	s_waitcnt lgkmcnt(0)
	v_max_f32_e32 v1, v1, v1
	v_max_f32_e32 v0, v0, v1
	ds_bpermute_b32 v1, v51, v0
	;; [unrolled: 4-line block ×4, first 2 shown]
	s_waitcnt lgkmcnt(0)
	v_max_f32_e32 v1, v1, v1
	v_max_f32_e32 v49, v0, v1
	v_sub_f32_e32 v1, v188, v34
	v_sub_f32_e32 v0, v2, v34
	v_mul_f32_e32 v2, 0x3fb8aa3b, v1
	v_cmp_ngt_f32_e64 s10, 0xc2ce8ed0, v1
	v_fma_f32 v50, 0x3fb8aa3b, v1, -v2
	v_rndne_f32_e32 v51, v2
	v_fmac_f32_e32 v50, 0x32a5705f, v1
	v_sub_f32_e32 v2, v2, v51
	v_add_f32_e32 v2, v2, v50
	v_cvt_i32_f32_e32 v50, v51
	v_exp_f32_e32 v2, v2
	v_ldexp_f32 v2, v2, v50
	v_cndmask_b32_e64 v2, 0, v2, s10
	v_cmp_nlt_f32_e64 s10, 0x42b17218, v1
	v_cndmask_b32_e64 v1, 0x7f800000, v2, s10
	v_sub_f32_e32 v2, v102, v34
	v_cmp_gt_u32_e64 s10, s16, v58
	v_cndmask_b32_e32 v1, 0, v1, vcc_lo
	v_mul_f32_e32 v50, 0x3fb8aa3b, v2
	v_cmp_ngt_f32_e64 s11, 0xc2ce8ed0, v2
	v_cvt_f16_f32_e32 v59, v1
	v_fma_f32 v51, 0x3fb8aa3b, v2, -v50
	v_rndne_f32_e32 v52, v50
	v_fmac_f32_e32 v51, 0x32a5705f, v2
	v_sub_f32_e32 v50, v50, v52
	v_add_f32_e32 v50, v50, v51
	v_cvt_i32_f32_e32 v51, v52
	v_exp_f32_e32 v50, v50
	v_ldexp_f32 v50, v50, v51
	v_cndmask_b32_e64 v50, 0, v50, s11
	v_cmp_nlt_f32_e64 s11, 0x42b17218, v2
	v_cndmask_b32_e64 v2, 0x7f800000, v50, s11
	v_cmp_ngt_f32_e64 s11, 0xc2ce8ed0, v0
	v_cndmask_b32_e64 v2, 0, v2, s10
	v_add_f32_e32 v50, v1, v2
	v_mul_f32_e32 v1, 0x3fb8aa3b, v0
	v_cvt_f16_f32_e32 v60, v2
	v_fma_f32 v2, 0x3fb8aa3b, v0, -v1
	v_rndne_f32_e32 v51, v1
	v_fmac_f32_e32 v2, 0x32a5705f, v0
	v_sub_f32_e32 v1, v1, v51
	v_add_f32_e32 v1, v1, v2
	v_cvt_i32_f32_e32 v2, v51
	v_exp_f32_e32 v1, v1
	v_ldexp_f32 v1, v1, v2
	v_cndmask_b32_e64 v1, 0, v1, s11
	v_cmp_nlt_f32_e64 s11, 0x42b17218, v0
	v_cndmask_b32_e64 v0, 0x7f800000, v1, s11
	v_sub_f32_e32 v1, v187, v35
	v_fmac_f32_e32 v50, v18, v0
	v_cvt_f16_f32_e32 v0, v0
	v_mov_b32_e32 v18, 0x10001
	v_cmp_ngt_f32_e64 s11, 0xc2ce8ed0, v1
	v_mul_u32_u24_sdwa v0, v0, v18 dst_sel:DWORD dst_unused:UNUSED_PAD src0_sel:WORD_0 src1_sel:DWORD
	v_pk_mul_f16 v2, v178, v0
	v_sub_f32_e32 v0, v3, v35
	v_mul_f32_e32 v3, 0x3fb8aa3b, v1
	v_fma_f32 v51, 0x3fb8aa3b, v1, -v3
	v_rndne_f32_e32 v52, v3
	v_fmac_f32_e32 v51, 0x32a5705f, v1
	v_sub_f32_e32 v3, v3, v52
	v_add_f32_e32 v3, v3, v51
	v_cvt_i32_f32_e32 v51, v52
	v_exp_f32_e32 v3, v3
	v_ldexp_f32 v3, v3, v51
	v_cndmask_b32_e64 v3, 0, v3, s11
	v_cmp_nlt_f32_e64 s11, 0x42b17218, v1
	v_cndmask_b32_e64 v1, 0x7f800000, v3, s11
	v_sub_f32_e32 v3, v98, v35
	v_cndmask_b32_e32 v1, 0, v1, vcc_lo
	v_mul_f32_e32 v51, 0x3fb8aa3b, v3
	v_cmp_ngt_f32_e64 s11, 0xc2ce8ed0, v3
	v_cvt_f16_f32_e32 v61, v1
	v_fma_f32 v52, 0x3fb8aa3b, v3, -v51
	v_rndne_f32_e32 v53, v51
	v_fmac_f32_e32 v52, 0x32a5705f, v3
	v_sub_f32_e32 v51, v51, v53
	v_add_f32_e32 v51, v51, v52
	v_cvt_i32_f32_e32 v52, v53
	v_exp_f32_e32 v51, v51
	v_ldexp_f32 v51, v51, v52
	v_cndmask_b32_e64 v51, 0, v51, s11
	v_cmp_nlt_f32_e64 s11, 0x42b17218, v3
	v_cndmask_b32_e64 v3, 0x7f800000, v51, s11
	v_cmp_ngt_f32_e64 s11, 0xc2ce8ed0, v0
	v_cndmask_b32_e64 v3, 0, v3, s10
	v_add_f32_e32 v51, v1, v3
	v_cvt_f16_f32_e32 v1, v3
	v_mul_f32_e32 v3, 0x3fb8aa3b, v0
	v_fma_f32 v52, 0x3fb8aa3b, v0, -v3
	v_rndne_f32_e32 v53, v3
	v_fmac_f32_e32 v52, 0x32a5705f, v0
	v_sub_f32_e32 v3, v3, v53
	v_add_f32_e32 v3, v3, v52
	v_cvt_i32_f32_e32 v52, v53
	v_exp_f32_e32 v3, v3
	v_ldexp_f32 v3, v3, v52
	v_cndmask_b32_e64 v3, 0, v3, s11
	v_cmp_nlt_f32_e64 s11, 0x42b17218, v0
	v_cndmask_b32_e64 v0, 0x7f800000, v3, s11
	v_fmac_f32_e32 v51, v19, v0
	v_cvt_f16_f32_e32 v0, v0
	v_mul_u32_u24_sdwa v0, v0, v18 dst_sel:DWORD dst_unused:UNUSED_PAD src0_sel:WORD_0 src1_sel:DWORD
	v_pk_mul_f16 v3, v177, v0
	v_sub_f32_e32 v0, v4, v36
	v_sub_f32_e32 v4, v120, v36
	v_mul_f32_e32 v19, 0x3fb8aa3b, v4
	v_cmp_ngt_f32_e64 s11, 0xc2ce8ed0, v4
	v_fma_f32 v52, 0x3fb8aa3b, v4, -v19
	v_rndne_f32_e32 v53, v19
	v_fmac_f32_e32 v52, 0x32a5705f, v4
	v_sub_f32_e32 v19, v19, v53
	v_add_f32_e32 v19, v19, v52
	v_cvt_i32_f32_e32 v52, v53
	v_exp_f32_e32 v19, v19
	v_ldexp_f32 v19, v19, v52
	v_cndmask_b32_e64 v19, 0, v19, s11
	v_cmp_nlt_f32_e64 s11, 0x42b17218, v4
	v_cndmask_b32_e64 v4, 0x7f800000, v19, s11
	v_sub_f32_e32 v19, v94, v36
	v_cndmask_b32_e32 v4, 0, v4, vcc_lo
	v_mul_f32_e32 v52, 0x3fb8aa3b, v19
	v_cmp_ngt_f32_e64 s11, 0xc2ce8ed0, v19
	v_cvt_f16_f32_e32 v62, v4
	v_fma_f32 v53, 0x3fb8aa3b, v19, -v52
	v_rndne_f32_e32 v54, v52
	v_fmac_f32_e32 v53, 0x32a5705f, v19
	v_sub_f32_e32 v52, v52, v54
	v_add_f32_e32 v52, v52, v53
	v_cvt_i32_f32_e32 v53, v54
	v_exp_f32_e32 v52, v52
	v_ldexp_f32 v52, v52, v53
	v_cndmask_b32_e64 v52, 0, v52, s11
	v_cmp_nlt_f32_e64 s11, 0x42b17218, v19
	v_cndmask_b32_e64 v19, 0x7f800000, v52, s11
	v_cmp_ngt_f32_e64 s11, 0xc2ce8ed0, v0
	v_cndmask_b32_e64 v19, 0, v19, s10
	v_add_f32_e32 v52, v4, v19
	v_mul_f32_e32 v4, 0x3fb8aa3b, v0
	v_cvt_f16_f32_e32 v63, v19
	v_fma_f32 v19, 0x3fb8aa3b, v0, -v4
	v_rndne_f32_e32 v53, v4
	v_fmac_f32_e32 v19, 0x32a5705f, v0
	v_sub_f32_e32 v4, v4, v53
	v_add_f32_e32 v4, v4, v19
	v_cvt_i32_f32_e32 v19, v53
	v_exp_f32_e32 v4, v4
	v_ldexp_f32 v4, v4, v19
	v_cndmask_b32_e64 v4, 0, v4, s11
	v_cmp_nlt_f32_e64 s11, 0x42b17218, v0
	v_cndmask_b32_e64 v0, 0x7f800000, v4, s11
	v_fmac_f32_e32 v52, v20, v0
	v_cvt_f16_f32_e32 v0, v0
	v_mul_u32_u24_sdwa v0, v0, v18 dst_sel:DWORD dst_unused:UNUSED_PAD src0_sel:WORD_0 src1_sel:DWORD
	v_pk_mul_f16 v4, v176, v0
	v_sub_f32_e32 v0, v5, v37
	v_sub_f32_e32 v5, v186, v37
	v_mul_f32_e32 v19, 0x3fb8aa3b, v5
	v_cmp_ngt_f32_e64 s11, 0xc2ce8ed0, v5
	v_fma_f32 v20, 0x3fb8aa3b, v5, -v19
	v_rndne_f32_e32 v53, v19
	v_fmac_f32_e32 v20, 0x32a5705f, v5
	v_sub_f32_e32 v19, v19, v53
	v_add_f32_e32 v19, v19, v20
	v_cvt_i32_f32_e32 v20, v53
	v_exp_f32_e32 v19, v19
	v_ldexp_f32 v19, v19, v20
	v_cndmask_b32_e64 v19, 0, v19, s11
	v_cmp_nlt_f32_e64 s11, 0x42b17218, v5
	v_cndmask_b32_e64 v5, 0x7f800000, v19, s11
	v_sub_f32_e32 v19, v90, v37
	v_cndmask_b32_e32 v5, 0, v5, vcc_lo
	v_mul_f32_e32 v53, 0x3fb8aa3b, v19
	v_cmp_ngt_f32_e64 s11, 0xc2ce8ed0, v19
	v_cvt_f16_f32_e32 v20, v5
	v_fma_f32 v54, 0x3fb8aa3b, v19, -v53
	v_rndne_f32_e32 v55, v53
	v_fmac_f32_e32 v54, 0x32a5705f, v19
	v_sub_f32_e32 v53, v53, v55
	v_add_f32_e32 v53, v53, v54
	v_cvt_i32_f32_e32 v54, v55
	v_exp_f32_e32 v53, v53
	v_ldexp_f32 v53, v53, v54
	v_cndmask_b32_e64 v53, 0, v53, s11
	v_cmp_nlt_f32_e64 s11, 0x42b17218, v19
	v_cndmask_b32_e64 v19, 0x7f800000, v53, s11
	v_cmp_ngt_f32_e64 s11, 0xc2ce8ed0, v0
	v_cndmask_b32_e64 v19, 0, v19, s10
	v_add_f32_e32 v53, v5, v19
	v_mul_f32_e32 v5, 0x3fb8aa3b, v0
	v_cvt_f16_f32_e32 v64, v19
	v_fma_f32 v19, 0x3fb8aa3b, v0, -v5
	v_rndne_f32_e32 v54, v5
	v_fmac_f32_e32 v19, 0x32a5705f, v0
	v_sub_f32_e32 v5, v5, v54
	v_add_f32_e32 v5, v5, v19
	v_cvt_i32_f32_e32 v19, v54
	v_exp_f32_e32 v5, v5
	v_ldexp_f32 v5, v5, v19
	v_cndmask_b32_e64 v5, 0, v5, s11
	v_cmp_nlt_f32_e64 s11, 0x42b17218, v0
	v_cndmask_b32_e64 v0, 0x7f800000, v5, s11
	v_fmac_f32_e32 v53, v21, v0
	v_cvt_f16_f32_e32 v0, v0
	v_mul_u32_u24_sdwa v0, v0, v18 dst_sel:DWORD dst_unused:UNUSED_PAD src0_sel:WORD_0 src1_sel:DWORD
	v_pk_mul_f16 v5, v175, v0
	v_sub_f32_e32 v0, v6, v38
	v_sub_f32_e32 v6, v185, v38
	v_mul_f32_e32 v19, 0x3fb8aa3b, v6
	v_cmp_ngt_f32_e64 s11, 0xc2ce8ed0, v6
	v_fma_f32 v21, 0x3fb8aa3b, v6, -v19
	v_rndne_f32_e32 v54, v19
	v_fmac_f32_e32 v21, 0x32a5705f, v6
	v_sub_f32_e32 v19, v19, v54
	v_add_f32_e32 v19, v19, v21
	v_cvt_i32_f32_e32 v21, v54
	v_exp_f32_e32 v19, v19
	v_ldexp_f32 v19, v19, v21
	v_cndmask_b32_e64 v19, 0, v19, s11
	v_cmp_nlt_f32_e64 s11, 0x42b17218, v6
	v_cndmask_b32_e64 v6, 0x7f800000, v19, s11
	v_sub_f32_e32 v19, v89, v38
	v_cndmask_b32_e32 v6, 0, v6, vcc_lo
	v_mul_f32_e32 v54, 0x3fb8aa3b, v19
	v_cmp_ngt_f32_e64 s11, 0xc2ce8ed0, v19
	v_cvt_f16_f32_e32 v21, v6
	v_fma_f32 v55, 0x3fb8aa3b, v19, -v54
	v_rndne_f32_e32 v56, v54
	v_fmac_f32_e32 v55, 0x32a5705f, v19
	v_sub_f32_e32 v54, v54, v56
	v_add_f32_e32 v54, v54, v55
	v_cvt_i32_f32_e32 v55, v56
	v_exp_f32_e32 v54, v54
	v_ldexp_f32 v54, v54, v55
	v_cndmask_b32_e64 v54, 0, v54, s11
	v_cmp_nlt_f32_e64 s11, 0x42b17218, v19
	v_cndmask_b32_e64 v19, 0x7f800000, v54, s11
	v_cmp_ngt_f32_e64 s11, 0xc2ce8ed0, v0
	v_cndmask_b32_e64 v19, 0, v19, s10
	v_add_f32_e32 v54, v6, v19
	v_mul_f32_e32 v6, 0x3fb8aa3b, v0
	v_cvt_f16_f32_e32 v65, v19
	v_fma_f32 v19, 0x3fb8aa3b, v0, -v6
	v_rndne_f32_e32 v55, v6
	v_fmac_f32_e32 v19, 0x32a5705f, v0
	v_sub_f32_e32 v6, v6, v55
	v_add_f32_e32 v6, v6, v19
	v_cvt_i32_f32_e32 v19, v55
	v_exp_f32_e32 v6, v6
	v_ldexp_f32 v6, v6, v19
	v_cndmask_b32_e64 v6, 0, v6, s11
	v_cmp_nlt_f32_e64 s11, 0x42b17218, v0
	v_cndmask_b32_e64 v0, 0x7f800000, v6, s11
	v_fmac_f32_e32 v54, v22, v0
	v_cvt_f16_f32_e32 v0, v0
	v_mul_u32_u24_sdwa v0, v0, v18 dst_sel:DWORD dst_unused:UNUSED_PAD src0_sel:WORD_0 src1_sel:DWORD
	v_pk_mul_f16 v6, v174, v0
	v_sub_f32_e32 v0, v7, v39
	v_sub_f32_e32 v7, v184, v39
	v_mul_f32_e32 v19, 0x3fb8aa3b, v7
	v_cmp_ngt_f32_e64 s11, 0xc2ce8ed0, v7
	v_fma_f32 v22, 0x3fb8aa3b, v7, -v19
	v_rndne_f32_e32 v55, v19
	v_fmac_f32_e32 v22, 0x32a5705f, v7
	v_sub_f32_e32 v19, v19, v55
	v_add_f32_e32 v19, v19, v22
	v_cvt_i32_f32_e32 v22, v55
	v_exp_f32_e32 v19, v19
	v_ldexp_f32 v19, v19, v22
	v_cndmask_b32_e64 v19, 0, v19, s11
	v_cmp_nlt_f32_e64 s11, 0x42b17218, v7
	v_cndmask_b32_e64 v7, 0x7f800000, v19, s11
	v_sub_f32_e32 v19, v88, v39
	v_cndmask_b32_e32 v7, 0, v7, vcc_lo
	v_mul_f32_e32 v55, 0x3fb8aa3b, v19
	v_cmp_ngt_f32_e64 s11, 0xc2ce8ed0, v19
	v_cvt_f16_f32_e32 v22, v7
	v_fma_f32 v56, 0x3fb8aa3b, v19, -v55
	v_rndne_f32_e32 v57, v55
	v_pack_b32_f16 v22, v21, v22
	v_fmac_f32_e32 v56, 0x32a5705f, v19
	v_sub_f32_e32 v55, v55, v57
	v_pack_b32_f16 v21, v62, v20
	v_pack_b32_f16 v20, v59, v61
	v_add_f32_e32 v55, v55, v56
	v_cvt_i32_f32_e32 v56, v57
	v_exp_f32_e32 v55, v55
	v_ldexp_f32 v55, v55, v56
	v_cndmask_b32_e64 v55, 0, v55, s11
	v_cmp_nlt_f32_e64 s11, 0x42b17218, v19
	v_cndmask_b32_e64 v19, 0x7f800000, v55, s11
	v_cmp_ngt_f32_e64 s11, 0xc2ce8ed0, v0
	v_cndmask_b32_e64 v19, 0, v19, s10
	v_add_f32_e32 v55, v7, v19
	v_mul_f32_e32 v7, 0x3fb8aa3b, v0
	v_cvt_f16_f32_e32 v72, v19
	v_fma_f32 v19, 0x3fb8aa3b, v0, -v7
	v_rndne_f32_e32 v56, v7
	v_fmac_f32_e32 v19, 0x32a5705f, v0
	v_sub_f32_e32 v7, v7, v56
	v_add_f32_e32 v7, v7, v19
	v_cvt_i32_f32_e32 v19, v56
	v_exp_f32_e32 v7, v7
	v_ldexp_f32 v7, v7, v19
	v_cndmask_b32_e64 v7, 0, v7, s11
	v_cmp_nlt_f32_e64 s11, 0x42b17218, v0
	v_cndmask_b32_e64 v0, 0x7f800000, v7, s11
	v_fmac_f32_e32 v55, v23, v0
	v_cvt_f16_f32_e32 v0, v0
	v_mul_u32_u24_sdwa v0, v0, v18 dst_sel:DWORD dst_unused:UNUSED_PAD src0_sel:WORD_0 src1_sel:DWORD
	v_pk_mul_f16 v7, v173, v0
	v_sub_f32_e32 v0, v8, v40
	v_sub_f32_e32 v8, v183, v40
	v_mul_f32_e32 v19, 0x3fb8aa3b, v8
	v_cmp_ngt_f32_e64 s11, 0xc2ce8ed0, v8
	v_fma_f32 v23, 0x3fb8aa3b, v8, -v19
	v_rndne_f32_e32 v56, v19
	v_fmac_f32_e32 v23, 0x32a5705f, v8
	v_sub_f32_e32 v19, v19, v56
	v_add_f32_e32 v19, v19, v23
	v_cvt_i32_f32_e32 v23, v56
	v_exp_f32_e32 v19, v19
	v_ldexp_f32 v19, v19, v23
	v_cndmask_b32_e64 v19, 0, v19, s11
	v_cmp_nlt_f32_e64 s11, 0x42b17218, v8
	v_cndmask_b32_e64 v8, 0x7f800000, v19, s11
	v_sub_f32_e32 v19, v87, v40
	v_cndmask_b32_e32 v8, 0, v8, vcc_lo
	v_mul_f32_e32 v56, 0x3fb8aa3b, v19
	v_cmp_ngt_f32_e64 s11, 0xc2ce8ed0, v19
	v_cvt_f16_f32_e32 v23, v8
	v_fma_f32 v57, 0x3fb8aa3b, v19, -v56
	v_rndne_f32_e32 v73, v56
	v_fmac_f32_e32 v57, 0x32a5705f, v19
	v_sub_f32_e32 v56, v56, v73
	v_add_f32_e32 v56, v56, v57
	v_cvt_i32_f32_e32 v57, v73
	v_exp_f32_e32 v56, v56
	v_ldexp_f32 v56, v56, v57
	v_cndmask_b32_e64 v56, 0, v56, s11
	v_cmp_nlt_f32_e64 s11, 0x42b17218, v19
	v_cndmask_b32_e64 v19, 0x7f800000, v56, s11
	v_cmp_ngt_f32_e64 s11, 0xc2ce8ed0, v0
	v_cndmask_b32_e64 v19, 0, v19, s10
	v_add_f32_e32 v56, v8, v19
	v_mul_f32_e32 v8, 0x3fb8aa3b, v0
	v_cvt_f16_f32_e32 v73, v19
	v_fma_f32 v19, 0x3fb8aa3b, v0, -v8
	v_rndne_f32_e32 v57, v8
	v_fmac_f32_e32 v19, 0x32a5705f, v0
	v_sub_f32_e32 v8, v8, v57
	v_add_f32_e32 v8, v8, v19
	v_cvt_i32_f32_e32 v19, v57
	v_exp_f32_e32 v8, v8
	v_ldexp_f32 v8, v8, v19
	v_cndmask_b32_e64 v8, 0, v8, s11
	v_cmp_nlt_f32_e64 s11, 0x42b17218, v0
	v_cndmask_b32_e64 v0, 0x7f800000, v8, s11
	v_fmac_f32_e32 v56, v24, v0
	v_cvt_f16_f32_e32 v0, v0
	v_mul_u32_u24_sdwa v0, v0, v18 dst_sel:DWORD dst_unused:UNUSED_PAD src0_sel:WORD_0 src1_sel:DWORD
	v_pk_mul_f16 v8, v172, v0
	v_sub_f32_e32 v0, v9, v41
	v_sub_f32_e32 v9, v182, v41
	v_mul_f32_e32 v19, 0x3fb8aa3b, v9
	v_cmp_ngt_f32_e64 s11, 0xc2ce8ed0, v9
	v_fma_f32 v24, 0x3fb8aa3b, v9, -v19
	v_rndne_f32_e32 v57, v19
	v_fmac_f32_e32 v24, 0x32a5705f, v9
	v_sub_f32_e32 v19, v19, v57
	v_add_f32_e32 v19, v19, v24
	v_cvt_i32_f32_e32 v24, v57
	v_exp_f32_e32 v19, v19
	v_ldexp_f32 v19, v19, v24
	v_cndmask_b32_e64 v19, 0, v19, s11
	v_cmp_nlt_f32_e64 s11, 0x42b17218, v9
	v_cndmask_b32_e64 v9, 0x7f800000, v19, s11
	v_sub_f32_e32 v19, v86, v41
	v_cndmask_b32_e32 v9, 0, v9, vcc_lo
	v_mul_f32_e32 v57, 0x3fb8aa3b, v19
	v_cmp_ngt_f32_e64 s11, 0xc2ce8ed0, v19
	v_cvt_f16_f32_e32 v24, v9
	v_fma_f32 v74, 0x3fb8aa3b, v19, -v57
	v_rndne_f32_e32 v75, v57
	v_pack_b32_f16 v23, v23, v24
	v_fmac_f32_e32 v74, 0x32a5705f, v19
	v_sub_f32_e32 v57, v57, v75
	v_add_f32_e32 v57, v57, v74
	v_cvt_i32_f32_e32 v74, v75
	v_exp_f32_e32 v57, v57
	v_ldexp_f32 v57, v57, v74
	v_cndmask_b32_e64 v57, 0, v57, s11
	v_cmp_nlt_f32_e64 s11, 0x42b17218, v19
	v_cndmask_b32_e64 v19, 0x7f800000, v57, s11
	v_cmp_ngt_f32_e64 s11, 0xc2ce8ed0, v0
	v_cndmask_b32_e64 v19, 0, v19, s10
	v_add_f32_e32 v57, v9, v19
	v_mul_f32_e32 v9, 0x3fb8aa3b, v0
	v_cvt_f16_f32_e32 v74, v19
	v_fma_f32 v19, 0x3fb8aa3b, v0, -v9
	v_rndne_f32_e32 v75, v9
	v_pack_b32_f16 v24, v73, v74
	v_fmac_f32_e32 v19, 0x32a5705f, v0
	v_sub_f32_e32 v9, v9, v75
	v_add_f32_e32 v9, v9, v19
	v_cvt_i32_f32_e32 v19, v75
	v_exp_f32_e32 v9, v9
	v_ldexp_f32 v9, v9, v19
	v_lshl_add_u32 v19, v190, 4, v142
	v_cndmask_b32_e64 v9, 0, v9, s11
	v_cmp_nlt_f32_e64 s11, 0x42b17218, v0
	ds_write_b128 v19, v[20:23]
	v_pack_b32_f16 v21, v60, v1
	v_sub_f32_e32 v1, v181, v42
	v_lshl_add_u32 v20, v58, 4, v142
	v_cndmask_b32_e64 v0, 0x7f800000, v9, s11
	v_pack_b32_f16 v23, v65, v72
	v_pack_b32_f16 v22, v63, v64
	v_cmp_ngt_f32_e64 s11, 0xc2ce8ed0, v1
	v_fmac_f32_e32 v57, v25, v0
	v_cvt_f16_f32_e32 v0, v0
	ds_write_b128 v20, v[21:24]
	v_mul_u32_u24_sdwa v0, v0, v18 dst_sel:DWORD dst_unused:UNUSED_PAD src0_sel:WORD_0 src1_sel:DWORD
	v_pk_mul_f16 v9, v171, v0
	v_sub_f32_e32 v0, v10, v42
	v_mul_f32_e32 v10, 0x3fb8aa3b, v1
	v_fma_f32 v21, 0x3fb8aa3b, v1, -v10
	v_rndne_f32_e32 v22, v10
	v_fmac_f32_e32 v21, 0x32a5705f, v1
	v_sub_f32_e32 v10, v10, v22
	v_add_f32_e32 v10, v10, v21
	v_cvt_i32_f32_e32 v21, v22
	v_exp_f32_e32 v10, v10
	v_ldexp_f32 v10, v10, v21
	v_cndmask_b32_e64 v10, 0, v10, s11
	v_cmp_nlt_f32_e64 s11, 0x42b17218, v1
	v_cndmask_b32_e64 v1, 0x7f800000, v10, s11
	v_sub_f32_e32 v10, v85, v42
	v_cndmask_b32_e32 v1, 0, v1, vcc_lo
	v_mul_f32_e32 v22, 0x3fb8aa3b, v10
	v_cmp_ngt_f32_e64 s11, 0xc2ce8ed0, v10
	v_cvt_f16_f32_e32 v21, v1
	v_fma_f32 v23, 0x3fb8aa3b, v10, -v22
	v_rndne_f32_e32 v24, v22
	v_fmac_f32_e32 v23, 0x32a5705f, v10
	v_sub_f32_e32 v22, v22, v24
	v_add_f32_e32 v22, v22, v23
	v_cvt_i32_f32_e32 v23, v24
	v_exp_f32_e32 v22, v22
	v_ldexp_f32 v22, v22, v23
	v_cndmask_b32_e64 v22, 0, v22, s11
	v_cmp_nlt_f32_e64 s11, 0x42b17218, v10
	v_cndmask_b32_e64 v10, 0x7f800000, v22, s11
	v_cmp_ngt_f32_e64 s11, 0xc2ce8ed0, v0
	v_cndmask_b32_e64 v10, 0, v10, s10
	v_add_f32_e32 v58, v1, v10
	v_cvt_f16_f32_e32 v1, v10
	v_mul_f32_e32 v10, 0x3fb8aa3b, v0
	v_fma_f32 v22, 0x3fb8aa3b, v0, -v10
	v_rndne_f32_e32 v23, v10
	v_fmac_f32_e32 v22, 0x32a5705f, v0
	v_sub_f32_e32 v10, v10, v23
	v_add_f32_e32 v10, v10, v22
	v_cvt_i32_f32_e32 v22, v23
	v_exp_f32_e32 v10, v10
	v_ldexp_f32 v10, v10, v22
	v_cndmask_b32_e64 v10, 0, v10, s11
	v_cmp_nlt_f32_e64 s11, 0x42b17218, v0
	v_cndmask_b32_e64 v0, 0x7f800000, v10, s11
	v_fmac_f32_e32 v58, v26, v0
	v_cvt_f16_f32_e32 v0, v0
	v_mul_u32_u24_sdwa v0, v0, v18 dst_sel:DWORD dst_unused:UNUSED_PAD src0_sel:WORD_0 src1_sel:DWORD
	v_pk_mul_f16 v10, v170, v0
	v_sub_f32_e32 v0, v11, v43
	v_sub_f32_e32 v11, v118, v43
	v_mul_f32_e32 v22, 0x3fb8aa3b, v11
	v_cmp_ngt_f32_e64 s11, 0xc2ce8ed0, v11
	v_fma_f32 v23, 0x3fb8aa3b, v11, -v22
	v_rndne_f32_e32 v24, v22
	v_fmac_f32_e32 v23, 0x32a5705f, v11
	v_sub_f32_e32 v22, v22, v24
	v_add_f32_e32 v22, v22, v23
	v_cvt_i32_f32_e32 v23, v24
	v_exp_f32_e32 v22, v22
	v_ldexp_f32 v22, v22, v23
	v_cndmask_b32_e64 v22, 0, v22, s11
	v_cmp_nlt_f32_e64 s11, 0x42b17218, v11
	v_cndmask_b32_e64 v11, 0x7f800000, v22, s11
	v_sub_f32_e32 v22, v84, v43
	v_cndmask_b32_e32 v11, 0, v11, vcc_lo
	v_mul_f32_e32 v23, 0x3fb8aa3b, v22
	v_cmp_ngt_f32_e64 s11, 0xc2ce8ed0, v22
	v_cvt_f16_f32_e32 v25, v11
	v_fma_f32 v24, 0x3fb8aa3b, v22, -v23
	v_rndne_f32_e32 v26, v23
	v_pack_b32_f16 v21, v21, v25
	v_fmac_f32_e32 v24, 0x32a5705f, v22
	v_sub_f32_e32 v23, v23, v26
	v_lshl_or_b32 v25, v179, 7, v107
	v_add_f32_e32 v23, v23, v24
	v_cvt_i32_f32_e32 v24, v26
	v_exp_f32_e32 v23, v23
	v_ldexp_f32 v23, v23, v24
	v_cndmask_b32_e64 v23, 0, v23, s11
	v_cmp_nlt_f32_e64 s11, 0x42b17218, v22
	v_cndmask_b32_e64 v22, 0x7f800000, v23, s11
	v_cmp_ngt_f32_e64 s11, 0xc2ce8ed0, v0
	v_cndmask_b32_e64 v22, 0, v22, s10
	v_add_f32_e32 v59, v11, v22
	v_mul_f32_e32 v11, 0x3fb8aa3b, v0
	v_cvt_f16_f32_e32 v26, v22
	v_fma_f32 v22, 0x3fb8aa3b, v0, -v11
	v_rndne_f32_e32 v23, v11
	v_fmac_f32_e32 v22, 0x32a5705f, v0
	v_sub_f32_e32 v11, v11, v23
	v_add_f32_e32 v11, v11, v22
	v_cvt_i32_f32_e32 v22, v23
	v_exp_f32_e32 v11, v11
	v_ldexp_f32 v11, v11, v22
	v_cndmask_b32_e64 v11, 0, v11, s11
	v_cmp_nlt_f32_e64 s11, 0x42b17218, v0
	v_cndmask_b32_e64 v0, 0x7f800000, v11, s11
	v_fmac_f32_e32 v59, v27, v0
	v_cvt_f16_f32_e32 v0, v0
	v_mul_u32_u24_sdwa v0, v0, v18 dst_sel:DWORD dst_unused:UNUSED_PAD src0_sel:WORD_0 src1_sel:DWORD
	v_pk_mul_f16 v11, v169, v0
	v_sub_f32_e32 v0, v12, v44
	v_sub_f32_e32 v12, v116, v44
	v_mul_f32_e32 v22, 0x3fb8aa3b, v12
	v_cmp_ngt_f32_e64 s11, 0xc2ce8ed0, v12
	v_fma_f32 v23, 0x3fb8aa3b, v12, -v22
	v_rndne_f32_e32 v24, v22
	v_fmac_f32_e32 v23, 0x32a5705f, v12
	v_sub_f32_e32 v22, v22, v24
	v_add_f32_e32 v22, v22, v23
	v_cvt_i32_f32_e32 v23, v24
	v_exp_f32_e32 v22, v22
	v_ldexp_f32 v22, v22, v23
	v_sub_f32_e32 v23, v83, v44
	v_cndmask_b32_e64 v22, 0, v22, s11
	v_mul_f32_e32 v24, 0x3fb8aa3b, v23
	v_cmp_nlt_f32_e64 s11, 0x42b17218, v12
	v_fma_f32 v27, 0x3fb8aa3b, v23, -v24
	v_rndne_f32_e32 v60, v24
	v_cndmask_b32_e64 v12, 0x7f800000, v22, s11
	v_cmp_ngt_f32_e64 s11, 0xc2ce8ed0, v23
	v_fmac_f32_e32 v27, 0x32a5705f, v23
	v_sub_f32_e32 v24, v24, v60
	v_cndmask_b32_e32 v12, 0, v12, vcc_lo
	v_add_f32_e32 v24, v24, v27
	v_cvt_i32_f32_e32 v27, v60
	v_cvt_f16_f32_e32 v22, v12
	v_exp_f32_e32 v24, v24
	v_ldexp_f32 v24, v24, v27
	v_cndmask_b32_e64 v24, 0, v24, s11
	v_cmp_nlt_f32_e64 s11, 0x42b17218, v23
	v_cndmask_b32_e64 v23, 0x7f800000, v24, s11
	v_cmp_ngt_f32_e64 s11, 0xc2ce8ed0, v0
	v_cndmask_b32_e64 v23, 0, v23, s10
	v_add_f32_e32 v60, v12, v23
	v_mul_f32_e32 v12, 0x3fb8aa3b, v0
	v_cvt_f16_f32_e32 v27, v23
	v_fma_f32 v23, 0x3fb8aa3b, v0, -v12
	v_rndne_f32_e32 v24, v12
	v_fmac_f32_e32 v23, 0x32a5705f, v0
	v_sub_f32_e32 v12, v12, v24
	v_add_f32_e32 v12, v12, v23
	v_cvt_i32_f32_e32 v23, v24
	v_exp_f32_e32 v12, v12
	v_ldexp_f32 v12, v12, v23
	v_cndmask_b32_e64 v12, 0, v12, s11
	v_cmp_nlt_f32_e64 s11, 0x42b17218, v0
	v_cndmask_b32_e64 v0, 0x7f800000, v12, s11
	v_fmac_f32_e32 v60, v28, v0
	v_cvt_f16_f32_e32 v0, v0
	v_mul_u32_u24_sdwa v0, v0, v18 dst_sel:DWORD dst_unused:UNUSED_PAD src0_sel:WORD_0 src1_sel:DWORD
	v_pk_mul_f16 v12, v168, v0
	v_sub_f32_e32 v0, v13, v45
	v_sub_f32_e32 v13, v114, v45
	v_mul_f32_e32 v23, 0x3fb8aa3b, v13
	v_cmp_ngt_f32_e64 s11, 0xc2ce8ed0, v13
	v_fma_f32 v24, 0x3fb8aa3b, v13, -v23
	v_rndne_f32_e32 v28, v23
	v_fmac_f32_e32 v24, 0x32a5705f, v13
	v_sub_f32_e32 v23, v23, v28
	v_add_f32_e32 v23, v23, v24
	v_cvt_i32_f32_e32 v24, v28
	v_exp_f32_e32 v23, v23
	v_ldexp_f32 v23, v23, v24
	v_cndmask_b32_e64 v23, 0, v23, s11
	v_cmp_nlt_f32_e64 s11, 0x42b17218, v13
	v_cndmask_b32_e64 v13, 0x7f800000, v23, s11
	v_sub_f32_e32 v23, v82, v45
	v_cndmask_b32_e32 v13, 0, v13, vcc_lo
	v_mul_f32_e32 v24, 0x3fb8aa3b, v23
	v_cmp_ngt_f32_e64 s11, 0xc2ce8ed0, v23
	v_cvt_f16_f32_e32 v28, v13
	v_fma_f32 v61, 0x3fb8aa3b, v23, -v24
	v_rndne_f32_e32 v62, v24
	v_pack_b32_f16 v22, v22, v28
	v_fmac_f32_e32 v61, 0x32a5705f, v23
	v_sub_f32_e32 v24, v24, v62
	v_lshl_or_b32 v28, v162, 7, v107
	v_add_f32_e32 v24, v24, v61
	v_cvt_i32_f32_e32 v61, v62
	v_exp_f32_e32 v24, v24
	v_ldexp_f32 v24, v24, v61
	v_cndmask_b32_e64 v24, 0, v24, s11
	v_cmp_nlt_f32_e64 s11, 0x42b17218, v23
	v_cndmask_b32_e64 v23, 0x7f800000, v24, s11
	v_cmp_ngt_f32_e64 s11, 0xc2ce8ed0, v0
	v_cndmask_b32_e64 v23, 0, v23, s10
	v_add_f32_e32 v61, v13, v23
	v_mul_f32_e32 v13, 0x3fb8aa3b, v0
	v_cvt_f16_f32_e32 v72, v23
	v_fma_f32 v23, 0x3fb8aa3b, v0, -v13
	v_rndne_f32_e32 v24, v13
	v_fmac_f32_e32 v23, 0x32a5705f, v0
	v_sub_f32_e32 v13, v13, v24
	v_add_f32_e32 v13, v13, v23
	v_cvt_i32_f32_e32 v23, v24
	v_exp_f32_e32 v13, v13
	v_ldexp_f32 v13, v13, v23
	v_cndmask_b32_e64 v13, 0, v13, s11
	v_cmp_nlt_f32_e64 s11, 0x42b17218, v0
	v_cndmask_b32_e64 v0, 0x7f800000, v13, s11
	v_fmac_f32_e32 v61, v29, v0
	v_cvt_f16_f32_e32 v0, v0
	v_mul_u32_u24_sdwa v0, v0, v18 dst_sel:DWORD dst_unused:UNUSED_PAD src0_sel:WORD_0 src1_sel:DWORD
	v_pk_mul_f16 v13, v167, v0
	v_sub_f32_e32 v0, v14, v46
	v_sub_f32_e32 v14, v112, v46
	v_mul_f32_e32 v23, 0x3fb8aa3b, v14
	v_cmp_ngt_f32_e64 s11, 0xc2ce8ed0, v14
	v_fma_f32 v24, 0x3fb8aa3b, v14, -v23
	v_rndne_f32_e32 v29, v23
	v_fmac_f32_e32 v24, 0x32a5705f, v14
	v_sub_f32_e32 v23, v23, v29
	v_add_f32_e32 v23, v23, v24
	v_cvt_i32_f32_e32 v24, v29
	v_exp_f32_e32 v23, v23
	v_ldexp_f32 v23, v23, v24
	v_sub_f32_e32 v24, v81, v46
	v_cndmask_b32_e64 v23, 0, v23, s11
	v_mul_f32_e32 v29, 0x3fb8aa3b, v24
	v_cmp_nlt_f32_e64 s11, 0x42b17218, v14
	v_fma_f32 v62, 0x3fb8aa3b, v24, -v29
	v_rndne_f32_e32 v63, v29
	v_cndmask_b32_e64 v14, 0x7f800000, v23, s11
	v_cmp_ngt_f32_e64 s11, 0xc2ce8ed0, v24
	v_fmac_f32_e32 v62, 0x32a5705f, v24
	v_sub_f32_e32 v29, v29, v63
	v_cndmask_b32_e32 v14, 0, v14, vcc_lo
	v_add_f32_e32 v29, v29, v62
	v_cvt_i32_f32_e32 v62, v63
	v_cvt_f16_f32_e32 v23, v14
	v_exp_f32_e32 v29, v29
	v_ldexp_f32 v29, v29, v62
	v_cndmask_b32_e64 v29, 0, v29, s11
	v_cmp_nlt_f32_e64 s11, 0x42b17218, v24
	v_cndmask_b32_e64 v24, 0x7f800000, v29, s11
	v_cmp_ngt_f32_e64 s11, 0xc2ce8ed0, v0
	v_cndmask_b32_e64 v24, 0, v24, s10
	v_add_f32_e32 v62, v14, v24
	v_mul_f32_e32 v14, 0x3fb8aa3b, v0
	v_cvt_f16_f32_e32 v29, v24
	v_fma_f32 v24, 0x3fb8aa3b, v0, -v14
	v_rndne_f32_e32 v63, v14
	v_fmac_f32_e32 v24, 0x32a5705f, v0
	v_sub_f32_e32 v14, v14, v63
	v_add_f32_e32 v14, v14, v24
	v_cvt_i32_f32_e32 v24, v63
	v_exp_f32_e32 v14, v14
	v_ldexp_f32 v14, v14, v24
	v_cndmask_b32_e64 v14, 0, v14, s11
	v_cmp_nlt_f32_e64 s11, 0x42b17218, v0
	v_cndmask_b32_e64 v0, 0x7f800000, v14, s11
	v_fmac_f32_e32 v62, v30, v0
	v_cvt_f16_f32_e32 v0, v0
	v_mul_u32_u24_sdwa v0, v0, v18 dst_sel:DWORD dst_unused:UNUSED_PAD src0_sel:WORD_0 src1_sel:DWORD
	v_pk_mul_f16 v14, v166, v0
	v_sub_f32_e32 v0, v15, v47
	v_sub_f32_e32 v15, v110, v47
	v_mul_f32_e32 v24, 0x3fb8aa3b, v15
	v_cmp_ngt_f32_e64 s11, 0xc2ce8ed0, v15
	v_fma_f32 v30, 0x3fb8aa3b, v15, -v24
	v_rndne_f32_e32 v63, v24
	v_fmac_f32_e32 v30, 0x32a5705f, v15
	v_sub_f32_e32 v24, v24, v63
	v_add_f32_e32 v24, v24, v30
	v_cvt_i32_f32_e32 v30, v63
	v_exp_f32_e32 v24, v24
	v_ldexp_f32 v24, v24, v30
	v_cndmask_b32_e64 v24, 0, v24, s11
	v_cmp_nlt_f32_e64 s11, 0x42b17218, v15
	v_cndmask_b32_e64 v15, 0x7f800000, v24, s11
	v_sub_f32_e32 v24, v80, v47
	v_cndmask_b32_e32 v15, 0, v15, vcc_lo
	v_mul_f32_e32 v63, 0x3fb8aa3b, v24
	v_cmp_ngt_f32_e64 s11, 0xc2ce8ed0, v24
	v_cvt_f16_f32_e32 v30, v15
	v_fma_f32 v64, 0x3fb8aa3b, v24, -v63
	v_rndne_f32_e32 v65, v63
	v_pack_b32_f16 v23, v23, v30
	v_fmac_f32_e32 v64, 0x32a5705f, v24
	v_sub_f32_e32 v63, v63, v65
	v_add_f32_e32 v63, v63, v64
	v_cvt_i32_f32_e32 v64, v65
	v_exp_f32_e32 v63, v63
	v_ldexp_f32 v63, v63, v64
	v_cndmask_b32_e64 v63, 0, v63, s11
	v_cmp_nlt_f32_e64 s11, 0x42b17218, v24
	v_cndmask_b32_e64 v24, 0x7f800000, v63, s11
	v_cmp_ngt_f32_e64 s11, 0xc2ce8ed0, v0
	v_cndmask_b32_e64 v24, 0, v24, s10
	v_add_f32_e32 v63, v15, v24
	v_mul_f32_e32 v15, 0x3fb8aa3b, v0
	v_cvt_f16_f32_e32 v73, v24
	v_fma_f32 v24, 0x3fb8aa3b, v0, -v15
	v_rndne_f32_e32 v64, v15
	v_fmac_f32_e32 v24, 0x32a5705f, v0
	v_sub_f32_e32 v15, v15, v64
	v_add_f32_e32 v15, v15, v24
	v_cvt_i32_f32_e32 v24, v64
	v_exp_f32_e32 v15, v15
	v_ldexp_f32 v15, v15, v24
	v_cndmask_b32_e64 v15, 0, v15, s11
	v_cmp_nlt_f32_e64 s11, 0x42b17218, v0
	v_cndmask_b32_e64 v0, 0x7f800000, v15, s11
	v_fmac_f32_e32 v63, v31, v0
	v_cvt_f16_f32_e32 v0, v0
	v_mul_u32_u24_sdwa v0, v0, v18 dst_sel:DWORD dst_unused:UNUSED_PAD src0_sel:WORD_0 src1_sel:DWORD
	v_pk_mul_f16 v15, v165, v0
	v_sub_f32_e32 v0, v16, v48
	v_sub_f32_e32 v16, v108, v48
	v_mul_f32_e32 v24, 0x3fb8aa3b, v16
	v_cmp_ngt_f32_e64 s11, 0xc2ce8ed0, v16
	v_fma_f32 v31, 0x3fb8aa3b, v16, -v24
	v_rndne_f32_e32 v64, v24
	v_fmac_f32_e32 v31, 0x32a5705f, v16
	v_sub_f32_e32 v24, v24, v64
	v_add_f32_e32 v24, v24, v31
	v_cvt_i32_f32_e32 v31, v64
	v_exp_f32_e32 v24, v24
	v_ldexp_f32 v24, v24, v31
	v_sub_f32_e32 v31, v79, v48
	v_cndmask_b32_e64 v24, 0, v24, s11
	v_mul_f32_e32 v64, 0x3fb8aa3b, v31
	v_cmp_nlt_f32_e64 s11, 0x42b17218, v16
	v_fma_f32 v65, 0x3fb8aa3b, v31, -v64
	v_rndne_f32_e32 v74, v64
	v_cndmask_b32_e64 v16, 0x7f800000, v24, s11
	v_cmp_ngt_f32_e64 s11, 0xc2ce8ed0, v31
	v_fmac_f32_e32 v65, 0x32a5705f, v31
	v_sub_f32_e32 v64, v64, v74
	v_cndmask_b32_e32 v16, 0, v16, vcc_lo
	v_add_f32_e32 v64, v64, v65
	v_cvt_i32_f32_e32 v65, v74
	v_cvt_f16_f32_e32 v24, v16
	v_exp_f32_e32 v64, v64
	v_ldexp_f32 v64, v64, v65
	v_cndmask_b32_e64 v64, 0, v64, s11
	v_cmp_nlt_f32_e64 s11, 0x42b17218, v31
	v_cndmask_b32_e64 v31, 0x7f800000, v64, s11
	v_cmp_ngt_f32_e64 s11, 0xc2ce8ed0, v0
	v_cndmask_b32_e64 v31, 0, v31, s10
	v_add_f32_e32 v64, v16, v31
	v_mul_f32_e32 v16, 0x3fb8aa3b, v0
	v_cvt_f16_f32_e32 v31, v31
	v_fma_f32 v65, 0x3fb8aa3b, v0, -v16
	v_rndne_f32_e32 v74, v16
	v_fmac_f32_e32 v65, 0x32a5705f, v0
	v_sub_f32_e32 v16, v16, v74
	v_add_f32_e32 v16, v16, v65
	v_cvt_i32_f32_e32 v65, v74
	v_exp_f32_e32 v16, v16
	v_ldexp_f32 v16, v16, v65
	v_cndmask_b32_e64 v16, 0, v16, s11
	v_cmp_nlt_f32_e64 s11, 0x42b17218, v0
	v_cndmask_b32_e64 v0, 0x7f800000, v16, s11
	v_fmac_f32_e32 v64, v32, v0
	v_cvt_f16_f32_e32 v0, v0
	v_mul_u32_u24_sdwa v0, v0, v18 dst_sel:DWORD dst_unused:UNUSED_PAD src0_sel:WORD_0 src1_sel:DWORD
	v_pk_mul_f16 v16, v164, v0
	v_sub_f32_e32 v0, v17, v49
	v_sub_f32_e32 v17, v106, v49
	v_mul_f32_e32 v32, 0x3fb8aa3b, v17
	v_cmp_ngt_f32_e64 s11, 0xc2ce8ed0, v17
	v_fma_f32 v65, 0x3fb8aa3b, v17, -v32
	v_rndne_f32_e32 v74, v32
	v_fmac_f32_e32 v65, 0x32a5705f, v17
	v_sub_f32_e32 v32, v32, v74
	v_add_f32_e32 v32, v32, v65
	v_cvt_i32_f32_e32 v65, v74
	v_exp_f32_e32 v32, v32
	v_ldexp_f32 v32, v32, v65
	v_sub_f32_e32 v65, v78, v49
	v_cndmask_b32_e64 v32, 0, v32, s11
	v_mul_f32_e32 v74, 0x3fb8aa3b, v65
	v_cmp_nlt_f32_e64 s11, 0x42b17218, v17
	v_fma_f32 v75, 0x3fb8aa3b, v65, -v74
	v_rndne_f32_e32 v76, v74
	v_cndmask_b32_e64 v17, 0x7f800000, v32, s11
	s_mul_hi_i32 s11, s12, s13
	v_fmac_f32_e32 v75, 0x32a5705f, v65
	v_sub_f32_e32 v74, v74, v76
	v_cndmask_b32_e32 v17, 0, v17, vcc_lo
	v_cmp_ngt_f32_e32 vcc_lo, 0xc2ce8ed0, v65
	v_add_f32_e32 v74, v74, v75
	v_cvt_i32_f32_e32 v75, v76
	v_cvt_f16_f32_e32 v32, v17
	v_exp_f32_e32 v74, v74
	v_pack_b32_f16 v24, v24, v32
	ds_write_b128 v19, v[21:24] offset:1024
	v_pack_b32_f16 v23, v29, v73
	v_pack_b32_f16 v22, v27, v72
	v_ldexp_f32 v74, v74, v75
	v_pack_b32_f16 v21, v1, v26
	v_lshl_or_b32 v19, v180, 7, v107
	v_cndmask_b32_e32 v74, 0, v74, vcc_lo
	v_cmp_nlt_f32_e32 vcc_lo, 0x42b17218, v65
	v_cndmask_b32_e32 v65, 0x7f800000, v74, vcc_lo
	v_cmp_ngt_f32_e32 vcc_lo, 0xc2ce8ed0, v0
	v_cndmask_b32_e64 v74, 0, v65, s10
	s_mul_i32 s10, s12, s13
	s_lshl_b64 s[10:11], s[10:11], 2
	v_add_f32_e32 v65, v17, v74
	v_mul_f32_e32 v17, 0x3fb8aa3b, v0
	v_cvt_f16_f32_e32 v74, v74
	s_add_u32 s12, s14, s10
	s_addc_u32 s14, s15, s11
	s_mov_b64 s[10:11], src_private_base
	v_fma_f32 v75, 0x3fb8aa3b, v0, -v17
	v_rndne_f32_e32 v76, v17
	v_pack_b32_f16 v24, v31, v74
	s_lshl_b32 s10, s13, 4
	v_fmac_f32_e32 v75, 0x32a5705f, v0
	v_sub_f32_e32 v17, v17, v76
	ds_write_b128 v20, v[21:24] offset:1024
	v_mov_b32_e32 v24, 0
	buffer_store_dword v24, off, s[0:3], 0
	buffer_store_dword v24, off, s[0:3], 0 offset:4
	buffer_store_dword v24, off, s[0:3], 0 offset:8
	;; [unrolled: 1-line block ×3, first 2 shown]
	v_add_f32_e32 v17, v17, v75
	v_cvt_i32_f32_e32 v75, v76
	v_exp_f32_e32 v17, v17
	v_ldexp_f32 v17, v17, v75
	v_cndmask_b32_e32 v17, 0, v17, vcc_lo
	v_cmp_nlt_f32_e32 vcc_lo, 0x42b17218, v0
	v_cndmask_b32_e32 v0, 0x7f800000, v17, vcc_lo
	v_fmac_f32_e32 v65, v33, v0
	v_cvt_f16_f32_e32 v0, v0
	v_mul_u32_u24_sdwa v0, v0, v18 dst_sel:DWORD dst_unused:UNUSED_PAD src0_sel:WORD_0 src1_sel:DWORD
	v_pk_mul_f16 v17, v163, v0
	v_mul_lo_u32 v0, s13, v180
	v_ashrrev_i32_e32 v1, 31, v0
	v_lshlrev_b64 v[20:21], 2, v[0:1]
	v_add_nc_u32_e32 v0, s10, v0
	v_add_co_u32 v1, vcc_lo, s12, v20
	v_add_co_ci_u32_e64 v20, null, s14, v21, vcc_lo
	v_add_co_u32 v22, vcc_lo, v1, v107
	v_ashrrev_i32_e32 v1, 31, v0
	v_add_co_ci_u32_e64 v23, null, 0, v20, vcc_lo
	v_lshlrev_b64 v[20:21], 2, v[0:1]
	v_add_nc_u32_e32 v0, s10, v0
	v_add_co_u32 v1, vcc_lo, s12, v20
	v_add_co_ci_u32_e64 v20, null, s14, v21, vcc_lo
	v_add_co_u32 v26, vcc_lo, v1, v107
	v_ashrrev_i32_e32 v1, 31, v0
	v_add_co_ci_u32_e64 v27, null, 0, v20, vcc_lo
	v_lshlrev_b64 v[20:21], 2, v[0:1]
	v_add_nc_u32_e32 v0, s10, v0
	v_add_co_u32 v1, vcc_lo, s12, v20
	v_add_co_ci_u32_e64 v20, null, s14, v21, vcc_lo
	v_cndmask_b32_e64 v21, s11, v23, s9
	v_add_co_u32 v29, vcc_lo, v1, v107
	v_add_co_ci_u32_e64 v30, null, 0, v20, vcc_lo
	v_cndmask_b32_e64 v20, 0, v22, s9
	v_ashrrev_i32_e32 v1, 31, v0
	flat_load_dwordx4 v[20:23], v[20:21]
	v_lshlrev_b64 v[0:1], 2, v[0:1]
	v_add_co_u32 v0, vcc_lo, s12, v0
	v_add_co_ci_u32_e64 v1, null, s14, v1, vcc_lo
	v_add_co_u32 v0, vcc_lo, v0, v107
	v_add_co_ci_u32_e64 v31, null, 0, v1, vcc_lo
	v_lshl_or_b32 v1, v161, 7, v107
	s_waitcnt vmcnt(0) lgkmcnt(0)
	ds_write_b128 v19, v[20:23]
	v_cndmask_b32_e64 v20, s11, v27, s8
	v_cndmask_b32_e64 v19, 0, v26, s8
	buffer_store_dword v24, off, s[0:3], 0
	buffer_store_dword v24, off, s[0:3], 0 offset:4
	buffer_store_dword v24, off, s[0:3], 0 offset:8
	buffer_store_dword v24, off, s[0:3], 0 offset:12
	flat_load_dwordx4 v[19:22], v[19:20]
	s_waitcnt vmcnt(0) lgkmcnt(0)
	ds_write_b128 v25, v[19:22]
	v_cndmask_b32_e64 v20, s11, v30, s7
	v_cndmask_b32_e64 v19, 0, v29, s7
	buffer_store_dword v24, off, s[0:3], 0
	buffer_store_dword v24, off, s[0:3], 0 offset:4
	buffer_store_dword v24, off, s[0:3], 0 offset:8
	buffer_store_dword v24, off, s[0:3], 0 offset:12
	flat_load_dwordx4 v[19:22], v[19:20]
	;; [unrolled: 9-line block ×3, first 2 shown]
	s_waitcnt vmcnt(0) lgkmcnt(0)
	ds_write_b128 v1, v[19:22]
	s_waitcnt lgkmcnt(0)
	s_waitcnt_vscnt null, 0x0
	s_barrier
	buffer_gl0_inv
	ds_read2_b32 v[31:32], v140 offset1:32
	ds_read_b128 v[19:22], v139 offset:9216
	ds_read_b128 v[23:26], v139 offset:9232
	;; [unrolled: 1-line block ×4, first 2 shown]
	s_waitcnt lgkmcnt(3)
	v_mul_u32_u24_sdwa v0, v19, v18 dst_sel:DWORD dst_unused:UNUSED_PAD src0_sel:WORD_0 src1_sel:DWORD
	v_mul_u32_u24_sdwa v1, v19, v18 dst_sel:DWORD dst_unused:UNUSED_PAD src0_sel:WORD_1 src1_sel:DWORD
	v_mul_u32_u24_sdwa v33, v20, v18 dst_sel:DWORD dst_unused:UNUSED_PAD src0_sel:WORD_0 src1_sel:DWORD
	v_mul_u32_u24_sdwa v76, v20, v18 dst_sel:DWORD dst_unused:UNUSED_PAD src0_sel:WORD_1 src1_sel:DWORD
	;; [unrolled: 2-line block ×4, first 2 shown]
	ds_read_b128 v[19:22], v139 offset:10240
	v_pk_fma_f16 v85, v31, v0, v2
	v_pk_fma_f16 v86, v31, v1, v3
	ds_read_b128 v[0:3], v139 offset:10256
	v_pk_fma_f16 v4, v31, v33, v4
	v_pk_fma_f16 v5, v31, v76, v5
	;; [unrolled: 1-line block ×6, first 2 shown]
	s_waitcnt lgkmcnt(1)
	v_mul_u32_u24_sdwa v81, v19, v18 dst_sel:DWORD dst_unused:UNUSED_PAD src0_sel:WORD_0 src1_sel:DWORD
	v_mul_u32_u24_sdwa v19, v19, v18 dst_sel:DWORD dst_unused:UNUSED_PAD src0_sel:WORD_1 src1_sel:DWORD
	v_mul_u32_u24_sdwa v82, v20, v18 dst_sel:DWORD dst_unused:UNUSED_PAD src0_sel:WORD_0 src1_sel:DWORD
	v_mul_u32_u24_sdwa v20, v20, v18 dst_sel:DWORD dst_unused:UNUSED_PAD src0_sel:WORD_1 src1_sel:DWORD
	v_mul_u32_u24_sdwa v83, v21, v18 dst_sel:DWORD dst_unused:UNUSED_PAD src0_sel:WORD_0 src1_sel:DWORD
	v_mul_u32_u24_sdwa v21, v21, v18 dst_sel:DWORD dst_unused:UNUSED_PAD src0_sel:WORD_1 src1_sel:DWORD
	v_mul_u32_u24_sdwa v84, v22, v18 dst_sel:DWORD dst_unused:UNUSED_PAD src0_sel:WORD_0 src1_sel:DWORD
	v_mul_u32_u24_sdwa v22, v22, v18 dst_sel:DWORD dst_unused:UNUSED_PAD src0_sel:WORD_1 src1_sel:DWORD
	v_pk_fma_f16 v10, v31, v81, v10
	v_pk_fma_f16 v11, v31, v19, v11
	;; [unrolled: 1-line block ×8, first 2 shown]
	s_waitcnt lgkmcnt(0)
	v_mul_u32_u24_sdwa v31, v0, v18 dst_sel:DWORD dst_unused:UNUSED_PAD src0_sel:WORD_0 src1_sel:DWORD
	v_mul_u32_u24_sdwa v0, v0, v18 dst_sel:DWORD dst_unused:UNUSED_PAD src0_sel:WORD_1 src1_sel:DWORD
	v_mul_u32_u24_sdwa v33, v1, v18 dst_sel:DWORD dst_unused:UNUSED_PAD src0_sel:WORD_0 src1_sel:DWORD
	v_mul_u32_u24_sdwa v1, v1, v18 dst_sel:DWORD dst_unused:UNUSED_PAD src0_sel:WORD_1 src1_sel:DWORD
	;; [unrolled: 2-line block ×5, first 2 shown]
	v_pk_fma_f16 v11, v32, v0, v11
	v_pk_fma_f16 v13, v32, v1, v13
	;; [unrolled: 1-line block ×4, first 2 shown]
	ds_read_b128 v[0:3], v139 offset:10272
	v_pk_fma_f16 v21, v32, v21, v4
	v_pk_fma_f16 v22, v32, v22, v5
	ds_read2_b32 v[4:5], v140 offset0:64 offset1:96
	v_mul_u32_u24_sdwa v19, v23, v18 dst_sel:DWORD dst_unused:UNUSED_PAD src0_sel:WORD_0 src1_sel:DWORD
	v_mul_u32_u24_sdwa v20, v23, v18 dst_sel:DWORD dst_unused:UNUSED_PAD src0_sel:WORD_1 src1_sel:DWORD
	v_mul_u32_u24_sdwa v23, v25, v18 dst_sel:DWORD dst_unused:UNUSED_PAD src0_sel:WORD_0 src1_sel:DWORD
	v_mul_u32_u24_sdwa v24, v25, v18 dst_sel:DWORD dst_unused:UNUSED_PAD src0_sel:WORD_1 src1_sel:DWORD
	;; [unrolled: 2-line block ×3, first 2 shown]
	v_pk_fma_f16 v19, v32, v19, v85
	v_pk_fma_f16 v20, v32, v20, v86
	;; [unrolled: 1-line block ×10, first 2 shown]
	v_mul_u32_u24_sdwa v23, v27, v18 dst_sel:DWORD dst_unused:UNUSED_PAD src0_sel:WORD_0 src1_sel:DWORD
	v_mul_u32_u24_sdwa v24, v27, v18 dst_sel:DWORD dst_unused:UNUSED_PAD src0_sel:WORD_1 src1_sel:DWORD
	v_mul_u32_u24_sdwa v25, v28, v18 dst_sel:DWORD dst_unused:UNUSED_PAD src0_sel:WORD_0 src1_sel:DWORD
	v_mul_u32_u24_sdwa v26, v28, v18 dst_sel:DWORD dst_unused:UNUSED_PAD src0_sel:WORD_1 src1_sel:DWORD
	;; [unrolled: 2-line block ×4, first 2 shown]
	s_waitcnt lgkmcnt(1)
	v_mul_u32_u24_sdwa v31, v0, v18 dst_sel:DWORD dst_unused:UNUSED_PAD src0_sel:WORD_0 src1_sel:DWORD
	v_mul_u32_u24_sdwa v0, v0, v18 dst_sel:DWORD dst_unused:UNUSED_PAD src0_sel:WORD_1 src1_sel:DWORD
	v_mul_u32_u24_sdwa v32, v1, v18 dst_sel:DWORD dst_unused:UNUSED_PAD src0_sel:WORD_0 src1_sel:DWORD
	v_mul_u32_u24_sdwa v1, v1, v18 dst_sel:DWORD dst_unused:UNUSED_PAD src0_sel:WORD_1 src1_sel:DWORD
	;; [unrolled: 2-line block ×4, first 2 shown]
	s_waitcnt lgkmcnt(0)
	v_pk_fma_f16 v19, v4, v23, v19
	v_pk_fma_f16 v20, v4, v24, v20
	;; [unrolled: 1-line block ×16, first 2 shown]
	ds_read_b128 v[0:3], v139 offset:10288
	v_mul_u32_u24_sdwa v17, v72, v18 dst_sel:DWORD dst_unused:UNUSED_PAD src0_sel:WORD_0 src1_sel:DWORD
	v_mul_u32_u24_sdwa v23, v72, v18 dst_sel:DWORD dst_unused:UNUSED_PAD src0_sel:WORD_1 src1_sel:DWORD
	v_mul_u32_u24_sdwa v24, v73, v18 dst_sel:DWORD dst_unused:UNUSED_PAD src0_sel:WORD_0 src1_sel:DWORD
	v_mul_u32_u24_sdwa v25, v73, v18 dst_sel:DWORD dst_unused:UNUSED_PAD src0_sel:WORD_1 src1_sel:DWORD
	;; [unrolled: 2-line block ×4, first 2 shown]
	v_pk_fma_f16 v17, v5, v17, v19
	v_pk_fma_f16 v19, v5, v23, v20
	;; [unrolled: 1-line block ×8, first 2 shown]
	s_waitcnt lgkmcnt(0)
	v_mul_u32_u24_sdwa v30, v0, v18 dst_sel:DWORD dst_unused:UNUSED_PAD src0_sel:WORD_0 src1_sel:DWORD
	v_mul_u32_u24_sdwa v0, v0, v18 dst_sel:DWORD dst_unused:UNUSED_PAD src0_sel:WORD_1 src1_sel:DWORD
	v_mul_u32_u24_sdwa v31, v1, v18 dst_sel:DWORD dst_unused:UNUSED_PAD src0_sel:WORD_0 src1_sel:DWORD
	v_mul_u32_u24_sdwa v1, v1, v18 dst_sel:DWORD dst_unused:UNUSED_PAD src0_sel:WORD_1 src1_sel:DWORD
	;; [unrolled: 2-line block ×4, first 2 shown]
	v_pk_fma_f16 v10, v5, v30, v10
	v_pk_fma_f16 v11, v5, v0, v11
	;; [unrolled: 1-line block ×8, first 2 shown]
	ds_read2_b32 v[4:5], v140 offset0:128 offset1:160
	ds_read_b128 v[0:3], v139 offset:9280
	s_waitcnt lgkmcnt(0)
	v_mul_u32_u24_sdwa v23, v0, v18 dst_sel:DWORD dst_unused:UNUSED_PAD src0_sel:WORD_0 src1_sel:DWORD
	v_mul_u32_u24_sdwa v24, v0, v18 dst_sel:DWORD dst_unused:UNUSED_PAD src0_sel:WORD_1 src1_sel:DWORD
	v_mul_u32_u24_sdwa v25, v1, v18 dst_sel:DWORD dst_unused:UNUSED_PAD src0_sel:WORD_0 src1_sel:DWORD
	v_mul_u32_u24_sdwa v26, v1, v18 dst_sel:DWORD dst_unused:UNUSED_PAD src0_sel:WORD_1 src1_sel:DWORD
	;; [unrolled: 2-line block ×4, first 2 shown]
	ds_read_b128 v[0:3], v139 offset:10304
	v_pk_fma_f16 v17, v4, v23, v17
	v_pk_fma_f16 v19, v4, v24, v19
	;; [unrolled: 1-line block ×8, first 2 shown]
	s_waitcnt lgkmcnt(0)
	v_mul_u32_u24_sdwa v31, v0, v18 dst_sel:DWORD dst_unused:UNUSED_PAD src0_sel:WORD_0 src1_sel:DWORD
	v_mul_u32_u24_sdwa v0, v0, v18 dst_sel:DWORD dst_unused:UNUSED_PAD src0_sel:WORD_1 src1_sel:DWORD
	v_mul_u32_u24_sdwa v32, v1, v18 dst_sel:DWORD dst_unused:UNUSED_PAD src0_sel:WORD_0 src1_sel:DWORD
	v_mul_u32_u24_sdwa v1, v1, v18 dst_sel:DWORD dst_unused:UNUSED_PAD src0_sel:WORD_1 src1_sel:DWORD
	;; [unrolled: 2-line block ×4, first 2 shown]
	v_pk_fma_f16 v10, v4, v31, v10
	v_pk_fma_f16 v11, v4, v0, v11
	;; [unrolled: 1-line block ×8, first 2 shown]
	ds_read_b128 v[0:3], v139 offset:9296
	s_waitcnt lgkmcnt(0)
	v_mul_u32_u24_sdwa v22, v0, v18 dst_sel:DWORD dst_unused:UNUSED_PAD src0_sel:WORD_0 src1_sel:DWORD
	v_mul_u32_u24_sdwa v23, v0, v18 dst_sel:DWORD dst_unused:UNUSED_PAD src0_sel:WORD_1 src1_sel:DWORD
	v_mul_u32_u24_sdwa v24, v1, v18 dst_sel:DWORD dst_unused:UNUSED_PAD src0_sel:WORD_0 src1_sel:DWORD
	v_mul_u32_u24_sdwa v25, v1, v18 dst_sel:DWORD dst_unused:UNUSED_PAD src0_sel:WORD_1 src1_sel:DWORD
	;; [unrolled: 2-line block ×4, first 2 shown]
	ds_read_b128 v[0:3], v139 offset:10320
	v_pk_fma_f16 v17, v5, v22, v17
	v_pk_fma_f16 v19, v5, v23, v19
	;; [unrolled: 1-line block ×8, first 2 shown]
	s_waitcnt lgkmcnt(0)
	v_mul_u32_u24_sdwa v30, v0, v18 dst_sel:DWORD dst_unused:UNUSED_PAD src0_sel:WORD_0 src1_sel:DWORD
	v_mul_u32_u24_sdwa v0, v0, v18 dst_sel:DWORD dst_unused:UNUSED_PAD src0_sel:WORD_1 src1_sel:DWORD
	v_mul_u32_u24_sdwa v31, v1, v18 dst_sel:DWORD dst_unused:UNUSED_PAD src0_sel:WORD_0 src1_sel:DWORD
	v_mul_u32_u24_sdwa v1, v1, v18 dst_sel:DWORD dst_unused:UNUSED_PAD src0_sel:WORD_1 src1_sel:DWORD
	;; [unrolled: 2-line block ×4, first 2 shown]
	v_pk_fma_f16 v10, v5, v30, v10
	v_pk_fma_f16 v11, v5, v0, v11
	;; [unrolled: 1-line block ×8, first 2 shown]
	ds_read2_b32 v[4:5], v140 offset0:192 offset1:224
	ds_read_b128 v[0:3], v139 offset:9312
	s_waitcnt lgkmcnt(0)
	v_mul_u32_u24_sdwa v23, v0, v18 dst_sel:DWORD dst_unused:UNUSED_PAD src0_sel:WORD_0 src1_sel:DWORD
	v_mul_u32_u24_sdwa v24, v0, v18 dst_sel:DWORD dst_unused:UNUSED_PAD src0_sel:WORD_1 src1_sel:DWORD
	v_mul_u32_u24_sdwa v25, v1, v18 dst_sel:DWORD dst_unused:UNUSED_PAD src0_sel:WORD_0 src1_sel:DWORD
	v_mul_u32_u24_sdwa v26, v1, v18 dst_sel:DWORD dst_unused:UNUSED_PAD src0_sel:WORD_1 src1_sel:DWORD
	;; [unrolled: 2-line block ×4, first 2 shown]
	ds_read_b128 v[0:3], v139 offset:10336
	v_pk_fma_f16 v17, v4, v23, v17
	v_pk_fma_f16 v19, v4, v24, v19
	;; [unrolled: 1-line block ×8, first 2 shown]
	s_waitcnt lgkmcnt(0)
	v_mul_u32_u24_sdwa v31, v0, v18 dst_sel:DWORD dst_unused:UNUSED_PAD src0_sel:WORD_0 src1_sel:DWORD
	v_mul_u32_u24_sdwa v0, v0, v18 dst_sel:DWORD dst_unused:UNUSED_PAD src0_sel:WORD_1 src1_sel:DWORD
	v_mul_u32_u24_sdwa v32, v1, v18 dst_sel:DWORD dst_unused:UNUSED_PAD src0_sel:WORD_0 src1_sel:DWORD
	v_mul_u32_u24_sdwa v1, v1, v18 dst_sel:DWORD dst_unused:UNUSED_PAD src0_sel:WORD_1 src1_sel:DWORD
	;; [unrolled: 2-line block ×4, first 2 shown]
	v_pk_fma_f16 v10, v4, v31, v10
	v_pk_fma_f16 v11, v4, v0, v11
	;; [unrolled: 1-line block ×8, first 2 shown]
	ds_read_b128 v[0:3], v139 offset:9328
	s_waitcnt lgkmcnt(0)
	v_mul_u32_u24_sdwa v22, v0, v18 dst_sel:DWORD dst_unused:UNUSED_PAD src0_sel:WORD_0 src1_sel:DWORD
	v_mul_u32_u24_sdwa v23, v0, v18 dst_sel:DWORD dst_unused:UNUSED_PAD src0_sel:WORD_1 src1_sel:DWORD
	v_mul_u32_u24_sdwa v24, v1, v18 dst_sel:DWORD dst_unused:UNUSED_PAD src0_sel:WORD_0 src1_sel:DWORD
	v_mul_u32_u24_sdwa v25, v1, v18 dst_sel:DWORD dst_unused:UNUSED_PAD src0_sel:WORD_1 src1_sel:DWORD
	;; [unrolled: 2-line block ×4, first 2 shown]
	ds_read_b128 v[0:3], v139 offset:10352
	v_pk_fma_f16 v17, v5, v22, v17
	v_pk_fma_f16 v19, v5, v23, v19
	;; [unrolled: 1-line block ×8, first 2 shown]
	s_waitcnt lgkmcnt(0)
	v_mul_u32_u24_sdwa v30, v0, v18 dst_sel:DWORD dst_unused:UNUSED_PAD src0_sel:WORD_0 src1_sel:DWORD
	v_mul_u32_u24_sdwa v0, v0, v18 dst_sel:DWORD dst_unused:UNUSED_PAD src0_sel:WORD_1 src1_sel:DWORD
	v_mul_u32_u24_sdwa v31, v1, v18 dst_sel:DWORD dst_unused:UNUSED_PAD src0_sel:WORD_0 src1_sel:DWORD
	v_mul_u32_u24_sdwa v1, v1, v18 dst_sel:DWORD dst_unused:UNUSED_PAD src0_sel:WORD_1 src1_sel:DWORD
	;; [unrolled: 2-line block ×4, first 2 shown]
	v_pk_fma_f16 v0, v5, v0, v11
	v_pk_fma_f16 v11, v5, v31, v12
	;; [unrolled: 1-line block ×3, first 2 shown]
	v_add_nc_u32_e32 v1, 0x400, v140
	v_pk_fma_f16 v10, v5, v30, v10
	v_pk_fma_f16 v13, v5, v32, v14
	;; [unrolled: 1-line block ×5, first 2 shown]
	ds_read2_b32 v[6:7], v1 offset1:32
	ds_read_b128 v[2:5], v139 offset:9344
	s_waitcnt lgkmcnt(0)
	v_mul_u32_u24_sdwa v24, v2, v18 dst_sel:DWORD dst_unused:UNUSED_PAD src0_sel:WORD_0 src1_sel:DWORD
	v_mul_u32_u24_sdwa v25, v2, v18 dst_sel:DWORD dst_unused:UNUSED_PAD src0_sel:WORD_1 src1_sel:DWORD
	v_mul_u32_u24_sdwa v26, v3, v18 dst_sel:DWORD dst_unused:UNUSED_PAD src0_sel:WORD_0 src1_sel:DWORD
	v_mul_u32_u24_sdwa v27, v3, v18 dst_sel:DWORD dst_unused:UNUSED_PAD src0_sel:WORD_1 src1_sel:DWORD
	;; [unrolled: 2-line block ×4, first 2 shown]
	ds_read_b128 v[2:5], v139 offset:10368
	v_pk_fma_f16 v17, v6, v24, v17
	v_pk_fma_f16 v19, v6, v25, v19
	;; [unrolled: 1-line block ×8, first 2 shown]
	s_waitcnt lgkmcnt(0)
	v_mul_u32_u24_sdwa v32, v2, v18 dst_sel:DWORD dst_unused:UNUSED_PAD src0_sel:WORD_0 src1_sel:DWORD
	v_mul_u32_u24_sdwa v2, v2, v18 dst_sel:DWORD dst_unused:UNUSED_PAD src0_sel:WORD_1 src1_sel:DWORD
	v_mul_u32_u24_sdwa v33, v3, v18 dst_sel:DWORD dst_unused:UNUSED_PAD src0_sel:WORD_0 src1_sel:DWORD
	v_mul_u32_u24_sdwa v3, v3, v18 dst_sel:DWORD dst_unused:UNUSED_PAD src0_sel:WORD_1 src1_sel:DWORD
	;; [unrolled: 2-line block ×4, first 2 shown]
	v_pk_fma_f16 v10, v6, v32, v10
	v_pk_fma_f16 v0, v6, v2, v0
	;; [unrolled: 1-line block ×8, first 2 shown]
	ds_read_b128 v[2:5], v139 offset:9360
	s_waitcnt lgkmcnt(0)
	v_mul_u32_u24_sdwa v16, v2, v18 dst_sel:DWORD dst_unused:UNUSED_PAD src0_sel:WORD_0 src1_sel:DWORD
	v_mul_u32_u24_sdwa v24, v2, v18 dst_sel:DWORD dst_unused:UNUSED_PAD src0_sel:WORD_1 src1_sel:DWORD
	v_mul_u32_u24_sdwa v25, v3, v18 dst_sel:DWORD dst_unused:UNUSED_PAD src0_sel:WORD_0 src1_sel:DWORD
	v_mul_u32_u24_sdwa v26, v3, v18 dst_sel:DWORD dst_unused:UNUSED_PAD src0_sel:WORD_1 src1_sel:DWORD
	;; [unrolled: 2-line block ×4, first 2 shown]
	ds_read_b128 v[2:5], v139 offset:10384
	v_pk_fma_f16 v16, v7, v16, v17
	v_pk_fma_f16 v17, v7, v24, v19
	;; [unrolled: 1-line block ×8, first 2 shown]
	s_waitcnt lgkmcnt(0)
	v_mul_u32_u24_sdwa v31, v2, v18 dst_sel:DWORD dst_unused:UNUSED_PAD src0_sel:WORD_0 src1_sel:DWORD
	v_mul_u32_u24_sdwa v2, v2, v18 dst_sel:DWORD dst_unused:UNUSED_PAD src0_sel:WORD_1 src1_sel:DWORD
	v_mul_u32_u24_sdwa v32, v3, v18 dst_sel:DWORD dst_unused:UNUSED_PAD src0_sel:WORD_0 src1_sel:DWORD
	v_mul_u32_u24_sdwa v3, v3, v18 dst_sel:DWORD dst_unused:UNUSED_PAD src0_sel:WORD_1 src1_sel:DWORD
	v_mul_u32_u24_sdwa v33, v4, v18 dst_sel:DWORD dst_unused:UNUSED_PAD src0_sel:WORD_0 src1_sel:DWORD
	v_mul_u32_u24_sdwa v4, v4, v18 dst_sel:DWORD dst_unused:UNUSED_PAD src0_sel:WORD_1 src1_sel:DWORD
	v_mul_u32_u24_sdwa v72, v5, v18 dst_sel:DWORD dst_unused:UNUSED_PAD src0_sel:WORD_0 src1_sel:DWORD
	v_mul_u32_u24_sdwa v5, v5, v18 dst_sel:DWORD dst_unused:UNUSED_PAD src0_sel:WORD_1 src1_sel:DWORD
	v_pk_fma_f16 v10, v7, v31, v10
	v_pk_fma_f16 v0, v7, v2, v0
	;; [unrolled: 1-line block ×8, first 2 shown]
	ds_read2_b32 v[6:7], v1 offset0:64 offset1:96
	ds_read_b128 v[2:5], v139 offset:9376
	s_waitcnt lgkmcnt(0)
	v_mul_u32_u24_sdwa v24, v2, v18 dst_sel:DWORD dst_unused:UNUSED_PAD src0_sel:WORD_0 src1_sel:DWORD
	v_mul_u32_u24_sdwa v25, v2, v18 dst_sel:DWORD dst_unused:UNUSED_PAD src0_sel:WORD_1 src1_sel:DWORD
	v_mul_u32_u24_sdwa v26, v3, v18 dst_sel:DWORD dst_unused:UNUSED_PAD src0_sel:WORD_0 src1_sel:DWORD
	v_mul_u32_u24_sdwa v27, v3, v18 dst_sel:DWORD dst_unused:UNUSED_PAD src0_sel:WORD_1 src1_sel:DWORD
	v_mul_u32_u24_sdwa v28, v4, v18 dst_sel:DWORD dst_unused:UNUSED_PAD src0_sel:WORD_0 src1_sel:DWORD
	v_mul_u32_u24_sdwa v29, v4, v18 dst_sel:DWORD dst_unused:UNUSED_PAD src0_sel:WORD_1 src1_sel:DWORD
	v_mul_u32_u24_sdwa v30, v5, v18 dst_sel:DWORD dst_unused:UNUSED_PAD src0_sel:WORD_0 src1_sel:DWORD
	v_mul_u32_u24_sdwa v31, v5, v18 dst_sel:DWORD dst_unused:UNUSED_PAD src0_sel:WORD_1 src1_sel:DWORD
	ds_read_b128 v[2:5], v139 offset:10400
	v_pk_fma_f16 v16, v6, v24, v16
	v_pk_fma_f16 v17, v6, v25, v17
	;; [unrolled: 1-line block ×8, first 2 shown]
	s_waitcnt lgkmcnt(0)
	v_mul_u32_u24_sdwa v32, v2, v18 dst_sel:DWORD dst_unused:UNUSED_PAD src0_sel:WORD_0 src1_sel:DWORD
	v_mul_u32_u24_sdwa v2, v2, v18 dst_sel:DWORD dst_unused:UNUSED_PAD src0_sel:WORD_1 src1_sel:DWORD
	v_mul_u32_u24_sdwa v33, v3, v18 dst_sel:DWORD dst_unused:UNUSED_PAD src0_sel:WORD_0 src1_sel:DWORD
	v_mul_u32_u24_sdwa v3, v3, v18 dst_sel:DWORD dst_unused:UNUSED_PAD src0_sel:WORD_1 src1_sel:DWORD
	v_mul_u32_u24_sdwa v72, v4, v18 dst_sel:DWORD dst_unused:UNUSED_PAD src0_sel:WORD_0 src1_sel:DWORD
	v_mul_u32_u24_sdwa v4, v4, v18 dst_sel:DWORD dst_unused:UNUSED_PAD src0_sel:WORD_1 src1_sel:DWORD
	v_mul_u32_u24_sdwa v73, v5, v18 dst_sel:DWORD dst_unused:UNUSED_PAD src0_sel:WORD_0 src1_sel:DWORD
	v_mul_u32_u24_sdwa v5, v5, v18 dst_sel:DWORD dst_unused:UNUSED_PAD src0_sel:WORD_1 src1_sel:DWORD
	v_pk_fma_f16 v10, v6, v32, v10
	v_pk_fma_f16 v0, v6, v2, v0
	;; [unrolled: 1-line block ×8, first 2 shown]
	ds_read_b128 v[2:5], v139 offset:9392
	s_waitcnt lgkmcnt(0)
	v_mul_u32_u24_sdwa v23, v2, v18 dst_sel:DWORD dst_unused:UNUSED_PAD src0_sel:WORD_0 src1_sel:DWORD
	v_mul_u32_u24_sdwa v24, v2, v18 dst_sel:DWORD dst_unused:UNUSED_PAD src0_sel:WORD_1 src1_sel:DWORD
	v_mul_u32_u24_sdwa v25, v3, v18 dst_sel:DWORD dst_unused:UNUSED_PAD src0_sel:WORD_0 src1_sel:DWORD
	v_mul_u32_u24_sdwa v26, v3, v18 dst_sel:DWORD dst_unused:UNUSED_PAD src0_sel:WORD_1 src1_sel:DWORD
	;; [unrolled: 2-line block ×4, first 2 shown]
	ds_read_b128 v[2:5], v139 offset:10416
	v_pk_fma_f16 v16, v7, v23, v16
	v_pk_fma_f16 v17, v7, v24, v17
	;; [unrolled: 1-line block ×8, first 2 shown]
	s_waitcnt lgkmcnt(0)
	v_mul_u32_u24_sdwa v31, v2, v18 dst_sel:DWORD dst_unused:UNUSED_PAD src0_sel:WORD_0 src1_sel:DWORD
	v_mul_u32_u24_sdwa v2, v2, v18 dst_sel:DWORD dst_unused:UNUSED_PAD src0_sel:WORD_1 src1_sel:DWORD
	v_mul_u32_u24_sdwa v32, v3, v18 dst_sel:DWORD dst_unused:UNUSED_PAD src0_sel:WORD_0 src1_sel:DWORD
	v_mul_u32_u24_sdwa v3, v3, v18 dst_sel:DWORD dst_unused:UNUSED_PAD src0_sel:WORD_1 src1_sel:DWORD
	;; [unrolled: 2-line block ×4, first 2 shown]
	v_pk_fma_f16 v10, v7, v31, v10
	v_pk_fma_f16 v0, v7, v2, v0
	;; [unrolled: 1-line block ×8, first 2 shown]
	ds_read2_b32 v[6:7], v1 offset0:128 offset1:160
	ds_read_b128 v[2:5], v139 offset:9408
	s_waitcnt lgkmcnt(0)
	v_mul_u32_u24_sdwa v24, v2, v18 dst_sel:DWORD dst_unused:UNUSED_PAD src0_sel:WORD_0 src1_sel:DWORD
	v_mul_u32_u24_sdwa v25, v2, v18 dst_sel:DWORD dst_unused:UNUSED_PAD src0_sel:WORD_1 src1_sel:DWORD
	v_mul_u32_u24_sdwa v26, v3, v18 dst_sel:DWORD dst_unused:UNUSED_PAD src0_sel:WORD_0 src1_sel:DWORD
	v_mul_u32_u24_sdwa v27, v3, v18 dst_sel:DWORD dst_unused:UNUSED_PAD src0_sel:WORD_1 src1_sel:DWORD
	;; [unrolled: 2-line block ×4, first 2 shown]
	ds_read_b128 v[2:5], v139 offset:10432
	v_pk_fma_f16 v16, v6, v24, v16
	v_pk_fma_f16 v17, v6, v25, v17
	;; [unrolled: 1-line block ×8, first 2 shown]
	s_waitcnt lgkmcnt(0)
	v_mul_u32_u24_sdwa v32, v2, v18 dst_sel:DWORD dst_unused:UNUSED_PAD src0_sel:WORD_0 src1_sel:DWORD
	v_mul_u32_u24_sdwa v2, v2, v18 dst_sel:DWORD dst_unused:UNUSED_PAD src0_sel:WORD_1 src1_sel:DWORD
	v_mul_u32_u24_sdwa v33, v3, v18 dst_sel:DWORD dst_unused:UNUSED_PAD src0_sel:WORD_0 src1_sel:DWORD
	v_mul_u32_u24_sdwa v3, v3, v18 dst_sel:DWORD dst_unused:UNUSED_PAD src0_sel:WORD_1 src1_sel:DWORD
	;; [unrolled: 2-line block ×4, first 2 shown]
	v_pk_fma_f16 v10, v6, v32, v10
	v_pk_fma_f16 v0, v6, v2, v0
	v_pk_fma_f16 v11, v6, v33, v11
	v_pk_fma_f16 v12, v6, v3, v12
	v_pk_fma_f16 v13, v6, v72, v13
	v_pk_fma_f16 v14, v6, v4, v14
	v_pk_fma_f16 v15, v6, v73, v15
	v_pk_fma_f16 v6, v6, v5, v23
	ds_read_b128 v[2:5], v139 offset:9424
	s_waitcnt lgkmcnt(0)
	v_mul_u32_u24_sdwa v23, v2, v18 dst_sel:DWORD dst_unused:UNUSED_PAD src0_sel:WORD_0 src1_sel:DWORD
	v_mul_u32_u24_sdwa v24, v2, v18 dst_sel:DWORD dst_unused:UNUSED_PAD src0_sel:WORD_1 src1_sel:DWORD
	v_mul_u32_u24_sdwa v25, v3, v18 dst_sel:DWORD dst_unused:UNUSED_PAD src0_sel:WORD_0 src1_sel:DWORD
	v_mul_u32_u24_sdwa v26, v3, v18 dst_sel:DWORD dst_unused:UNUSED_PAD src0_sel:WORD_1 src1_sel:DWORD
	;; [unrolled: 2-line block ×4, first 2 shown]
	ds_read_b128 v[2:5], v139 offset:10448
	v_pk_fma_f16 v16, v7, v23, v16
	v_pk_fma_f16 v17, v7, v24, v17
	;; [unrolled: 1-line block ×8, first 2 shown]
	s_waitcnt lgkmcnt(0)
	v_mul_u32_u24_sdwa v31, v2, v18 dst_sel:DWORD dst_unused:UNUSED_PAD src0_sel:WORD_0 src1_sel:DWORD
	v_mul_u32_u24_sdwa v2, v2, v18 dst_sel:DWORD dst_unused:UNUSED_PAD src0_sel:WORD_1 src1_sel:DWORD
	v_mul_u32_u24_sdwa v32, v3, v18 dst_sel:DWORD dst_unused:UNUSED_PAD src0_sel:WORD_0 src1_sel:DWORD
	v_mul_u32_u24_sdwa v3, v3, v18 dst_sel:DWORD dst_unused:UNUSED_PAD src0_sel:WORD_1 src1_sel:DWORD
	;; [unrolled: 2-line block ×4, first 2 shown]
	v_pk_fma_f16 v23, v7, v2, v0
	v_pk_fma_f16 v12, v7, v3, v12
	;; [unrolled: 1-line block ×5, first 2 shown]
	ds_read2_b32 v[4:5], v1 offset0:192 offset1:224
	ds_read_b128 v[0:3], v139 offset:9440
	v_pk_fma_f16 v11, v7, v32, v11
	v_pk_fma_f16 v13, v7, v33, v13
	;; [unrolled: 1-line block ×3, first 2 shown]
	s_waitcnt lgkmcnt(0)
	v_mul_u32_u24_sdwa v7, v0, v18 dst_sel:DWORD dst_unused:UNUSED_PAD src0_sel:WORD_0 src1_sel:DWORD
	v_mul_u32_u24_sdwa v24, v0, v18 dst_sel:DWORD dst_unused:UNUSED_PAD src0_sel:WORD_1 src1_sel:DWORD
	v_mul_u32_u24_sdwa v25, v1, v18 dst_sel:DWORD dst_unused:UNUSED_PAD src0_sel:WORD_0 src1_sel:DWORD
	v_mul_u32_u24_sdwa v26, v1, v18 dst_sel:DWORD dst_unused:UNUSED_PAD src0_sel:WORD_1 src1_sel:DWORD
	;; [unrolled: 2-line block ×4, first 2 shown]
	ds_read_b128 v[0:3], v139 offset:10464
	v_pk_fma_f16 v7, v4, v7, v16
	v_pk_fma_f16 v16, v4, v24, v17
	;; [unrolled: 1-line block ×8, first 2 shown]
	s_waitcnt lgkmcnt(0)
	v_mul_u32_u24_sdwa v31, v0, v18 dst_sel:DWORD dst_unused:UNUSED_PAD src0_sel:WORD_0 src1_sel:DWORD
	v_mul_u32_u24_sdwa v0, v0, v18 dst_sel:DWORD dst_unused:UNUSED_PAD src0_sel:WORD_1 src1_sel:DWORD
	v_mul_u32_u24_sdwa v32, v1, v18 dst_sel:DWORD dst_unused:UNUSED_PAD src0_sel:WORD_0 src1_sel:DWORD
	v_mul_u32_u24_sdwa v1, v1, v18 dst_sel:DWORD dst_unused:UNUSED_PAD src0_sel:WORD_1 src1_sel:DWORD
	;; [unrolled: 2-line block ×4, first 2 shown]
	v_pk_fma_f16 v10, v4, v31, v10
	v_pk_fma_f16 v22, v4, v0, v23
	;; [unrolled: 1-line block ×8, first 2 shown]
	ds_read_b128 v[0:3], v139 offset:9456
	s_waitcnt lgkmcnt(0)
	v_mul_u32_u24_sdwa v6, v0, v18 dst_sel:DWORD dst_unused:UNUSED_PAD src0_sel:WORD_0 src1_sel:DWORD
	v_mul_u32_u24_sdwa v23, v0, v18 dst_sel:DWORD dst_unused:UNUSED_PAD src0_sel:WORD_1 src1_sel:DWORD
	v_mul_u32_u24_sdwa v24, v1, v18 dst_sel:DWORD dst_unused:UNUSED_PAD src0_sel:WORD_0 src1_sel:DWORD
	v_mul_u32_u24_sdwa v25, v1, v18 dst_sel:DWORD dst_unused:UNUSED_PAD src0_sel:WORD_1 src1_sel:DWORD
	;; [unrolled: 2-line block ×4, first 2 shown]
	ds_read_b128 v[0:3], v139 offset:10480
	v_pk_fma_f16 v6, v5, v6, v7
	v_pk_fma_f16 v7, v5, v23, v16
	v_add_nc_u32_e32 v23, 0x800, v140
	v_pk_fma_f16 v16, v5, v24, v17
	v_pk_fma_f16 v17, v5, v25, v19
	;; [unrolled: 1-line block ×6, first 2 shown]
	s_waitcnt lgkmcnt(0)
	v_mul_u32_u24_sdwa v30, v0, v18 dst_sel:DWORD dst_unused:UNUSED_PAD src0_sel:WORD_0 src1_sel:DWORD
	v_mul_u32_u24_sdwa v0, v0, v18 dst_sel:DWORD dst_unused:UNUSED_PAD src0_sel:WORD_1 src1_sel:DWORD
	v_mul_u32_u24_sdwa v31, v1, v18 dst_sel:DWORD dst_unused:UNUSED_PAD src0_sel:WORD_0 src1_sel:DWORD
	v_mul_u32_u24_sdwa v1, v1, v18 dst_sel:DWORD dst_unused:UNUSED_PAD src0_sel:WORD_1 src1_sel:DWORD
	;; [unrolled: 2-line block ×4, first 2 shown]
	v_pk_fma_f16 v10, v5, v30, v10
	v_pk_fma_f16 v21, v5, v0, v22
	;; [unrolled: 1-line block ×8, first 2 shown]
	ds_read2_b32 v[4:5], v23 offset1:32
	ds_read_b128 v[0:3], v139 offset:9472
	s_waitcnt lgkmcnt(0)
	v_mul_u32_u24_sdwa v24, v0, v18 dst_sel:DWORD dst_unused:UNUSED_PAD src0_sel:WORD_0 src1_sel:DWORD
	v_mul_u32_u24_sdwa v25, v0, v18 dst_sel:DWORD dst_unused:UNUSED_PAD src0_sel:WORD_1 src1_sel:DWORD
	v_mul_u32_u24_sdwa v26, v1, v18 dst_sel:DWORD dst_unused:UNUSED_PAD src0_sel:WORD_0 src1_sel:DWORD
	v_mul_u32_u24_sdwa v27, v1, v18 dst_sel:DWORD dst_unused:UNUSED_PAD src0_sel:WORD_1 src1_sel:DWORD
	;; [unrolled: 2-line block ×4, first 2 shown]
	ds_read_b128 v[0:3], v139 offset:10496
	v_pk_fma_f16 v6, v4, v24, v6
	v_pk_fma_f16 v7, v4, v25, v7
	;; [unrolled: 1-line block ×8, first 2 shown]
	s_waitcnt lgkmcnt(0)
	v_mul_u32_u24_sdwa v32, v0, v18 dst_sel:DWORD dst_unused:UNUSED_PAD src0_sel:WORD_0 src1_sel:DWORD
	v_mul_u32_u24_sdwa v0, v0, v18 dst_sel:DWORD dst_unused:UNUSED_PAD src0_sel:WORD_1 src1_sel:DWORD
	v_mul_u32_u24_sdwa v33, v1, v18 dst_sel:DWORD dst_unused:UNUSED_PAD src0_sel:WORD_0 src1_sel:DWORD
	v_mul_u32_u24_sdwa v1, v1, v18 dst_sel:DWORD dst_unused:UNUSED_PAD src0_sel:WORD_1 src1_sel:DWORD
	;; [unrolled: 2-line block ×4, first 2 shown]
	v_pk_fma_f16 v10, v4, v32, v10
	v_pk_fma_f16 v21, v4, v0, v21
	;; [unrolled: 1-line block ×8, first 2 shown]
	ds_read_b128 v[0:3], v139 offset:9488
	s_waitcnt lgkmcnt(0)
	v_mul_u32_u24_sdwa v22, v0, v18 dst_sel:DWORD dst_unused:UNUSED_PAD src0_sel:WORD_0 src1_sel:DWORD
	v_mul_u32_u24_sdwa v24, v0, v18 dst_sel:DWORD dst_unused:UNUSED_PAD src0_sel:WORD_1 src1_sel:DWORD
	v_mul_u32_u24_sdwa v25, v1, v18 dst_sel:DWORD dst_unused:UNUSED_PAD src0_sel:WORD_0 src1_sel:DWORD
	v_mul_u32_u24_sdwa v26, v1, v18 dst_sel:DWORD dst_unused:UNUSED_PAD src0_sel:WORD_1 src1_sel:DWORD
	;; [unrolled: 2-line block ×4, first 2 shown]
	ds_read_b128 v[0:3], v139 offset:10512
	v_pk_fma_f16 v6, v5, v22, v6
	v_pk_fma_f16 v7, v5, v24, v7
	v_pk_fma_f16 v16, v5, v25, v16
	v_pk_fma_f16 v17, v5, v26, v17
	v_pk_fma_f16 v19, v5, v27, v19
	v_pk_fma_f16 v20, v5, v28, v20
	v_pk_fma_f16 v8, v5, v29, v8
	v_pk_fma_f16 v9, v5, v30, v9
	s_waitcnt lgkmcnt(0)
	v_mul_u32_u24_sdwa v31, v0, v18 dst_sel:DWORD dst_unused:UNUSED_PAD src0_sel:WORD_0 src1_sel:DWORD
	v_mul_u32_u24_sdwa v0, v0, v18 dst_sel:DWORD dst_unused:UNUSED_PAD src0_sel:WORD_1 src1_sel:DWORD
	v_mul_u32_u24_sdwa v32, v1, v18 dst_sel:DWORD dst_unused:UNUSED_PAD src0_sel:WORD_0 src1_sel:DWORD
	v_mul_u32_u24_sdwa v1, v1, v18 dst_sel:DWORD dst_unused:UNUSED_PAD src0_sel:WORD_1 src1_sel:DWORD
	;; [unrolled: 2-line block ×4, first 2 shown]
	v_pk_fma_f16 v10, v5, v31, v10
	v_pk_fma_f16 v21, v5, v0, v21
	;; [unrolled: 1-line block ×8, first 2 shown]
	ds_read2_b32 v[4:5], v23 offset0:64 offset1:96
	ds_read_b128 v[0:3], v139 offset:9504
	s_waitcnt lgkmcnt(0)
	v_mul_u32_u24_sdwa v24, v0, v18 dst_sel:DWORD dst_unused:UNUSED_PAD src0_sel:WORD_0 src1_sel:DWORD
	v_mul_u32_u24_sdwa v25, v0, v18 dst_sel:DWORD dst_unused:UNUSED_PAD src0_sel:WORD_1 src1_sel:DWORD
	v_mul_u32_u24_sdwa v26, v1, v18 dst_sel:DWORD dst_unused:UNUSED_PAD src0_sel:WORD_0 src1_sel:DWORD
	v_mul_u32_u24_sdwa v27, v1, v18 dst_sel:DWORD dst_unused:UNUSED_PAD src0_sel:WORD_1 src1_sel:DWORD
	v_mul_u32_u24_sdwa v28, v2, v18 dst_sel:DWORD dst_unused:UNUSED_PAD src0_sel:WORD_0 src1_sel:DWORD
	v_mul_u32_u24_sdwa v29, v2, v18 dst_sel:DWORD dst_unused:UNUSED_PAD src0_sel:WORD_1 src1_sel:DWORD
	v_mul_u32_u24_sdwa v30, v3, v18 dst_sel:DWORD dst_unused:UNUSED_PAD src0_sel:WORD_0 src1_sel:DWORD
	v_mul_u32_u24_sdwa v31, v3, v18 dst_sel:DWORD dst_unused:UNUSED_PAD src0_sel:WORD_1 src1_sel:DWORD
	ds_read_b128 v[0:3], v139 offset:10528
	v_pk_fma_f16 v6, v4, v24, v6
	v_pk_fma_f16 v7, v4, v25, v7
	;; [unrolled: 1-line block ×8, first 2 shown]
	s_waitcnt lgkmcnt(0)
	v_mul_u32_u24_sdwa v32, v0, v18 dst_sel:DWORD dst_unused:UNUSED_PAD src0_sel:WORD_0 src1_sel:DWORD
	v_mul_u32_u24_sdwa v0, v0, v18 dst_sel:DWORD dst_unused:UNUSED_PAD src0_sel:WORD_1 src1_sel:DWORD
	v_mul_u32_u24_sdwa v33, v1, v18 dst_sel:DWORD dst_unused:UNUSED_PAD src0_sel:WORD_0 src1_sel:DWORD
	v_mul_u32_u24_sdwa v1, v1, v18 dst_sel:DWORD dst_unused:UNUSED_PAD src0_sel:WORD_1 src1_sel:DWORD
	;; [unrolled: 2-line block ×4, first 2 shown]
	v_pk_fma_f16 v10, v4, v32, v10
	v_pk_fma_f16 v21, v4, v0, v21
	;; [unrolled: 1-line block ×8, first 2 shown]
	ds_read_b128 v[0:3], v139 offset:9520
	s_waitcnt lgkmcnt(0)
	v_mul_u32_u24_sdwa v22, v0, v18 dst_sel:DWORD dst_unused:UNUSED_PAD src0_sel:WORD_0 src1_sel:DWORD
	v_mul_u32_u24_sdwa v24, v0, v18 dst_sel:DWORD dst_unused:UNUSED_PAD src0_sel:WORD_1 src1_sel:DWORD
	v_mul_u32_u24_sdwa v25, v1, v18 dst_sel:DWORD dst_unused:UNUSED_PAD src0_sel:WORD_0 src1_sel:DWORD
	v_mul_u32_u24_sdwa v26, v1, v18 dst_sel:DWORD dst_unused:UNUSED_PAD src0_sel:WORD_1 src1_sel:DWORD
	;; [unrolled: 2-line block ×4, first 2 shown]
	ds_read_b128 v[0:3], v139 offset:10544
	v_pk_fma_f16 v6, v5, v22, v6
	v_pk_fma_f16 v7, v5, v24, v7
	;; [unrolled: 1-line block ×8, first 2 shown]
	s_waitcnt lgkmcnt(0)
	v_mul_u32_u24_sdwa v31, v0, v18 dst_sel:DWORD dst_unused:UNUSED_PAD src0_sel:WORD_0 src1_sel:DWORD
	v_mul_u32_u24_sdwa v0, v0, v18 dst_sel:DWORD dst_unused:UNUSED_PAD src0_sel:WORD_1 src1_sel:DWORD
	v_mul_u32_u24_sdwa v32, v1, v18 dst_sel:DWORD dst_unused:UNUSED_PAD src0_sel:WORD_0 src1_sel:DWORD
	v_mul_u32_u24_sdwa v1, v1, v18 dst_sel:DWORD dst_unused:UNUSED_PAD src0_sel:WORD_1 src1_sel:DWORD
	;; [unrolled: 2-line block ×4, first 2 shown]
	v_pk_fma_f16 v10, v5, v31, v10
	v_pk_fma_f16 v21, v5, v0, v21
	;; [unrolled: 1-line block ×8, first 2 shown]
	ds_read2_b32 v[4:5], v23 offset0:128 offset1:160
	ds_read_b128 v[0:3], v139 offset:9536
	s_waitcnt lgkmcnt(0)
	v_mul_u32_u24_sdwa v24, v0, v18 dst_sel:DWORD dst_unused:UNUSED_PAD src0_sel:WORD_0 src1_sel:DWORD
	v_mul_u32_u24_sdwa v25, v0, v18 dst_sel:DWORD dst_unused:UNUSED_PAD src0_sel:WORD_1 src1_sel:DWORD
	v_mul_u32_u24_sdwa v26, v1, v18 dst_sel:DWORD dst_unused:UNUSED_PAD src0_sel:WORD_0 src1_sel:DWORD
	v_mul_u32_u24_sdwa v27, v1, v18 dst_sel:DWORD dst_unused:UNUSED_PAD src0_sel:WORD_1 src1_sel:DWORD
	v_mul_u32_u24_sdwa v28, v2, v18 dst_sel:DWORD dst_unused:UNUSED_PAD src0_sel:WORD_0 src1_sel:DWORD
	v_mul_u32_u24_sdwa v29, v2, v18 dst_sel:DWORD dst_unused:UNUSED_PAD src0_sel:WORD_1 src1_sel:DWORD
	v_mul_u32_u24_sdwa v30, v3, v18 dst_sel:DWORD dst_unused:UNUSED_PAD src0_sel:WORD_0 src1_sel:DWORD
	v_mul_u32_u24_sdwa v31, v3, v18 dst_sel:DWORD dst_unused:UNUSED_PAD src0_sel:WORD_1 src1_sel:DWORD
	ds_read_b128 v[0:3], v139 offset:10560
	v_pk_fma_f16 v6, v4, v24, v6
	v_pk_fma_f16 v7, v4, v25, v7
	v_pk_fma_f16 v16, v4, v26, v16
	v_pk_fma_f16 v17, v4, v27, v17
	v_pk_fma_f16 v19, v4, v28, v19
	v_pk_fma_f16 v20, v4, v29, v20
	v_pk_fma_f16 v8, v4, v30, v8
	v_pk_fma_f16 v9, v4, v31, v9
	s_waitcnt lgkmcnt(0)
	v_mul_u32_u24_sdwa v32, v0, v18 dst_sel:DWORD dst_unused:UNUSED_PAD src0_sel:WORD_0 src1_sel:DWORD
	v_mul_u32_u24_sdwa v0, v0, v18 dst_sel:DWORD dst_unused:UNUSED_PAD src0_sel:WORD_1 src1_sel:DWORD
	v_mul_u32_u24_sdwa v33, v1, v18 dst_sel:DWORD dst_unused:UNUSED_PAD src0_sel:WORD_0 src1_sel:DWORD
	v_mul_u32_u24_sdwa v1, v1, v18 dst_sel:DWORD dst_unused:UNUSED_PAD src0_sel:WORD_1 src1_sel:DWORD
	v_mul_u32_u24_sdwa v72, v2, v18 dst_sel:DWORD dst_unused:UNUSED_PAD src0_sel:WORD_0 src1_sel:DWORD
	v_mul_u32_u24_sdwa v2, v2, v18 dst_sel:DWORD dst_unused:UNUSED_PAD src0_sel:WORD_1 src1_sel:DWORD
	v_mul_u32_u24_sdwa v73, v3, v18 dst_sel:DWORD dst_unused:UNUSED_PAD src0_sel:WORD_0 src1_sel:DWORD
	v_mul_u32_u24_sdwa v3, v3, v18 dst_sel:DWORD dst_unused:UNUSED_PAD src0_sel:WORD_1 src1_sel:DWORD
	v_pk_fma_f16 v10, v4, v32, v10
	v_pk_fma_f16 v21, v4, v0, v21
	;; [unrolled: 1-line block ×8, first 2 shown]
	ds_read_b128 v[0:3], v139 offset:9552
	s_waitcnt lgkmcnt(0)
	v_mul_u32_u24_sdwa v22, v0, v18 dst_sel:DWORD dst_unused:UNUSED_PAD src0_sel:WORD_0 src1_sel:DWORD
	v_mul_u32_u24_sdwa v24, v0, v18 dst_sel:DWORD dst_unused:UNUSED_PAD src0_sel:WORD_1 src1_sel:DWORD
	v_mul_u32_u24_sdwa v25, v1, v18 dst_sel:DWORD dst_unused:UNUSED_PAD src0_sel:WORD_0 src1_sel:DWORD
	v_mul_u32_u24_sdwa v26, v1, v18 dst_sel:DWORD dst_unused:UNUSED_PAD src0_sel:WORD_1 src1_sel:DWORD
	;; [unrolled: 2-line block ×4, first 2 shown]
	ds_read_b128 v[0:3], v139 offset:10576
	v_pk_fma_f16 v6, v5, v22, v6
	v_pk_fma_f16 v7, v5, v24, v7
	;; [unrolled: 1-line block ×8, first 2 shown]
	s_waitcnt lgkmcnt(0)
	v_mul_u32_u24_sdwa v31, v0, v18 dst_sel:DWORD dst_unused:UNUSED_PAD src0_sel:WORD_0 src1_sel:DWORD
	v_mul_u32_u24_sdwa v0, v0, v18 dst_sel:DWORD dst_unused:UNUSED_PAD src0_sel:WORD_1 src1_sel:DWORD
	v_mul_u32_u24_sdwa v32, v1, v18 dst_sel:DWORD dst_unused:UNUSED_PAD src0_sel:WORD_0 src1_sel:DWORD
	v_mul_u32_u24_sdwa v1, v1, v18 dst_sel:DWORD dst_unused:UNUSED_PAD src0_sel:WORD_1 src1_sel:DWORD
	v_mul_u32_u24_sdwa v33, v2, v18 dst_sel:DWORD dst_unused:UNUSED_PAD src0_sel:WORD_0 src1_sel:DWORD
	v_mul_u32_u24_sdwa v2, v2, v18 dst_sel:DWORD dst_unused:UNUSED_PAD src0_sel:WORD_1 src1_sel:DWORD
	v_mul_u32_u24_sdwa v72, v3, v18 dst_sel:DWORD dst_unused:UNUSED_PAD src0_sel:WORD_0 src1_sel:DWORD
	v_mul_u32_u24_sdwa v3, v3, v18 dst_sel:DWORD dst_unused:UNUSED_PAD src0_sel:WORD_1 src1_sel:DWORD
	v_pk_fma_f16 v10, v5, v31, v10
	v_pk_fma_f16 v21, v5, v0, v21
	;; [unrolled: 1-line block ×8, first 2 shown]
	ds_read2_b32 v[4:5], v23 offset0:192 offset1:224
	ds_read_b128 v[0:3], v139 offset:9568
	s_waitcnt lgkmcnt(0)
	v_mul_u32_u24_sdwa v23, v0, v18 dst_sel:DWORD dst_unused:UNUSED_PAD src0_sel:WORD_0 src1_sel:DWORD
	v_mul_u32_u24_sdwa v24, v0, v18 dst_sel:DWORD dst_unused:UNUSED_PAD src0_sel:WORD_1 src1_sel:DWORD
	v_mul_u32_u24_sdwa v25, v1, v18 dst_sel:DWORD dst_unused:UNUSED_PAD src0_sel:WORD_0 src1_sel:DWORD
	v_mul_u32_u24_sdwa v26, v1, v18 dst_sel:DWORD dst_unused:UNUSED_PAD src0_sel:WORD_1 src1_sel:DWORD
	;; [unrolled: 2-line block ×4, first 2 shown]
	ds_read_b128 v[0:3], v139 offset:10592
	v_pk_fma_f16 v6, v4, v23, v6
	v_pk_fma_f16 v7, v4, v24, v7
	;; [unrolled: 1-line block ×8, first 2 shown]
	s_waitcnt lgkmcnt(0)
	v_mul_u32_u24_sdwa v31, v0, v18 dst_sel:DWORD dst_unused:UNUSED_PAD src0_sel:WORD_0 src1_sel:DWORD
	v_mul_u32_u24_sdwa v0, v0, v18 dst_sel:DWORD dst_unused:UNUSED_PAD src0_sel:WORD_1 src1_sel:DWORD
	v_mul_u32_u24_sdwa v32, v1, v18 dst_sel:DWORD dst_unused:UNUSED_PAD src0_sel:WORD_0 src1_sel:DWORD
	v_mul_u32_u24_sdwa v1, v1, v18 dst_sel:DWORD dst_unused:UNUSED_PAD src0_sel:WORD_1 src1_sel:DWORD
	;; [unrolled: 2-line block ×4, first 2 shown]
	v_pk_fma_f16 v10, v4, v31, v10
	v_pk_fma_f16 v21, v4, v0, v21
	;; [unrolled: 1-line block ×8, first 2 shown]
	ds_read_b128 v[0:3], v139 offset:9584
	s_waitcnt lgkmcnt(0)
	v_mul_u32_u24_sdwa v22, v0, v18 dst_sel:DWORD dst_unused:UNUSED_PAD src0_sel:WORD_0 src1_sel:DWORD
	v_mul_u32_u24_sdwa v23, v0, v18 dst_sel:DWORD dst_unused:UNUSED_PAD src0_sel:WORD_1 src1_sel:DWORD
	v_mul_u32_u24_sdwa v24, v1, v18 dst_sel:DWORD dst_unused:UNUSED_PAD src0_sel:WORD_0 src1_sel:DWORD
	v_mul_u32_u24_sdwa v25, v1, v18 dst_sel:DWORD dst_unused:UNUSED_PAD src0_sel:WORD_1 src1_sel:DWORD
	;; [unrolled: 2-line block ×4, first 2 shown]
	ds_read_b128 v[0:3], v139 offset:10608
	v_pk_fma_f16 v7, v5, v23, v7
	v_add_nc_u32_e32 v23, 0xc00, v140
	v_pk_fma_f16 v6, v5, v22, v6
	v_pk_fma_f16 v16, v5, v24, v16
	v_pk_fma_f16 v17, v5, v25, v17
	v_pk_fma_f16 v19, v5, v26, v19
	v_pk_fma_f16 v20, v5, v27, v20
	v_pk_fma_f16 v8, v5, v28, v8
	v_pk_fma_f16 v9, v5, v29, v9
	s_waitcnt lgkmcnt(0)
	v_mul_u32_u24_sdwa v30, v0, v18 dst_sel:DWORD dst_unused:UNUSED_PAD src0_sel:WORD_0 src1_sel:DWORD
	v_mul_u32_u24_sdwa v0, v0, v18 dst_sel:DWORD dst_unused:UNUSED_PAD src0_sel:WORD_1 src1_sel:DWORD
	v_mul_u32_u24_sdwa v31, v1, v18 dst_sel:DWORD dst_unused:UNUSED_PAD src0_sel:WORD_0 src1_sel:DWORD
	v_mul_u32_u24_sdwa v1, v1, v18 dst_sel:DWORD dst_unused:UNUSED_PAD src0_sel:WORD_1 src1_sel:DWORD
	;; [unrolled: 2-line block ×4, first 2 shown]
	v_pk_fma_f16 v10, v5, v30, v10
	v_pk_fma_f16 v21, v5, v0, v21
	;; [unrolled: 1-line block ×8, first 2 shown]
	ds_read2_b32 v[4:5], v23 offset1:32
	ds_read_b128 v[0:3], v139 offset:9600
	s_waitcnt lgkmcnt(0)
	v_mul_u32_u24_sdwa v24, v0, v18 dst_sel:DWORD dst_unused:UNUSED_PAD src0_sel:WORD_0 src1_sel:DWORD
	v_mul_u32_u24_sdwa v25, v0, v18 dst_sel:DWORD dst_unused:UNUSED_PAD src0_sel:WORD_1 src1_sel:DWORD
	v_mul_u32_u24_sdwa v26, v1, v18 dst_sel:DWORD dst_unused:UNUSED_PAD src0_sel:WORD_0 src1_sel:DWORD
	v_mul_u32_u24_sdwa v27, v1, v18 dst_sel:DWORD dst_unused:UNUSED_PAD src0_sel:WORD_1 src1_sel:DWORD
	;; [unrolled: 2-line block ×4, first 2 shown]
	ds_read_b128 v[0:3], v139 offset:10624
	v_pk_fma_f16 v6, v4, v24, v6
	v_pk_fma_f16 v7, v4, v25, v7
	;; [unrolled: 1-line block ×8, first 2 shown]
	s_waitcnt lgkmcnt(0)
	v_mul_u32_u24_sdwa v32, v0, v18 dst_sel:DWORD dst_unused:UNUSED_PAD src0_sel:WORD_0 src1_sel:DWORD
	v_mul_u32_u24_sdwa v0, v0, v18 dst_sel:DWORD dst_unused:UNUSED_PAD src0_sel:WORD_1 src1_sel:DWORD
	v_mul_u32_u24_sdwa v33, v1, v18 dst_sel:DWORD dst_unused:UNUSED_PAD src0_sel:WORD_0 src1_sel:DWORD
	v_mul_u32_u24_sdwa v1, v1, v18 dst_sel:DWORD dst_unused:UNUSED_PAD src0_sel:WORD_1 src1_sel:DWORD
	;; [unrolled: 2-line block ×4, first 2 shown]
	v_pk_fma_f16 v10, v4, v32, v10
	v_pk_fma_f16 v21, v4, v0, v21
	;; [unrolled: 1-line block ×8, first 2 shown]
	ds_read_b128 v[0:3], v139 offset:9616
	s_waitcnt lgkmcnt(0)
	v_mul_u32_u24_sdwa v22, v0, v18 dst_sel:DWORD dst_unused:UNUSED_PAD src0_sel:WORD_0 src1_sel:DWORD
	v_mul_u32_u24_sdwa v24, v0, v18 dst_sel:DWORD dst_unused:UNUSED_PAD src0_sel:WORD_1 src1_sel:DWORD
	v_mul_u32_u24_sdwa v25, v1, v18 dst_sel:DWORD dst_unused:UNUSED_PAD src0_sel:WORD_0 src1_sel:DWORD
	v_mul_u32_u24_sdwa v26, v1, v18 dst_sel:DWORD dst_unused:UNUSED_PAD src0_sel:WORD_1 src1_sel:DWORD
	;; [unrolled: 2-line block ×4, first 2 shown]
	ds_read_b128 v[0:3], v139 offset:10640
	v_pk_fma_f16 v6, v5, v22, v6
	v_pk_fma_f16 v7, v5, v24, v7
	;; [unrolled: 1-line block ×8, first 2 shown]
	s_waitcnt lgkmcnt(0)
	v_mul_u32_u24_sdwa v31, v0, v18 dst_sel:DWORD dst_unused:UNUSED_PAD src0_sel:WORD_0 src1_sel:DWORD
	v_mul_u32_u24_sdwa v0, v0, v18 dst_sel:DWORD dst_unused:UNUSED_PAD src0_sel:WORD_1 src1_sel:DWORD
	v_mul_u32_u24_sdwa v32, v1, v18 dst_sel:DWORD dst_unused:UNUSED_PAD src0_sel:WORD_0 src1_sel:DWORD
	v_mul_u32_u24_sdwa v1, v1, v18 dst_sel:DWORD dst_unused:UNUSED_PAD src0_sel:WORD_1 src1_sel:DWORD
	v_mul_u32_u24_sdwa v33, v2, v18 dst_sel:DWORD dst_unused:UNUSED_PAD src0_sel:WORD_0 src1_sel:DWORD
	v_mul_u32_u24_sdwa v2, v2, v18 dst_sel:DWORD dst_unused:UNUSED_PAD src0_sel:WORD_1 src1_sel:DWORD
	v_mul_u32_u24_sdwa v72, v3, v18 dst_sel:DWORD dst_unused:UNUSED_PAD src0_sel:WORD_0 src1_sel:DWORD
	v_mul_u32_u24_sdwa v3, v3, v18 dst_sel:DWORD dst_unused:UNUSED_PAD src0_sel:WORD_1 src1_sel:DWORD
	v_pk_fma_f16 v10, v5, v31, v10
	v_pk_fma_f16 v21, v5, v0, v21
	v_pk_fma_f16 v11, v5, v32, v11
	v_pk_fma_f16 v12, v5, v1, v12
	v_pk_fma_f16 v13, v5, v33, v13
	v_pk_fma_f16 v14, v5, v2, v14
	v_pk_fma_f16 v15, v5, v72, v15
	v_pk_fma_f16 v22, v5, v3, v4
	ds_read2_b32 v[4:5], v23 offset0:64 offset1:96
	ds_read_b128 v[0:3], v139 offset:9632
	s_waitcnt lgkmcnt(0)
	v_mul_u32_u24_sdwa v24, v0, v18 dst_sel:DWORD dst_unused:UNUSED_PAD src0_sel:WORD_0 src1_sel:DWORD
	v_mul_u32_u24_sdwa v25, v0, v18 dst_sel:DWORD dst_unused:UNUSED_PAD src0_sel:WORD_1 src1_sel:DWORD
	v_mul_u32_u24_sdwa v26, v1, v18 dst_sel:DWORD dst_unused:UNUSED_PAD src0_sel:WORD_0 src1_sel:DWORD
	v_mul_u32_u24_sdwa v27, v1, v18 dst_sel:DWORD dst_unused:UNUSED_PAD src0_sel:WORD_1 src1_sel:DWORD
	;; [unrolled: 2-line block ×4, first 2 shown]
	ds_read_b128 v[0:3], v139 offset:10656
	v_pk_fma_f16 v6, v4, v24, v6
	v_pk_fma_f16 v7, v4, v25, v7
	;; [unrolled: 1-line block ×8, first 2 shown]
	s_waitcnt lgkmcnt(0)
	v_mul_u32_u24_sdwa v32, v0, v18 dst_sel:DWORD dst_unused:UNUSED_PAD src0_sel:WORD_0 src1_sel:DWORD
	v_mul_u32_u24_sdwa v0, v0, v18 dst_sel:DWORD dst_unused:UNUSED_PAD src0_sel:WORD_1 src1_sel:DWORD
	v_mul_u32_u24_sdwa v33, v1, v18 dst_sel:DWORD dst_unused:UNUSED_PAD src0_sel:WORD_0 src1_sel:DWORD
	v_mul_u32_u24_sdwa v1, v1, v18 dst_sel:DWORD dst_unused:UNUSED_PAD src0_sel:WORD_1 src1_sel:DWORD
	v_mul_u32_u24_sdwa v72, v2, v18 dst_sel:DWORD dst_unused:UNUSED_PAD src0_sel:WORD_0 src1_sel:DWORD
	v_mul_u32_u24_sdwa v2, v2, v18 dst_sel:DWORD dst_unused:UNUSED_PAD src0_sel:WORD_1 src1_sel:DWORD
	v_mul_u32_u24_sdwa v73, v3, v18 dst_sel:DWORD dst_unused:UNUSED_PAD src0_sel:WORD_0 src1_sel:DWORD
	v_mul_u32_u24_sdwa v3, v3, v18 dst_sel:DWORD dst_unused:UNUSED_PAD src0_sel:WORD_1 src1_sel:DWORD
	v_pk_fma_f16 v10, v4, v32, v10
	v_pk_fma_f16 v21, v4, v0, v21
	;; [unrolled: 1-line block ×8, first 2 shown]
	ds_read_b128 v[0:3], v139 offset:9648
	s_waitcnt lgkmcnt(0)
	v_mul_u32_u24_sdwa v22, v0, v18 dst_sel:DWORD dst_unused:UNUSED_PAD src0_sel:WORD_0 src1_sel:DWORD
	v_mul_u32_u24_sdwa v24, v0, v18 dst_sel:DWORD dst_unused:UNUSED_PAD src0_sel:WORD_1 src1_sel:DWORD
	v_mul_u32_u24_sdwa v25, v1, v18 dst_sel:DWORD dst_unused:UNUSED_PAD src0_sel:WORD_0 src1_sel:DWORD
	v_mul_u32_u24_sdwa v26, v1, v18 dst_sel:DWORD dst_unused:UNUSED_PAD src0_sel:WORD_1 src1_sel:DWORD
	;; [unrolled: 2-line block ×4, first 2 shown]
	ds_read_b128 v[0:3], v139 offset:10672
	v_pk_fma_f16 v6, v5, v22, v6
	v_pk_fma_f16 v7, v5, v24, v7
	;; [unrolled: 1-line block ×8, first 2 shown]
	s_waitcnt lgkmcnt(0)
	v_mul_u32_u24_sdwa v31, v0, v18 dst_sel:DWORD dst_unused:UNUSED_PAD src0_sel:WORD_0 src1_sel:DWORD
	v_mul_u32_u24_sdwa v0, v0, v18 dst_sel:DWORD dst_unused:UNUSED_PAD src0_sel:WORD_1 src1_sel:DWORD
	v_mul_u32_u24_sdwa v32, v1, v18 dst_sel:DWORD dst_unused:UNUSED_PAD src0_sel:WORD_0 src1_sel:DWORD
	v_mul_u32_u24_sdwa v1, v1, v18 dst_sel:DWORD dst_unused:UNUSED_PAD src0_sel:WORD_1 src1_sel:DWORD
	;; [unrolled: 2-line block ×4, first 2 shown]
	v_pk_fma_f16 v10, v5, v31, v10
	v_pk_fma_f16 v21, v5, v0, v21
	;; [unrolled: 1-line block ×8, first 2 shown]
	ds_read2_b32 v[4:5], v23 offset0:128 offset1:160
	ds_read_b128 v[0:3], v139 offset:9664
	s_waitcnt lgkmcnt(0)
	v_mul_u32_u24_sdwa v24, v0, v18 dst_sel:DWORD dst_unused:UNUSED_PAD src0_sel:WORD_0 src1_sel:DWORD
	v_mul_u32_u24_sdwa v25, v0, v18 dst_sel:DWORD dst_unused:UNUSED_PAD src0_sel:WORD_1 src1_sel:DWORD
	v_mul_u32_u24_sdwa v26, v1, v18 dst_sel:DWORD dst_unused:UNUSED_PAD src0_sel:WORD_0 src1_sel:DWORD
	v_mul_u32_u24_sdwa v27, v1, v18 dst_sel:DWORD dst_unused:UNUSED_PAD src0_sel:WORD_1 src1_sel:DWORD
	;; [unrolled: 2-line block ×4, first 2 shown]
	ds_read_b128 v[0:3], v139 offset:10688
	v_pk_fma_f16 v6, v4, v24, v6
	v_pk_fma_f16 v7, v4, v25, v7
	;; [unrolled: 1-line block ×8, first 2 shown]
	s_waitcnt lgkmcnt(0)
	v_mul_u32_u24_sdwa v32, v0, v18 dst_sel:DWORD dst_unused:UNUSED_PAD src0_sel:WORD_0 src1_sel:DWORD
	v_mul_u32_u24_sdwa v0, v0, v18 dst_sel:DWORD dst_unused:UNUSED_PAD src0_sel:WORD_1 src1_sel:DWORD
	v_mul_u32_u24_sdwa v33, v1, v18 dst_sel:DWORD dst_unused:UNUSED_PAD src0_sel:WORD_0 src1_sel:DWORD
	v_mul_u32_u24_sdwa v1, v1, v18 dst_sel:DWORD dst_unused:UNUSED_PAD src0_sel:WORD_1 src1_sel:DWORD
	;; [unrolled: 2-line block ×4, first 2 shown]
	v_pk_fma_f16 v10, v4, v32, v10
	v_pk_fma_f16 v21, v4, v0, v21
	;; [unrolled: 1-line block ×8, first 2 shown]
	ds_read_b128 v[0:3], v139 offset:9680
	s_waitcnt lgkmcnt(0)
	v_mul_u32_u24_sdwa v22, v0, v18 dst_sel:DWORD dst_unused:UNUSED_PAD src0_sel:WORD_0 src1_sel:DWORD
	v_mul_u32_u24_sdwa v24, v0, v18 dst_sel:DWORD dst_unused:UNUSED_PAD src0_sel:WORD_1 src1_sel:DWORD
	v_mul_u32_u24_sdwa v25, v1, v18 dst_sel:DWORD dst_unused:UNUSED_PAD src0_sel:WORD_0 src1_sel:DWORD
	v_mul_u32_u24_sdwa v26, v1, v18 dst_sel:DWORD dst_unused:UNUSED_PAD src0_sel:WORD_1 src1_sel:DWORD
	v_mul_u32_u24_sdwa v27, v2, v18 dst_sel:DWORD dst_unused:UNUSED_PAD src0_sel:WORD_0 src1_sel:DWORD
	v_mul_u32_u24_sdwa v28, v2, v18 dst_sel:DWORD dst_unused:UNUSED_PAD src0_sel:WORD_1 src1_sel:DWORD
	v_mul_u32_u24_sdwa v29, v3, v18 dst_sel:DWORD dst_unused:UNUSED_PAD src0_sel:WORD_0 src1_sel:DWORD
	v_mul_u32_u24_sdwa v30, v3, v18 dst_sel:DWORD dst_unused:UNUSED_PAD src0_sel:WORD_1 src1_sel:DWORD
	ds_read_b128 v[0:3], v139 offset:10704
	v_pk_fma_f16 v6, v5, v22, v6
	v_pk_fma_f16 v7, v5, v24, v7
	;; [unrolled: 1-line block ×8, first 2 shown]
	s_waitcnt lgkmcnt(0)
	v_mul_u32_u24_sdwa v31, v0, v18 dst_sel:DWORD dst_unused:UNUSED_PAD src0_sel:WORD_0 src1_sel:DWORD
	v_mul_u32_u24_sdwa v0, v0, v18 dst_sel:DWORD dst_unused:UNUSED_PAD src0_sel:WORD_1 src1_sel:DWORD
	v_mul_u32_u24_sdwa v32, v1, v18 dst_sel:DWORD dst_unused:UNUSED_PAD src0_sel:WORD_0 src1_sel:DWORD
	v_mul_u32_u24_sdwa v1, v1, v18 dst_sel:DWORD dst_unused:UNUSED_PAD src0_sel:WORD_1 src1_sel:DWORD
	;; [unrolled: 2-line block ×4, first 2 shown]
	v_pk_fma_f16 v10, v5, v31, v10
	v_pk_fma_f16 v21, v5, v0, v21
	;; [unrolled: 1-line block ×8, first 2 shown]
	ds_read2_b32 v[4:5], v23 offset0:192 offset1:224
	ds_read_b128 v[0:3], v139 offset:9696
	s_waitcnt lgkmcnt(0)
	v_mul_u32_u24_sdwa v23, v0, v18 dst_sel:DWORD dst_unused:UNUSED_PAD src0_sel:WORD_0 src1_sel:DWORD
	v_mul_u32_u24_sdwa v24, v0, v18 dst_sel:DWORD dst_unused:UNUSED_PAD src0_sel:WORD_1 src1_sel:DWORD
	v_mul_u32_u24_sdwa v25, v1, v18 dst_sel:DWORD dst_unused:UNUSED_PAD src0_sel:WORD_0 src1_sel:DWORD
	v_mul_u32_u24_sdwa v26, v1, v18 dst_sel:DWORD dst_unused:UNUSED_PAD src0_sel:WORD_1 src1_sel:DWORD
	;; [unrolled: 2-line block ×4, first 2 shown]
	ds_read_b128 v[0:3], v139 offset:10720
	v_pk_fma_f16 v6, v4, v23, v6
	v_pk_fma_f16 v7, v4, v24, v7
	;; [unrolled: 1-line block ×8, first 2 shown]
	s_waitcnt lgkmcnt(0)
	v_mul_u32_u24_sdwa v31, v0, v18 dst_sel:DWORD dst_unused:UNUSED_PAD src0_sel:WORD_0 src1_sel:DWORD
	v_mul_u32_u24_sdwa v0, v0, v18 dst_sel:DWORD dst_unused:UNUSED_PAD src0_sel:WORD_1 src1_sel:DWORD
	v_mul_u32_u24_sdwa v32, v1, v18 dst_sel:DWORD dst_unused:UNUSED_PAD src0_sel:WORD_0 src1_sel:DWORD
	v_mul_u32_u24_sdwa v1, v1, v18 dst_sel:DWORD dst_unused:UNUSED_PAD src0_sel:WORD_1 src1_sel:DWORD
	;; [unrolled: 2-line block ×4, first 2 shown]
	v_pk_fma_f16 v10, v4, v31, v10
	v_pk_fma_f16 v21, v4, v0, v21
	;; [unrolled: 1-line block ×8, first 2 shown]
	ds_read_b128 v[0:3], v139 offset:9712
	s_waitcnt lgkmcnt(0)
	v_mul_u32_u24_sdwa v22, v0, v18 dst_sel:DWORD dst_unused:UNUSED_PAD src0_sel:WORD_0 src1_sel:DWORD
	v_mul_u32_u24_sdwa v23, v0, v18 dst_sel:DWORD dst_unused:UNUSED_PAD src0_sel:WORD_1 src1_sel:DWORD
	v_mul_u32_u24_sdwa v24, v1, v18 dst_sel:DWORD dst_unused:UNUSED_PAD src0_sel:WORD_0 src1_sel:DWORD
	v_mul_u32_u24_sdwa v25, v1, v18 dst_sel:DWORD dst_unused:UNUSED_PAD src0_sel:WORD_1 src1_sel:DWORD
	;; [unrolled: 2-line block ×4, first 2 shown]
	ds_read_b128 v[0:3], v139 offset:10736
	v_pk_fma_f16 v7, v5, v23, v7
	v_add_nc_u32_e32 v23, 0x1000, v140
	v_pk_fma_f16 v6, v5, v22, v6
	v_pk_fma_f16 v16, v5, v24, v16
	;; [unrolled: 1-line block ×7, first 2 shown]
	s_waitcnt lgkmcnt(0)
	v_mul_u32_u24_sdwa v30, v0, v18 dst_sel:DWORD dst_unused:UNUSED_PAD src0_sel:WORD_0 src1_sel:DWORD
	v_mul_u32_u24_sdwa v0, v0, v18 dst_sel:DWORD dst_unused:UNUSED_PAD src0_sel:WORD_1 src1_sel:DWORD
	v_mul_u32_u24_sdwa v31, v1, v18 dst_sel:DWORD dst_unused:UNUSED_PAD src0_sel:WORD_0 src1_sel:DWORD
	v_mul_u32_u24_sdwa v1, v1, v18 dst_sel:DWORD dst_unused:UNUSED_PAD src0_sel:WORD_1 src1_sel:DWORD
	;; [unrolled: 2-line block ×4, first 2 shown]
	v_pk_fma_f16 v10, v5, v30, v10
	v_pk_fma_f16 v21, v5, v0, v21
	;; [unrolled: 1-line block ×8, first 2 shown]
	ds_read2_b32 v[4:5], v23 offset1:32
	ds_read_b128 v[0:3], v139 offset:9728
	s_waitcnt lgkmcnt(0)
	v_mul_u32_u24_sdwa v24, v0, v18 dst_sel:DWORD dst_unused:UNUSED_PAD src0_sel:WORD_0 src1_sel:DWORD
	v_mul_u32_u24_sdwa v25, v0, v18 dst_sel:DWORD dst_unused:UNUSED_PAD src0_sel:WORD_1 src1_sel:DWORD
	v_mul_u32_u24_sdwa v26, v1, v18 dst_sel:DWORD dst_unused:UNUSED_PAD src0_sel:WORD_0 src1_sel:DWORD
	v_mul_u32_u24_sdwa v27, v1, v18 dst_sel:DWORD dst_unused:UNUSED_PAD src0_sel:WORD_1 src1_sel:DWORD
	;; [unrolled: 2-line block ×4, first 2 shown]
	ds_read_b128 v[0:3], v139 offset:10752
	v_pk_fma_f16 v6, v4, v24, v6
	v_pk_fma_f16 v7, v4, v25, v7
	;; [unrolled: 1-line block ×8, first 2 shown]
	s_waitcnt lgkmcnt(0)
	v_mul_u32_u24_sdwa v32, v0, v18 dst_sel:DWORD dst_unused:UNUSED_PAD src0_sel:WORD_0 src1_sel:DWORD
	v_mul_u32_u24_sdwa v0, v0, v18 dst_sel:DWORD dst_unused:UNUSED_PAD src0_sel:WORD_1 src1_sel:DWORD
	v_mul_u32_u24_sdwa v33, v1, v18 dst_sel:DWORD dst_unused:UNUSED_PAD src0_sel:WORD_0 src1_sel:DWORD
	v_mul_u32_u24_sdwa v1, v1, v18 dst_sel:DWORD dst_unused:UNUSED_PAD src0_sel:WORD_1 src1_sel:DWORD
	;; [unrolled: 2-line block ×4, first 2 shown]
	v_pk_fma_f16 v10, v4, v32, v10
	v_pk_fma_f16 v21, v4, v0, v21
	;; [unrolled: 1-line block ×8, first 2 shown]
	ds_read_b128 v[0:3], v139 offset:9744
	s_waitcnt lgkmcnt(0)
	v_mul_u32_u24_sdwa v22, v0, v18 dst_sel:DWORD dst_unused:UNUSED_PAD src0_sel:WORD_0 src1_sel:DWORD
	v_mul_u32_u24_sdwa v24, v0, v18 dst_sel:DWORD dst_unused:UNUSED_PAD src0_sel:WORD_1 src1_sel:DWORD
	v_mul_u32_u24_sdwa v25, v1, v18 dst_sel:DWORD dst_unused:UNUSED_PAD src0_sel:WORD_0 src1_sel:DWORD
	v_mul_u32_u24_sdwa v26, v1, v18 dst_sel:DWORD dst_unused:UNUSED_PAD src0_sel:WORD_1 src1_sel:DWORD
	;; [unrolled: 2-line block ×4, first 2 shown]
	ds_read_b128 v[0:3], v139 offset:10768
	v_pk_fma_f16 v6, v5, v22, v6
	v_pk_fma_f16 v7, v5, v24, v7
	;; [unrolled: 1-line block ×8, first 2 shown]
	s_waitcnt lgkmcnt(0)
	v_mul_u32_u24_sdwa v31, v0, v18 dst_sel:DWORD dst_unused:UNUSED_PAD src0_sel:WORD_0 src1_sel:DWORD
	v_mul_u32_u24_sdwa v0, v0, v18 dst_sel:DWORD dst_unused:UNUSED_PAD src0_sel:WORD_1 src1_sel:DWORD
	v_mul_u32_u24_sdwa v32, v1, v18 dst_sel:DWORD dst_unused:UNUSED_PAD src0_sel:WORD_0 src1_sel:DWORD
	v_mul_u32_u24_sdwa v1, v1, v18 dst_sel:DWORD dst_unused:UNUSED_PAD src0_sel:WORD_1 src1_sel:DWORD
	;; [unrolled: 2-line block ×4, first 2 shown]
	v_pk_fma_f16 v10, v5, v31, v10
	v_pk_fma_f16 v21, v5, v0, v21
	;; [unrolled: 1-line block ×8, first 2 shown]
	ds_read2_b32 v[4:5], v23 offset0:64 offset1:96
	ds_read_b128 v[0:3], v139 offset:9760
	s_waitcnt lgkmcnt(0)
	v_mul_u32_u24_sdwa v24, v0, v18 dst_sel:DWORD dst_unused:UNUSED_PAD src0_sel:WORD_0 src1_sel:DWORD
	v_mul_u32_u24_sdwa v25, v0, v18 dst_sel:DWORD dst_unused:UNUSED_PAD src0_sel:WORD_1 src1_sel:DWORD
	v_mul_u32_u24_sdwa v26, v1, v18 dst_sel:DWORD dst_unused:UNUSED_PAD src0_sel:WORD_0 src1_sel:DWORD
	v_mul_u32_u24_sdwa v27, v1, v18 dst_sel:DWORD dst_unused:UNUSED_PAD src0_sel:WORD_1 src1_sel:DWORD
	;; [unrolled: 2-line block ×4, first 2 shown]
	ds_read_b128 v[0:3], v139 offset:10784
	v_pk_fma_f16 v6, v4, v24, v6
	v_pk_fma_f16 v7, v4, v25, v7
	v_pk_fma_f16 v16, v4, v26, v16
	v_pk_fma_f16 v17, v4, v27, v17
	v_pk_fma_f16 v19, v4, v28, v19
	v_pk_fma_f16 v20, v4, v29, v20
	v_pk_fma_f16 v8, v4, v30, v8
	v_pk_fma_f16 v9, v4, v31, v9
	s_waitcnt lgkmcnt(0)
	v_mul_u32_u24_sdwa v32, v0, v18 dst_sel:DWORD dst_unused:UNUSED_PAD src0_sel:WORD_0 src1_sel:DWORD
	v_mul_u32_u24_sdwa v0, v0, v18 dst_sel:DWORD dst_unused:UNUSED_PAD src0_sel:WORD_1 src1_sel:DWORD
	v_mul_u32_u24_sdwa v33, v1, v18 dst_sel:DWORD dst_unused:UNUSED_PAD src0_sel:WORD_0 src1_sel:DWORD
	v_mul_u32_u24_sdwa v1, v1, v18 dst_sel:DWORD dst_unused:UNUSED_PAD src0_sel:WORD_1 src1_sel:DWORD
	;; [unrolled: 2-line block ×4, first 2 shown]
	v_pk_fma_f16 v10, v4, v32, v10
	v_pk_fma_f16 v21, v4, v0, v21
	;; [unrolled: 1-line block ×8, first 2 shown]
	ds_read_b128 v[0:3], v139 offset:9776
	s_waitcnt lgkmcnt(0)
	v_mul_u32_u24_sdwa v22, v0, v18 dst_sel:DWORD dst_unused:UNUSED_PAD src0_sel:WORD_0 src1_sel:DWORD
	v_mul_u32_u24_sdwa v24, v0, v18 dst_sel:DWORD dst_unused:UNUSED_PAD src0_sel:WORD_1 src1_sel:DWORD
	v_mul_u32_u24_sdwa v25, v1, v18 dst_sel:DWORD dst_unused:UNUSED_PAD src0_sel:WORD_0 src1_sel:DWORD
	v_mul_u32_u24_sdwa v26, v1, v18 dst_sel:DWORD dst_unused:UNUSED_PAD src0_sel:WORD_1 src1_sel:DWORD
	;; [unrolled: 2-line block ×4, first 2 shown]
	ds_read_b128 v[0:3], v139 offset:10800
	v_pk_fma_f16 v6, v5, v22, v6
	v_pk_fma_f16 v7, v5, v24, v7
	;; [unrolled: 1-line block ×8, first 2 shown]
	s_waitcnt lgkmcnt(0)
	v_mul_u32_u24_sdwa v31, v0, v18 dst_sel:DWORD dst_unused:UNUSED_PAD src0_sel:WORD_0 src1_sel:DWORD
	v_mul_u32_u24_sdwa v0, v0, v18 dst_sel:DWORD dst_unused:UNUSED_PAD src0_sel:WORD_1 src1_sel:DWORD
	v_mul_u32_u24_sdwa v32, v1, v18 dst_sel:DWORD dst_unused:UNUSED_PAD src0_sel:WORD_0 src1_sel:DWORD
	v_mul_u32_u24_sdwa v1, v1, v18 dst_sel:DWORD dst_unused:UNUSED_PAD src0_sel:WORD_1 src1_sel:DWORD
	;; [unrolled: 2-line block ×4, first 2 shown]
	v_pk_fma_f16 v10, v5, v31, v10
	v_pk_fma_f16 v21, v5, v0, v21
	;; [unrolled: 1-line block ×8, first 2 shown]
	ds_read2_b32 v[4:5], v23 offset0:128 offset1:160
	ds_read_b128 v[0:3], v139 offset:9792
	s_waitcnt lgkmcnt(0)
	v_mul_u32_u24_sdwa v24, v0, v18 dst_sel:DWORD dst_unused:UNUSED_PAD src0_sel:WORD_0 src1_sel:DWORD
	v_mul_u32_u24_sdwa v25, v0, v18 dst_sel:DWORD dst_unused:UNUSED_PAD src0_sel:WORD_1 src1_sel:DWORD
	v_mul_u32_u24_sdwa v26, v1, v18 dst_sel:DWORD dst_unused:UNUSED_PAD src0_sel:WORD_0 src1_sel:DWORD
	v_mul_u32_u24_sdwa v27, v1, v18 dst_sel:DWORD dst_unused:UNUSED_PAD src0_sel:WORD_1 src1_sel:DWORD
	;; [unrolled: 2-line block ×4, first 2 shown]
	ds_read_b128 v[0:3], v139 offset:10816
	v_pk_fma_f16 v6, v4, v24, v6
	v_pk_fma_f16 v7, v4, v25, v7
	v_pk_fma_f16 v16, v4, v26, v16
	v_pk_fma_f16 v17, v4, v27, v17
	v_pk_fma_f16 v19, v4, v28, v19
	v_pk_fma_f16 v20, v4, v29, v20
	v_pk_fma_f16 v8, v4, v30, v8
	v_pk_fma_f16 v9, v4, v31, v9
	s_waitcnt lgkmcnt(0)
	v_mul_u32_u24_sdwa v32, v0, v18 dst_sel:DWORD dst_unused:UNUSED_PAD src0_sel:WORD_0 src1_sel:DWORD
	v_mul_u32_u24_sdwa v0, v0, v18 dst_sel:DWORD dst_unused:UNUSED_PAD src0_sel:WORD_1 src1_sel:DWORD
	v_mul_u32_u24_sdwa v33, v1, v18 dst_sel:DWORD dst_unused:UNUSED_PAD src0_sel:WORD_0 src1_sel:DWORD
	v_mul_u32_u24_sdwa v1, v1, v18 dst_sel:DWORD dst_unused:UNUSED_PAD src0_sel:WORD_1 src1_sel:DWORD
	;; [unrolled: 2-line block ×4, first 2 shown]
	v_pk_fma_f16 v10, v4, v32, v10
	v_pk_fma_f16 v21, v4, v0, v21
	v_pk_fma_f16 v11, v4, v33, v11
	v_pk_fma_f16 v12, v4, v1, v12
	v_pk_fma_f16 v13, v4, v72, v13
	v_pk_fma_f16 v14, v4, v2, v14
	v_pk_fma_f16 v15, v4, v73, v15
	v_pk_fma_f16 v4, v4, v3, v22
	ds_read_b128 v[0:3], v139 offset:9808
	s_waitcnt lgkmcnt(0)
	v_mul_u32_u24_sdwa v22, v0, v18 dst_sel:DWORD dst_unused:UNUSED_PAD src0_sel:WORD_0 src1_sel:DWORD
	v_mul_u32_u24_sdwa v24, v0, v18 dst_sel:DWORD dst_unused:UNUSED_PAD src0_sel:WORD_1 src1_sel:DWORD
	v_mul_u32_u24_sdwa v25, v1, v18 dst_sel:DWORD dst_unused:UNUSED_PAD src0_sel:WORD_0 src1_sel:DWORD
	v_mul_u32_u24_sdwa v26, v1, v18 dst_sel:DWORD dst_unused:UNUSED_PAD src0_sel:WORD_1 src1_sel:DWORD
	;; [unrolled: 2-line block ×4, first 2 shown]
	ds_read_b128 v[0:3], v139 offset:10832
	v_pk_fma_f16 v6, v5, v22, v6
	v_pk_fma_f16 v7, v5, v24, v7
	;; [unrolled: 1-line block ×8, first 2 shown]
	s_waitcnt lgkmcnt(0)
	v_mul_u32_u24_sdwa v31, v0, v18 dst_sel:DWORD dst_unused:UNUSED_PAD src0_sel:WORD_0 src1_sel:DWORD
	v_mul_u32_u24_sdwa v0, v0, v18 dst_sel:DWORD dst_unused:UNUSED_PAD src0_sel:WORD_1 src1_sel:DWORD
	v_mul_u32_u24_sdwa v32, v1, v18 dst_sel:DWORD dst_unused:UNUSED_PAD src0_sel:WORD_0 src1_sel:DWORD
	v_mul_u32_u24_sdwa v1, v1, v18 dst_sel:DWORD dst_unused:UNUSED_PAD src0_sel:WORD_1 src1_sel:DWORD
	;; [unrolled: 2-line block ×4, first 2 shown]
	v_pk_fma_f16 v10, v5, v31, v10
	v_pk_fma_f16 v21, v5, v0, v21
	;; [unrolled: 1-line block ×8, first 2 shown]
	ds_read2_b32 v[4:5], v23 offset0:192 offset1:224
	ds_read_b128 v[0:3], v139 offset:9824
	s_waitcnt lgkmcnt(0)
	v_mul_u32_u24_sdwa v23, v0, v18 dst_sel:DWORD dst_unused:UNUSED_PAD src0_sel:WORD_0 src1_sel:DWORD
	v_mul_u32_u24_sdwa v24, v0, v18 dst_sel:DWORD dst_unused:UNUSED_PAD src0_sel:WORD_1 src1_sel:DWORD
	v_mul_u32_u24_sdwa v25, v1, v18 dst_sel:DWORD dst_unused:UNUSED_PAD src0_sel:WORD_0 src1_sel:DWORD
	v_mul_u32_u24_sdwa v26, v1, v18 dst_sel:DWORD dst_unused:UNUSED_PAD src0_sel:WORD_1 src1_sel:DWORD
	;; [unrolled: 2-line block ×4, first 2 shown]
	ds_read_b128 v[0:3], v139 offset:10848
	v_pk_fma_f16 v6, v4, v23, v6
	v_pk_fma_f16 v7, v4, v24, v7
	;; [unrolled: 1-line block ×8, first 2 shown]
	s_waitcnt lgkmcnt(0)
	v_mul_u32_u24_sdwa v31, v0, v18 dst_sel:DWORD dst_unused:UNUSED_PAD src0_sel:WORD_0 src1_sel:DWORD
	v_mul_u32_u24_sdwa v0, v0, v18 dst_sel:DWORD dst_unused:UNUSED_PAD src0_sel:WORD_1 src1_sel:DWORD
	v_mul_u32_u24_sdwa v32, v1, v18 dst_sel:DWORD dst_unused:UNUSED_PAD src0_sel:WORD_0 src1_sel:DWORD
	v_mul_u32_u24_sdwa v1, v1, v18 dst_sel:DWORD dst_unused:UNUSED_PAD src0_sel:WORD_1 src1_sel:DWORD
	;; [unrolled: 2-line block ×4, first 2 shown]
	v_pk_fma_f16 v10, v4, v31, v10
	v_pk_fma_f16 v21, v4, v0, v21
	;; [unrolled: 1-line block ×8, first 2 shown]
	ds_read_b128 v[0:3], v139 offset:9840
	s_waitcnt lgkmcnt(0)
	v_mul_u32_u24_sdwa v22, v0, v18 dst_sel:DWORD dst_unused:UNUSED_PAD src0_sel:WORD_0 src1_sel:DWORD
	v_mul_u32_u24_sdwa v23, v0, v18 dst_sel:DWORD dst_unused:UNUSED_PAD src0_sel:WORD_1 src1_sel:DWORD
	v_mul_u32_u24_sdwa v24, v1, v18 dst_sel:DWORD dst_unused:UNUSED_PAD src0_sel:WORD_0 src1_sel:DWORD
	v_mul_u32_u24_sdwa v25, v1, v18 dst_sel:DWORD dst_unused:UNUSED_PAD src0_sel:WORD_1 src1_sel:DWORD
	;; [unrolled: 2-line block ×4, first 2 shown]
	ds_read_b128 v[0:3], v139 offset:10864
	v_pk_fma_f16 v7, v5, v23, v7
	v_add_nc_u32_e32 v23, 0x1400, v140
	v_pk_fma_f16 v6, v5, v22, v6
	v_pk_fma_f16 v16, v5, v24, v16
	;; [unrolled: 1-line block ×7, first 2 shown]
	s_waitcnt lgkmcnt(0)
	v_mul_u32_u24_sdwa v30, v0, v18 dst_sel:DWORD dst_unused:UNUSED_PAD src0_sel:WORD_0 src1_sel:DWORD
	v_mul_u32_u24_sdwa v0, v0, v18 dst_sel:DWORD dst_unused:UNUSED_PAD src0_sel:WORD_1 src1_sel:DWORD
	v_mul_u32_u24_sdwa v31, v1, v18 dst_sel:DWORD dst_unused:UNUSED_PAD src0_sel:WORD_0 src1_sel:DWORD
	v_mul_u32_u24_sdwa v1, v1, v18 dst_sel:DWORD dst_unused:UNUSED_PAD src0_sel:WORD_1 src1_sel:DWORD
	;; [unrolled: 2-line block ×4, first 2 shown]
	v_pk_fma_f16 v10, v5, v30, v10
	v_pk_fma_f16 v21, v5, v0, v21
	;; [unrolled: 1-line block ×8, first 2 shown]
	ds_read2_b32 v[4:5], v23 offset1:32
	ds_read_b128 v[0:3], v139 offset:9856
	s_waitcnt lgkmcnt(0)
	v_mul_u32_u24_sdwa v24, v0, v18 dst_sel:DWORD dst_unused:UNUSED_PAD src0_sel:WORD_0 src1_sel:DWORD
	v_mul_u32_u24_sdwa v25, v0, v18 dst_sel:DWORD dst_unused:UNUSED_PAD src0_sel:WORD_1 src1_sel:DWORD
	v_mul_u32_u24_sdwa v26, v1, v18 dst_sel:DWORD dst_unused:UNUSED_PAD src0_sel:WORD_0 src1_sel:DWORD
	v_mul_u32_u24_sdwa v27, v1, v18 dst_sel:DWORD dst_unused:UNUSED_PAD src0_sel:WORD_1 src1_sel:DWORD
	v_mul_u32_u24_sdwa v28, v2, v18 dst_sel:DWORD dst_unused:UNUSED_PAD src0_sel:WORD_0 src1_sel:DWORD
	v_mul_u32_u24_sdwa v29, v2, v18 dst_sel:DWORD dst_unused:UNUSED_PAD src0_sel:WORD_1 src1_sel:DWORD
	v_mul_u32_u24_sdwa v30, v3, v18 dst_sel:DWORD dst_unused:UNUSED_PAD src0_sel:WORD_0 src1_sel:DWORD
	v_mul_u32_u24_sdwa v31, v3, v18 dst_sel:DWORD dst_unused:UNUSED_PAD src0_sel:WORD_1 src1_sel:DWORD
	ds_read_b128 v[0:3], v139 offset:10880
	v_pk_fma_f16 v6, v4, v24, v6
	v_pk_fma_f16 v7, v4, v25, v7
	;; [unrolled: 1-line block ×8, first 2 shown]
	s_waitcnt lgkmcnt(0)
	v_mul_u32_u24_sdwa v32, v0, v18 dst_sel:DWORD dst_unused:UNUSED_PAD src0_sel:WORD_0 src1_sel:DWORD
	v_mul_u32_u24_sdwa v0, v0, v18 dst_sel:DWORD dst_unused:UNUSED_PAD src0_sel:WORD_1 src1_sel:DWORD
	v_mul_u32_u24_sdwa v33, v1, v18 dst_sel:DWORD dst_unused:UNUSED_PAD src0_sel:WORD_0 src1_sel:DWORD
	v_mul_u32_u24_sdwa v1, v1, v18 dst_sel:DWORD dst_unused:UNUSED_PAD src0_sel:WORD_1 src1_sel:DWORD
	;; [unrolled: 2-line block ×4, first 2 shown]
	v_pk_fma_f16 v10, v4, v32, v10
	v_pk_fma_f16 v21, v4, v0, v21
	v_pk_fma_f16 v11, v4, v33, v11
	v_pk_fma_f16 v12, v4, v1, v12
	v_pk_fma_f16 v13, v4, v72, v13
	v_pk_fma_f16 v14, v4, v2, v14
	v_pk_fma_f16 v15, v4, v73, v15
	v_pk_fma_f16 v4, v4, v3, v22
	ds_read_b128 v[0:3], v139 offset:9872
	s_waitcnt lgkmcnt(0)
	v_mul_u32_u24_sdwa v22, v0, v18 dst_sel:DWORD dst_unused:UNUSED_PAD src0_sel:WORD_0 src1_sel:DWORD
	v_mul_u32_u24_sdwa v24, v0, v18 dst_sel:DWORD dst_unused:UNUSED_PAD src0_sel:WORD_1 src1_sel:DWORD
	v_mul_u32_u24_sdwa v25, v1, v18 dst_sel:DWORD dst_unused:UNUSED_PAD src0_sel:WORD_0 src1_sel:DWORD
	v_mul_u32_u24_sdwa v26, v1, v18 dst_sel:DWORD dst_unused:UNUSED_PAD src0_sel:WORD_1 src1_sel:DWORD
	;; [unrolled: 2-line block ×4, first 2 shown]
	ds_read_b128 v[0:3], v139 offset:10896
	v_pk_fma_f16 v6, v5, v22, v6
	v_pk_fma_f16 v7, v5, v24, v7
	;; [unrolled: 1-line block ×8, first 2 shown]
	s_waitcnt lgkmcnt(0)
	v_mul_u32_u24_sdwa v31, v0, v18 dst_sel:DWORD dst_unused:UNUSED_PAD src0_sel:WORD_0 src1_sel:DWORD
	v_mul_u32_u24_sdwa v0, v0, v18 dst_sel:DWORD dst_unused:UNUSED_PAD src0_sel:WORD_1 src1_sel:DWORD
	v_mul_u32_u24_sdwa v32, v1, v18 dst_sel:DWORD dst_unused:UNUSED_PAD src0_sel:WORD_0 src1_sel:DWORD
	v_mul_u32_u24_sdwa v1, v1, v18 dst_sel:DWORD dst_unused:UNUSED_PAD src0_sel:WORD_1 src1_sel:DWORD
	;; [unrolled: 2-line block ×4, first 2 shown]
	v_pk_fma_f16 v10, v5, v31, v10
	v_pk_fma_f16 v21, v5, v0, v21
	;; [unrolled: 1-line block ×8, first 2 shown]
	ds_read2_b32 v[4:5], v23 offset0:64 offset1:96
	ds_read_b128 v[0:3], v139 offset:9888
	s_waitcnt lgkmcnt(0)
	v_mul_u32_u24_sdwa v24, v0, v18 dst_sel:DWORD dst_unused:UNUSED_PAD src0_sel:WORD_0 src1_sel:DWORD
	v_mul_u32_u24_sdwa v25, v0, v18 dst_sel:DWORD dst_unused:UNUSED_PAD src0_sel:WORD_1 src1_sel:DWORD
	v_mul_u32_u24_sdwa v26, v1, v18 dst_sel:DWORD dst_unused:UNUSED_PAD src0_sel:WORD_0 src1_sel:DWORD
	v_mul_u32_u24_sdwa v27, v1, v18 dst_sel:DWORD dst_unused:UNUSED_PAD src0_sel:WORD_1 src1_sel:DWORD
	v_mul_u32_u24_sdwa v28, v2, v18 dst_sel:DWORD dst_unused:UNUSED_PAD src0_sel:WORD_0 src1_sel:DWORD
	v_mul_u32_u24_sdwa v29, v2, v18 dst_sel:DWORD dst_unused:UNUSED_PAD src0_sel:WORD_1 src1_sel:DWORD
	v_mul_u32_u24_sdwa v30, v3, v18 dst_sel:DWORD dst_unused:UNUSED_PAD src0_sel:WORD_0 src1_sel:DWORD
	v_mul_u32_u24_sdwa v31, v3, v18 dst_sel:DWORD dst_unused:UNUSED_PAD src0_sel:WORD_1 src1_sel:DWORD
	ds_read_b128 v[0:3], v139 offset:10912
	v_pk_fma_f16 v6, v4, v24, v6
	v_pk_fma_f16 v7, v4, v25, v7
	;; [unrolled: 1-line block ×8, first 2 shown]
	s_waitcnt lgkmcnt(0)
	v_mul_u32_u24_sdwa v32, v0, v18 dst_sel:DWORD dst_unused:UNUSED_PAD src0_sel:WORD_0 src1_sel:DWORD
	v_mul_u32_u24_sdwa v0, v0, v18 dst_sel:DWORD dst_unused:UNUSED_PAD src0_sel:WORD_1 src1_sel:DWORD
	v_mul_u32_u24_sdwa v33, v1, v18 dst_sel:DWORD dst_unused:UNUSED_PAD src0_sel:WORD_0 src1_sel:DWORD
	v_mul_u32_u24_sdwa v1, v1, v18 dst_sel:DWORD dst_unused:UNUSED_PAD src0_sel:WORD_1 src1_sel:DWORD
	;; [unrolled: 2-line block ×4, first 2 shown]
	v_pk_fma_f16 v10, v4, v32, v10
	v_pk_fma_f16 v21, v4, v0, v21
	;; [unrolled: 1-line block ×8, first 2 shown]
	ds_read_b128 v[0:3], v139 offset:9904
	s_waitcnt lgkmcnt(0)
	v_mul_u32_u24_sdwa v22, v0, v18 dst_sel:DWORD dst_unused:UNUSED_PAD src0_sel:WORD_0 src1_sel:DWORD
	v_mul_u32_u24_sdwa v24, v0, v18 dst_sel:DWORD dst_unused:UNUSED_PAD src0_sel:WORD_1 src1_sel:DWORD
	v_mul_u32_u24_sdwa v25, v1, v18 dst_sel:DWORD dst_unused:UNUSED_PAD src0_sel:WORD_0 src1_sel:DWORD
	v_mul_u32_u24_sdwa v26, v1, v18 dst_sel:DWORD dst_unused:UNUSED_PAD src0_sel:WORD_1 src1_sel:DWORD
	;; [unrolled: 2-line block ×4, first 2 shown]
	ds_read_b128 v[0:3], v139 offset:10928
	v_pk_fma_f16 v6, v5, v22, v6
	v_pk_fma_f16 v7, v5, v24, v7
	;; [unrolled: 1-line block ×8, first 2 shown]
	s_waitcnt lgkmcnt(0)
	v_mul_u32_u24_sdwa v31, v0, v18 dst_sel:DWORD dst_unused:UNUSED_PAD src0_sel:WORD_0 src1_sel:DWORD
	v_mul_u32_u24_sdwa v0, v0, v18 dst_sel:DWORD dst_unused:UNUSED_PAD src0_sel:WORD_1 src1_sel:DWORD
	v_mul_u32_u24_sdwa v32, v1, v18 dst_sel:DWORD dst_unused:UNUSED_PAD src0_sel:WORD_0 src1_sel:DWORD
	v_mul_u32_u24_sdwa v1, v1, v18 dst_sel:DWORD dst_unused:UNUSED_PAD src0_sel:WORD_1 src1_sel:DWORD
	;; [unrolled: 2-line block ×4, first 2 shown]
	v_pk_fma_f16 v10, v5, v31, v10
	v_pk_fma_f16 v21, v5, v0, v21
	;; [unrolled: 1-line block ×8, first 2 shown]
	ds_read2_b32 v[4:5], v23 offset0:128 offset1:160
	ds_read_b128 v[0:3], v139 offset:9920
	s_waitcnt lgkmcnt(0)
	v_mul_u32_u24_sdwa v24, v0, v18 dst_sel:DWORD dst_unused:UNUSED_PAD src0_sel:WORD_0 src1_sel:DWORD
	v_mul_u32_u24_sdwa v25, v0, v18 dst_sel:DWORD dst_unused:UNUSED_PAD src0_sel:WORD_1 src1_sel:DWORD
	v_mul_u32_u24_sdwa v26, v1, v18 dst_sel:DWORD dst_unused:UNUSED_PAD src0_sel:WORD_0 src1_sel:DWORD
	v_mul_u32_u24_sdwa v27, v1, v18 dst_sel:DWORD dst_unused:UNUSED_PAD src0_sel:WORD_1 src1_sel:DWORD
	v_mul_u32_u24_sdwa v28, v2, v18 dst_sel:DWORD dst_unused:UNUSED_PAD src0_sel:WORD_0 src1_sel:DWORD
	v_mul_u32_u24_sdwa v29, v2, v18 dst_sel:DWORD dst_unused:UNUSED_PAD src0_sel:WORD_1 src1_sel:DWORD
	v_mul_u32_u24_sdwa v30, v3, v18 dst_sel:DWORD dst_unused:UNUSED_PAD src0_sel:WORD_0 src1_sel:DWORD
	v_mul_u32_u24_sdwa v31, v3, v18 dst_sel:DWORD dst_unused:UNUSED_PAD src0_sel:WORD_1 src1_sel:DWORD
	ds_read_b128 v[0:3], v139 offset:10944
	v_pk_fma_f16 v6, v4, v24, v6
	v_pk_fma_f16 v7, v4, v25, v7
	;; [unrolled: 1-line block ×8, first 2 shown]
	s_waitcnt lgkmcnt(0)
	v_mul_u32_u24_sdwa v32, v0, v18 dst_sel:DWORD dst_unused:UNUSED_PAD src0_sel:WORD_0 src1_sel:DWORD
	v_mul_u32_u24_sdwa v0, v0, v18 dst_sel:DWORD dst_unused:UNUSED_PAD src0_sel:WORD_1 src1_sel:DWORD
	v_mul_u32_u24_sdwa v33, v1, v18 dst_sel:DWORD dst_unused:UNUSED_PAD src0_sel:WORD_0 src1_sel:DWORD
	v_mul_u32_u24_sdwa v1, v1, v18 dst_sel:DWORD dst_unused:UNUSED_PAD src0_sel:WORD_1 src1_sel:DWORD
	v_mul_u32_u24_sdwa v72, v2, v18 dst_sel:DWORD dst_unused:UNUSED_PAD src0_sel:WORD_0 src1_sel:DWORD
	v_mul_u32_u24_sdwa v2, v2, v18 dst_sel:DWORD dst_unused:UNUSED_PAD src0_sel:WORD_1 src1_sel:DWORD
	v_mul_u32_u24_sdwa v73, v3, v18 dst_sel:DWORD dst_unused:UNUSED_PAD src0_sel:WORD_0 src1_sel:DWORD
	v_mul_u32_u24_sdwa v3, v3, v18 dst_sel:DWORD dst_unused:UNUSED_PAD src0_sel:WORD_1 src1_sel:DWORD
	v_pk_fma_f16 v10, v4, v32, v10
	v_pk_fma_f16 v21, v4, v0, v21
	v_pk_fma_f16 v11, v4, v33, v11
	v_pk_fma_f16 v12, v4, v1, v12
	v_pk_fma_f16 v13, v4, v72, v13
	v_pk_fma_f16 v14, v4, v2, v14
	v_pk_fma_f16 v15, v4, v73, v15
	v_pk_fma_f16 v4, v4, v3, v22
	ds_read_b128 v[0:3], v139 offset:9936
	s_waitcnt lgkmcnt(0)
	v_mul_u32_u24_sdwa v22, v0, v18 dst_sel:DWORD dst_unused:UNUSED_PAD src0_sel:WORD_0 src1_sel:DWORD
	v_mul_u32_u24_sdwa v24, v0, v18 dst_sel:DWORD dst_unused:UNUSED_PAD src0_sel:WORD_1 src1_sel:DWORD
	v_mul_u32_u24_sdwa v25, v1, v18 dst_sel:DWORD dst_unused:UNUSED_PAD src0_sel:WORD_0 src1_sel:DWORD
	v_mul_u32_u24_sdwa v26, v1, v18 dst_sel:DWORD dst_unused:UNUSED_PAD src0_sel:WORD_1 src1_sel:DWORD
	;; [unrolled: 2-line block ×4, first 2 shown]
	ds_read_b128 v[0:3], v139 offset:10960
	v_pk_fma_f16 v6, v5, v22, v6
	v_pk_fma_f16 v7, v5, v24, v7
	;; [unrolled: 1-line block ×8, first 2 shown]
	s_waitcnt lgkmcnt(0)
	v_mul_u32_u24_sdwa v31, v0, v18 dst_sel:DWORD dst_unused:UNUSED_PAD src0_sel:WORD_0 src1_sel:DWORD
	v_mul_u32_u24_sdwa v0, v0, v18 dst_sel:DWORD dst_unused:UNUSED_PAD src0_sel:WORD_1 src1_sel:DWORD
	v_mul_u32_u24_sdwa v32, v1, v18 dst_sel:DWORD dst_unused:UNUSED_PAD src0_sel:WORD_0 src1_sel:DWORD
	v_mul_u32_u24_sdwa v1, v1, v18 dst_sel:DWORD dst_unused:UNUSED_PAD src0_sel:WORD_1 src1_sel:DWORD
	;; [unrolled: 2-line block ×4, first 2 shown]
	v_pk_fma_f16 v10, v5, v31, v10
	v_pk_fma_f16 v21, v5, v0, v21
	;; [unrolled: 1-line block ×8, first 2 shown]
	ds_read2_b32 v[4:5], v23 offset0:192 offset1:224
	ds_read_b128 v[0:3], v139 offset:9952
	s_waitcnt lgkmcnt(0)
	v_mul_u32_u24_sdwa v23, v0, v18 dst_sel:DWORD dst_unused:UNUSED_PAD src0_sel:WORD_0 src1_sel:DWORD
	v_mul_u32_u24_sdwa v24, v0, v18 dst_sel:DWORD dst_unused:UNUSED_PAD src0_sel:WORD_1 src1_sel:DWORD
	v_mul_u32_u24_sdwa v25, v1, v18 dst_sel:DWORD dst_unused:UNUSED_PAD src0_sel:WORD_0 src1_sel:DWORD
	v_mul_u32_u24_sdwa v26, v1, v18 dst_sel:DWORD dst_unused:UNUSED_PAD src0_sel:WORD_1 src1_sel:DWORD
	;; [unrolled: 2-line block ×4, first 2 shown]
	ds_read_b128 v[0:3], v139 offset:10976
	v_pk_fma_f16 v6, v4, v23, v6
	v_pk_fma_f16 v7, v4, v24, v7
	;; [unrolled: 1-line block ×8, first 2 shown]
	s_waitcnt lgkmcnt(0)
	v_mul_u32_u24_sdwa v31, v0, v18 dst_sel:DWORD dst_unused:UNUSED_PAD src0_sel:WORD_0 src1_sel:DWORD
	v_mul_u32_u24_sdwa v0, v0, v18 dst_sel:DWORD dst_unused:UNUSED_PAD src0_sel:WORD_1 src1_sel:DWORD
	v_mul_u32_u24_sdwa v32, v1, v18 dst_sel:DWORD dst_unused:UNUSED_PAD src0_sel:WORD_0 src1_sel:DWORD
	v_mul_u32_u24_sdwa v1, v1, v18 dst_sel:DWORD dst_unused:UNUSED_PAD src0_sel:WORD_1 src1_sel:DWORD
	;; [unrolled: 2-line block ×4, first 2 shown]
	v_pk_fma_f16 v10, v4, v31, v10
	v_pk_fma_f16 v21, v4, v0, v21
	;; [unrolled: 1-line block ×8, first 2 shown]
	ds_read_b128 v[0:3], v139 offset:9968
	s_waitcnt lgkmcnt(0)
	v_mul_u32_u24_sdwa v22, v0, v18 dst_sel:DWORD dst_unused:UNUSED_PAD src0_sel:WORD_0 src1_sel:DWORD
	v_mul_u32_u24_sdwa v23, v0, v18 dst_sel:DWORD dst_unused:UNUSED_PAD src0_sel:WORD_1 src1_sel:DWORD
	v_mul_u32_u24_sdwa v24, v1, v18 dst_sel:DWORD dst_unused:UNUSED_PAD src0_sel:WORD_0 src1_sel:DWORD
	v_mul_u32_u24_sdwa v25, v1, v18 dst_sel:DWORD dst_unused:UNUSED_PAD src0_sel:WORD_1 src1_sel:DWORD
	;; [unrolled: 2-line block ×4, first 2 shown]
	ds_read_b128 v[0:3], v139 offset:10992
	v_pk_fma_f16 v22, v5, v22, v6
	v_pk_fma_f16 v23, v5, v23, v7
	;; [unrolled: 1-line block ×8, first 2 shown]
	s_waitcnt lgkmcnt(0)
	v_mul_u32_u24_sdwa v30, v0, v18 dst_sel:DWORD dst_unused:UNUSED_PAD src0_sel:WORD_0 src1_sel:DWORD
	v_mul_u32_u24_sdwa v0, v0, v18 dst_sel:DWORD dst_unused:UNUSED_PAD src0_sel:WORD_1 src1_sel:DWORD
	v_mul_u32_u24_sdwa v31, v1, v18 dst_sel:DWORD dst_unused:UNUSED_PAD src0_sel:WORD_0 src1_sel:DWORD
	v_mul_u32_u24_sdwa v33, v3, v18 dst_sel:DWORD dst_unused:UNUSED_PAD src0_sel:WORD_0 src1_sel:DWORD
	v_mul_u32_u24_sdwa v3, v3, v18 dst_sel:DWORD dst_unused:UNUSED_PAD src0_sel:WORD_1 src1_sel:DWORD
	v_mul_u32_u24_sdwa v1, v1, v18 dst_sel:DWORD dst_unused:UNUSED_PAD src0_sel:WORD_1 src1_sel:DWORD
	v_mul_u32_u24_sdwa v32, v2, v18 dst_sel:DWORD dst_unused:UNUSED_PAD src0_sel:WORD_0 src1_sel:DWORD
	v_mul_u32_u24_sdwa v2, v2, v18 dst_sel:DWORD dst_unused:UNUSED_PAD src0_sel:WORD_1 src1_sel:DWORD
	v_pk_fma_f16 v0, v5, v0, v21
	v_pk_fma_f16 v21, v5, v31, v11
	;; [unrolled: 1-line block ×3, first 2 shown]
	v_add_nc_u32_e32 v3, 0x1800, v140
	v_pk_fma_f16 v26, v5, v30, v10
	v_pk_fma_f16 v27, v5, v1, v12
	;; [unrolled: 1-line block ×5, first 2 shown]
	ds_read2_b32 v[1:2], v3 offset1:32
	ds_read_b128 v[4:7], v139 offset:9984
	s_waitcnt lgkmcnt(0)
	v_mul_u32_u24_sdwa v8, v4, v18 dst_sel:DWORD dst_unused:UNUSED_PAD src0_sel:WORD_0 src1_sel:DWORD
	v_mul_u32_u24_sdwa v9, v4, v18 dst_sel:DWORD dst_unused:UNUSED_PAD src0_sel:WORD_1 src1_sel:DWORD
	v_mul_u32_u24_sdwa v10, v5, v18 dst_sel:DWORD dst_unused:UNUSED_PAD src0_sel:WORD_0 src1_sel:DWORD
	v_mul_u32_u24_sdwa v11, v5, v18 dst_sel:DWORD dst_unused:UNUSED_PAD src0_sel:WORD_1 src1_sel:DWORD
	;; [unrolled: 2-line block ×4, first 2 shown]
	ds_read_b128 v[4:7], v139 offset:11008
	s_waitcnt lgkmcnt(0)
	v_mul_u32_u24_sdwa v72, v5, v18 dst_sel:DWORD dst_unused:UNUSED_PAD src0_sel:WORD_0 src1_sel:DWORD
	v_mul_u32_u24_sdwa v32, v4, v18 dst_sel:DWORD dst_unused:UNUSED_PAD src0_sel:WORD_0 src1_sel:DWORD
	v_mul_u32_u24_sdwa v33, v4, v18 dst_sel:DWORD dst_unused:UNUSED_PAD src0_sel:WORD_1 src1_sel:DWORD
	v_mul_u32_u24_sdwa v73, v5, v18 dst_sel:DWORD dst_unused:UNUSED_PAD src0_sel:WORD_1 src1_sel:DWORD
	v_mul_u32_u24_sdwa v74, v6, v18 dst_sel:DWORD dst_unused:UNUSED_PAD src0_sel:WORD_0 src1_sel:DWORD
	v_mul_u32_u24_sdwa v75, v6, v18 dst_sel:DWORD dst_unused:UNUSED_PAD src0_sel:WORD_1 src1_sel:DWORD
	v_pk_fma_f16 v4, v1, v8, v22
	v_pk_fma_f16 v5, v1, v9, v23
	;; [unrolled: 1-line block ×6, first 2 shown]
	ds_read_b128 v[20:23], v139 offset:10000
	v_mul_u32_u24_sdwa v76, v7, v18 dst_sel:DWORD dst_unused:UNUSED_PAD src0_sel:WORD_0 src1_sel:DWORD
	v_mul_u32_u24_sdwa v77, v7, v18 dst_sel:DWORD dst_unused:UNUSED_PAD src0_sel:WORD_1 src1_sel:DWORD
	v_pk_fma_f16 v7, v1, v11, v17
	v_pk_fma_f16 v8, v1, v12, v19
	;; [unrolled: 1-line block ×10, first 2 shown]
	s_waitcnt lgkmcnt(0)
	v_mul_u32_u24_sdwa v0, v20, v18 dst_sel:DWORD dst_unused:UNUSED_PAD src0_sel:WORD_0 src1_sel:DWORD
	v_mul_u32_u24_sdwa v24, v20, v18 dst_sel:DWORD dst_unused:UNUSED_PAD src0_sel:WORD_1 src1_sel:DWORD
	v_mul_u32_u24_sdwa v25, v21, v18 dst_sel:DWORD dst_unused:UNUSED_PAD src0_sel:WORD_0 src1_sel:DWORD
	v_mul_u32_u24_sdwa v26, v21, v18 dst_sel:DWORD dst_unused:UNUSED_PAD src0_sel:WORD_1 src1_sel:DWORD
	;; [unrolled: 2-line block ×4, first 2 shown]
	ds_read_b128 v[20:23], v139 offset:11024
	v_pk_fma_f16 v0, v2, v0, v4
	v_pk_fma_f16 v24, v2, v24, v5
	;; [unrolled: 1-line block ×8, first 2 shown]
	s_waitcnt lgkmcnt(0)
	v_mul_u32_u24_sdwa v31, v20, v18 dst_sel:DWORD dst_unused:UNUSED_PAD src0_sel:WORD_0 src1_sel:DWORD
	v_mul_u32_u24_sdwa v20, v20, v18 dst_sel:DWORD dst_unused:UNUSED_PAD src0_sel:WORD_1 src1_sel:DWORD
	v_mul_u32_u24_sdwa v32, v21, v18 dst_sel:DWORD dst_unused:UNUSED_PAD src0_sel:WORD_0 src1_sel:DWORD
	v_mul_u32_u24_sdwa v21, v21, v18 dst_sel:DWORD dst_unused:UNUSED_PAD src0_sel:WORD_1 src1_sel:DWORD
	;; [unrolled: 2-line block ×4, first 2 shown]
	v_pk_fma_f16 v12, v2, v31, v12
	v_pk_fma_f16 v13, v2, v20, v13
	;; [unrolled: 1-line block ×8, first 2 shown]
	ds_read2_b32 v[1:2], v3 offset0:64 offset1:96
	ds_read_b128 v[4:7], v139 offset:10016
	s_waitcnt lgkmcnt(0)
	v_mul_u32_u24_sdwa v21, v4, v18 dst_sel:DWORD dst_unused:UNUSED_PAD src0_sel:WORD_0 src1_sel:DWORD
	v_mul_u32_u24_sdwa v22, v4, v18 dst_sel:DWORD dst_unused:UNUSED_PAD src0_sel:WORD_1 src1_sel:DWORD
	v_mul_u32_u24_sdwa v23, v5, v18 dst_sel:DWORD dst_unused:UNUSED_PAD src0_sel:WORD_0 src1_sel:DWORD
	v_mul_u32_u24_sdwa v27, v5, v18 dst_sel:DWORD dst_unused:UNUSED_PAD src0_sel:WORD_1 src1_sel:DWORD
	;; [unrolled: 2-line block ×4, first 2 shown]
	ds_read_b128 v[4:7], v139 offset:11040
	v_pk_fma_f16 v8, v1, v28, v8
	v_pk_fma_f16 v9, v1, v29, v9
	;; [unrolled: 1-line block ×4, first 2 shown]
	s_waitcnt lgkmcnt(0)
	v_mul_u32_u24_sdwa v32, v4, v18 dst_sel:DWORD dst_unused:UNUSED_PAD src0_sel:WORD_0 src1_sel:DWORD
	v_mul_u32_u24_sdwa v33, v4, v18 dst_sel:DWORD dst_unused:UNUSED_PAD src0_sel:WORD_1 src1_sel:DWORD
	v_mul_u32_u24_sdwa v72, v5, v18 dst_sel:DWORD dst_unused:UNUSED_PAD src0_sel:WORD_0 src1_sel:DWORD
	v_mul_u32_u24_sdwa v73, v5, v18 dst_sel:DWORD dst_unused:UNUSED_PAD src0_sel:WORD_1 src1_sel:DWORD
	;; [unrolled: 2-line block ×4, first 2 shown]
	v_pk_fma_f16 v4, v1, v21, v0
	v_pk_fma_f16 v5, v1, v22, v24
	;; [unrolled: 1-line block ×12, first 2 shown]
	ds_read_b128 v[20:23], v139 offset:10032
	s_waitcnt lgkmcnt(0)
	v_mul_u32_u24_sdwa v0, v20, v18 dst_sel:DWORD dst_unused:UNUSED_PAD src0_sel:WORD_0 src1_sel:DWORD
	v_mul_u32_u24_sdwa v24, v20, v18 dst_sel:DWORD dst_unused:UNUSED_PAD src0_sel:WORD_1 src1_sel:DWORD
	v_mul_u32_u24_sdwa v25, v21, v18 dst_sel:DWORD dst_unused:UNUSED_PAD src0_sel:WORD_0 src1_sel:DWORD
	v_mul_u32_u24_sdwa v26, v21, v18 dst_sel:DWORD dst_unused:UNUSED_PAD src0_sel:WORD_1 src1_sel:DWORD
	;; [unrolled: 2-line block ×4, first 2 shown]
	ds_read_b128 v[20:23], v139 offset:11056
	v_pk_fma_f16 v73, v2, v0, v4
	v_pk_fma_f16 v24, v2, v24, v5
	;; [unrolled: 1-line block ×8, first 2 shown]
	s_waitcnt lgkmcnt(0)
	v_mul_u32_u24_sdwa v31, v20, v18 dst_sel:DWORD dst_unused:UNUSED_PAD src0_sel:WORD_0 src1_sel:DWORD
	v_mul_u32_u24_sdwa v20, v20, v18 dst_sel:DWORD dst_unused:UNUSED_PAD src0_sel:WORD_1 src1_sel:DWORD
	v_mul_u32_u24_sdwa v32, v21, v18 dst_sel:DWORD dst_unused:UNUSED_PAD src0_sel:WORD_0 src1_sel:DWORD
	v_mul_u32_u24_sdwa v21, v21, v18 dst_sel:DWORD dst_unused:UNUSED_PAD src0_sel:WORD_1 src1_sel:DWORD
	;; [unrolled: 2-line block ×4, first 2 shown]
	v_pk_fma_f16 v12, v2, v31, v12
	v_pk_fma_f16 v13, v2, v20, v13
	;; [unrolled: 1-line block ×8, first 2 shown]
	ds_read2_b32 v[0:1], v3 offset0:128 offset1:160
	ds_read_b128 v[4:7], v139 offset:10048
	s_waitcnt lgkmcnt(0)
	v_mul_u32_u24_sdwa v20, v4, v18 dst_sel:DWORD dst_unused:UNUSED_PAD src0_sel:WORD_0 src1_sel:DWORD
	v_mul_u32_u24_sdwa v21, v4, v18 dst_sel:DWORD dst_unused:UNUSED_PAD src0_sel:WORD_1 src1_sel:DWORD
	v_mul_u32_u24_sdwa v22, v5, v18 dst_sel:DWORD dst_unused:UNUSED_PAD src0_sel:WORD_0 src1_sel:DWORD
	v_mul_u32_u24_sdwa v23, v5, v18 dst_sel:DWORD dst_unused:UNUSED_PAD src0_sel:WORD_1 src1_sel:DWORD
	;; [unrolled: 2-line block ×4, first 2 shown]
	ds_read_b128 v[4:7], v139 offset:11072
	v_pk_fma_f16 v20, v0, v20, v73
	v_pk_fma_f16 v21, v0, v21, v24
	;; [unrolled: 1-line block ×8, first 2 shown]
	s_waitcnt lgkmcnt(0)
	v_mul_u32_u24_sdwa v31, v4, v18 dst_sel:DWORD dst_unused:UNUSED_PAD src0_sel:WORD_0 src1_sel:DWORD
	v_mul_u32_u24_sdwa v4, v4, v18 dst_sel:DWORD dst_unused:UNUSED_PAD src0_sel:WORD_1 src1_sel:DWORD
	v_mul_u32_u24_sdwa v32, v5, v18 dst_sel:DWORD dst_unused:UNUSED_PAD src0_sel:WORD_0 src1_sel:DWORD
	v_mul_u32_u24_sdwa v5, v5, v18 dst_sel:DWORD dst_unused:UNUSED_PAD src0_sel:WORD_1 src1_sel:DWORD
	;; [unrolled: 2-line block ×4, first 2 shown]
	v_pk_fma_f16 v12, v0, v31, v12
	v_pk_fma_f16 v13, v0, v4, v13
	;; [unrolled: 1-line block ×8, first 2 shown]
	ds_read_b128 v[4:7], v139 offset:10064
	s_waitcnt lgkmcnt(0)
	v_mul_u32_u24_sdwa v2, v4, v18 dst_sel:DWORD dst_unused:UNUSED_PAD src0_sel:WORD_0 src1_sel:DWORD
	v_mul_u32_u24_sdwa v24, v4, v18 dst_sel:DWORD dst_unused:UNUSED_PAD src0_sel:WORD_1 src1_sel:DWORD
	v_mul_u32_u24_sdwa v25, v5, v18 dst_sel:DWORD dst_unused:UNUSED_PAD src0_sel:WORD_0 src1_sel:DWORD
	v_mul_u32_u24_sdwa v26, v5, v18 dst_sel:DWORD dst_unused:UNUSED_PAD src0_sel:WORD_1 src1_sel:DWORD
	;; [unrolled: 2-line block ×4, first 2 shown]
	ds_read_b128 v[4:7], v139 offset:11088
	v_pk_fma_f16 v20, v1, v2, v20
	v_pk_fma_f16 v21, v1, v24, v21
	;; [unrolled: 1-line block ×8, first 2 shown]
	s_waitcnt lgkmcnt(0)
	v_mul_u32_u24_sdwa v31, v4, v18 dst_sel:DWORD dst_unused:UNUSED_PAD src0_sel:WORD_0 src1_sel:DWORD
	v_mul_u32_u24_sdwa v4, v4, v18 dst_sel:DWORD dst_unused:UNUSED_PAD src0_sel:WORD_1 src1_sel:DWORD
	v_mul_u32_u24_sdwa v32, v5, v18 dst_sel:DWORD dst_unused:UNUSED_PAD src0_sel:WORD_0 src1_sel:DWORD
	v_mul_u32_u24_sdwa v5, v5, v18 dst_sel:DWORD dst_unused:UNUSED_PAD src0_sel:WORD_1 src1_sel:DWORD
	;; [unrolled: 2-line block ×4, first 2 shown]
	v_pk_fma_f16 v12, v1, v31, v12
	v_pk_fma_f16 v13, v1, v4, v13
	;; [unrolled: 1-line block ×8, first 2 shown]
	ds_read2_b32 v[4:5], v3 offset0:192 offset1:224
	ds_read_b128 v[0:3], v139 offset:10080
	s_waitcnt lgkmcnt(0)
	v_mul_u32_u24_sdwa v19, v0, v18 dst_sel:DWORD dst_unused:UNUSED_PAD src0_sel:WORD_0 src1_sel:DWORD
	v_mul_u32_u24_sdwa v24, v0, v18 dst_sel:DWORD dst_unused:UNUSED_PAD src0_sel:WORD_1 src1_sel:DWORD
	v_mul_u32_u24_sdwa v25, v1, v18 dst_sel:DWORD dst_unused:UNUSED_PAD src0_sel:WORD_0 src1_sel:DWORD
	v_mul_u32_u24_sdwa v26, v1, v18 dst_sel:DWORD dst_unused:UNUSED_PAD src0_sel:WORD_1 src1_sel:DWORD
	;; [unrolled: 2-line block ×4, first 2 shown]
	ds_read_b128 v[0:3], v139 offset:11104
	v_pk_fma_f16 v19, v4, v19, v20
	v_pk_fma_f16 v20, v4, v24, v21
	;; [unrolled: 1-line block ×8, first 2 shown]
	s_waitcnt lgkmcnt(0)
	v_mul_u32_u24_sdwa v31, v0, v18 dst_sel:DWORD dst_unused:UNUSED_PAD src0_sel:WORD_0 src1_sel:DWORD
	v_mul_u32_u24_sdwa v0, v0, v18 dst_sel:DWORD dst_unused:UNUSED_PAD src0_sel:WORD_1 src1_sel:DWORD
	v_mul_u32_u24_sdwa v32, v1, v18 dst_sel:DWORD dst_unused:UNUSED_PAD src0_sel:WORD_0 src1_sel:DWORD
	v_mul_u32_u24_sdwa v1, v1, v18 dst_sel:DWORD dst_unused:UNUSED_PAD src0_sel:WORD_1 src1_sel:DWORD
	;; [unrolled: 2-line block ×4, first 2 shown]
	v_pk_fma_f16 v12, v4, v31, v12
	v_pk_fma_f16 v13, v4, v0, v13
	;; [unrolled: 1-line block ×8, first 2 shown]
	ds_read_b128 v[0:3], v139 offset:10096
	s_waitcnt lgkmcnt(0)
	v_mul_u32_u24_sdwa v7, v0, v18 dst_sel:DWORD dst_unused:UNUSED_PAD src0_sel:WORD_0 src1_sel:DWORD
	v_mul_u32_u24_sdwa v23, v0, v18 dst_sel:DWORD dst_unused:UNUSED_PAD src0_sel:WORD_1 src1_sel:DWORD
	v_mul_u32_u24_sdwa v24, v1, v18 dst_sel:DWORD dst_unused:UNUSED_PAD src0_sel:WORD_0 src1_sel:DWORD
	v_mul_u32_u24_sdwa v25, v1, v18 dst_sel:DWORD dst_unused:UNUSED_PAD src0_sel:WORD_1 src1_sel:DWORD
	;; [unrolled: 2-line block ×4, first 2 shown]
	ds_read_b128 v[0:3], v139 offset:11120
	v_pk_fma_f16 v19, v5, v7, v19
	v_pk_fma_f16 v20, v5, v23, v20
	;; [unrolled: 1-line block ×8, first 2 shown]
	s_waitcnt lgkmcnt(0)
	v_mul_u32_u24_sdwa v30, v0, v18 dst_sel:DWORD dst_unused:UNUSED_PAD src0_sel:WORD_0 src1_sel:DWORD
	v_mul_u32_u24_sdwa v0, v0, v18 dst_sel:DWORD dst_unused:UNUSED_PAD src0_sel:WORD_1 src1_sel:DWORD
	v_mul_u32_u24_sdwa v31, v1, v18 dst_sel:DWORD dst_unused:UNUSED_PAD src0_sel:WORD_0 src1_sel:DWORD
	v_mul_u32_u24_sdwa v1, v1, v18 dst_sel:DWORD dst_unused:UNUSED_PAD src0_sel:WORD_1 src1_sel:DWORD
	v_mul_u32_u24_sdwa v32, v2, v18 dst_sel:DWORD dst_unused:UNUSED_PAD src0_sel:WORD_0 src1_sel:DWORD
	v_mul_u32_u24_sdwa v2, v2, v18 dst_sel:DWORD dst_unused:UNUSED_PAD src0_sel:WORD_1 src1_sel:DWORD
	v_mul_u32_u24_sdwa v33, v3, v18 dst_sel:DWORD dst_unused:UNUSED_PAD src0_sel:WORD_0 src1_sel:DWORD
	v_mul_u32_u24_sdwa v3, v3, v18 dst_sel:DWORD dst_unused:UNUSED_PAD src0_sel:WORD_1 src1_sel:DWORD
	v_pk_fma_f16 v0, v5, v0, v13
	v_pk_fma_f16 v13, v5, v31, v14
	;; [unrolled: 1-line block ×3, first 2 shown]
	v_add_nc_u32_e32 v1, 0x1c00, v140
	v_pk_fma_f16 v12, v5, v30, v12
	v_pk_fma_f16 v15, v5, v32, v16
	;; [unrolled: 1-line block ×5, first 2 shown]
	ds_read2_b32 v[6:7], v1 offset1:32
	ds_read_b128 v[2:5], v139 offset:10112
	s_waitcnt lgkmcnt(0)
	v_mul_u32_u24_sdwa v24, v2, v18 dst_sel:DWORD dst_unused:UNUSED_PAD src0_sel:WORD_0 src1_sel:DWORD
	v_mul_u32_u24_sdwa v25, v2, v18 dst_sel:DWORD dst_unused:UNUSED_PAD src0_sel:WORD_1 src1_sel:DWORD
	v_mul_u32_u24_sdwa v26, v3, v18 dst_sel:DWORD dst_unused:UNUSED_PAD src0_sel:WORD_0 src1_sel:DWORD
	v_mul_u32_u24_sdwa v27, v3, v18 dst_sel:DWORD dst_unused:UNUSED_PAD src0_sel:WORD_1 src1_sel:DWORD
	;; [unrolled: 2-line block ×4, first 2 shown]
	ds_read_b128 v[2:5], v139 offset:11136
	v_pk_fma_f16 v19, v6, v24, v19
	v_pk_fma_f16 v20, v6, v25, v20
	;; [unrolled: 1-line block ×8, first 2 shown]
	s_waitcnt lgkmcnt(0)
	v_mul_u32_u24_sdwa v32, v2, v18 dst_sel:DWORD dst_unused:UNUSED_PAD src0_sel:WORD_0 src1_sel:DWORD
	v_mul_u32_u24_sdwa v2, v2, v18 dst_sel:DWORD dst_unused:UNUSED_PAD src0_sel:WORD_1 src1_sel:DWORD
	v_mul_u32_u24_sdwa v33, v3, v18 dst_sel:DWORD dst_unused:UNUSED_PAD src0_sel:WORD_0 src1_sel:DWORD
	v_mul_u32_u24_sdwa v3, v3, v18 dst_sel:DWORD dst_unused:UNUSED_PAD src0_sel:WORD_1 src1_sel:DWORD
	;; [unrolled: 2-line block ×4, first 2 shown]
	v_pk_fma_f16 v12, v6, v32, v12
	v_pk_fma_f16 v0, v6, v2, v0
	;; [unrolled: 1-line block ×8, first 2 shown]
	ds_read_b128 v[2:5], v139 offset:10128
	s_waitcnt lgkmcnt(0)
	v_mul_u32_u24_sdwa v23, v2, v18 dst_sel:DWORD dst_unused:UNUSED_PAD src0_sel:WORD_0 src1_sel:DWORD
	v_mul_u32_u24_sdwa v24, v2, v18 dst_sel:DWORD dst_unused:UNUSED_PAD src0_sel:WORD_1 src1_sel:DWORD
	v_mul_u32_u24_sdwa v25, v3, v18 dst_sel:DWORD dst_unused:UNUSED_PAD src0_sel:WORD_0 src1_sel:DWORD
	v_mul_u32_u24_sdwa v26, v3, v18 dst_sel:DWORD dst_unused:UNUSED_PAD src0_sel:WORD_1 src1_sel:DWORD
	;; [unrolled: 2-line block ×4, first 2 shown]
	ds_read_b128 v[2:5], v139 offset:11152
	v_pk_fma_f16 v19, v7, v23, v19
	v_pk_fma_f16 v20, v7, v24, v20
	;; [unrolled: 1-line block ×8, first 2 shown]
	s_waitcnt lgkmcnt(0)
	v_mul_u32_u24_sdwa v31, v2, v18 dst_sel:DWORD dst_unused:UNUSED_PAD src0_sel:WORD_0 src1_sel:DWORD
	v_mul_u32_u24_sdwa v2, v2, v18 dst_sel:DWORD dst_unused:UNUSED_PAD src0_sel:WORD_1 src1_sel:DWORD
	v_mul_u32_u24_sdwa v32, v3, v18 dst_sel:DWORD dst_unused:UNUSED_PAD src0_sel:WORD_0 src1_sel:DWORD
	v_mul_u32_u24_sdwa v3, v3, v18 dst_sel:DWORD dst_unused:UNUSED_PAD src0_sel:WORD_1 src1_sel:DWORD
	;; [unrolled: 2-line block ×4, first 2 shown]
	v_pk_fma_f16 v12, v7, v31, v12
	v_pk_fma_f16 v0, v7, v2, v0
	;; [unrolled: 1-line block ×8, first 2 shown]
	ds_read2_b32 v[6:7], v1 offset0:64 offset1:96
	ds_read_b128 v[2:5], v139 offset:10144
	s_waitcnt lgkmcnt(0)
	v_mul_u32_u24_sdwa v24, v2, v18 dst_sel:DWORD dst_unused:UNUSED_PAD src0_sel:WORD_0 src1_sel:DWORD
	v_mul_u32_u24_sdwa v25, v2, v18 dst_sel:DWORD dst_unused:UNUSED_PAD src0_sel:WORD_1 src1_sel:DWORD
	v_mul_u32_u24_sdwa v26, v3, v18 dst_sel:DWORD dst_unused:UNUSED_PAD src0_sel:WORD_0 src1_sel:DWORD
	v_mul_u32_u24_sdwa v27, v3, v18 dst_sel:DWORD dst_unused:UNUSED_PAD src0_sel:WORD_1 src1_sel:DWORD
	;; [unrolled: 2-line block ×4, first 2 shown]
	ds_read_b128 v[2:5], v139 offset:11168
	v_pk_fma_f16 v19, v6, v24, v19
	v_pk_fma_f16 v20, v6, v25, v20
	v_pk_fma_f16 v21, v6, v26, v21
	v_pk_fma_f16 v22, v6, v27, v22
	v_pk_fma_f16 v8, v6, v28, v8
	v_pk_fma_f16 v9, v6, v29, v9
	v_pk_fma_f16 v10, v6, v30, v10
	v_pk_fma_f16 v11, v6, v31, v11
	s_waitcnt lgkmcnt(0)
	v_mul_u32_u24_sdwa v32, v2, v18 dst_sel:DWORD dst_unused:UNUSED_PAD src0_sel:WORD_0 src1_sel:DWORD
	v_mul_u32_u24_sdwa v2, v2, v18 dst_sel:DWORD dst_unused:UNUSED_PAD src0_sel:WORD_1 src1_sel:DWORD
	v_mul_u32_u24_sdwa v33, v3, v18 dst_sel:DWORD dst_unused:UNUSED_PAD src0_sel:WORD_0 src1_sel:DWORD
	v_mul_u32_u24_sdwa v3, v3, v18 dst_sel:DWORD dst_unused:UNUSED_PAD src0_sel:WORD_1 src1_sel:DWORD
	;; [unrolled: 2-line block ×4, first 2 shown]
	v_pk_fma_f16 v12, v6, v32, v12
	v_pk_fma_f16 v0, v6, v2, v0
	;; [unrolled: 1-line block ×8, first 2 shown]
	ds_read_b128 v[2:5], v139 offset:10160
	s_waitcnt lgkmcnt(0)
	v_mul_u32_u24_sdwa v23, v2, v18 dst_sel:DWORD dst_unused:UNUSED_PAD src0_sel:WORD_0 src1_sel:DWORD
	v_mul_u32_u24_sdwa v24, v2, v18 dst_sel:DWORD dst_unused:UNUSED_PAD src0_sel:WORD_1 src1_sel:DWORD
	v_mul_u32_u24_sdwa v25, v3, v18 dst_sel:DWORD dst_unused:UNUSED_PAD src0_sel:WORD_0 src1_sel:DWORD
	v_mul_u32_u24_sdwa v26, v3, v18 dst_sel:DWORD dst_unused:UNUSED_PAD src0_sel:WORD_1 src1_sel:DWORD
	;; [unrolled: 2-line block ×4, first 2 shown]
	ds_read_b128 v[2:5], v139 offset:11184
	v_pk_fma_f16 v19, v7, v23, v19
	v_pk_fma_f16 v20, v7, v24, v20
	;; [unrolled: 1-line block ×8, first 2 shown]
	s_waitcnt lgkmcnt(0)
	v_mul_u32_u24_sdwa v31, v2, v18 dst_sel:DWORD dst_unused:UNUSED_PAD src0_sel:WORD_0 src1_sel:DWORD
	v_mul_u32_u24_sdwa v2, v2, v18 dst_sel:DWORD dst_unused:UNUSED_PAD src0_sel:WORD_1 src1_sel:DWORD
	v_mul_u32_u24_sdwa v32, v3, v18 dst_sel:DWORD dst_unused:UNUSED_PAD src0_sel:WORD_0 src1_sel:DWORD
	v_mul_u32_u24_sdwa v3, v3, v18 dst_sel:DWORD dst_unused:UNUSED_PAD src0_sel:WORD_1 src1_sel:DWORD
	;; [unrolled: 2-line block ×4, first 2 shown]
	v_pk_fma_f16 v12, v7, v31, v12
	v_pk_fma_f16 v0, v7, v2, v0
	;; [unrolled: 1-line block ×8, first 2 shown]
	ds_read2_b32 v[6:7], v1 offset0:128 offset1:160
	ds_read_b128 v[2:5], v139 offset:10176
	s_waitcnt lgkmcnt(0)
	v_mul_u32_u24_sdwa v24, v2, v18 dst_sel:DWORD dst_unused:UNUSED_PAD src0_sel:WORD_0 src1_sel:DWORD
	v_mul_u32_u24_sdwa v25, v2, v18 dst_sel:DWORD dst_unused:UNUSED_PAD src0_sel:WORD_1 src1_sel:DWORD
	v_mul_u32_u24_sdwa v26, v3, v18 dst_sel:DWORD dst_unused:UNUSED_PAD src0_sel:WORD_0 src1_sel:DWORD
	v_mul_u32_u24_sdwa v27, v3, v18 dst_sel:DWORD dst_unused:UNUSED_PAD src0_sel:WORD_1 src1_sel:DWORD
	;; [unrolled: 2-line block ×4, first 2 shown]
	ds_read_b128 v[2:5], v139 offset:11200
	v_pk_fma_f16 v19, v6, v24, v19
	v_pk_fma_f16 v20, v6, v25, v20
	v_pk_fma_f16 v21, v6, v26, v21
	v_pk_fma_f16 v22, v6, v27, v22
	v_pk_fma_f16 v8, v6, v28, v8
	v_pk_fma_f16 v9, v6, v29, v9
	v_pk_fma_f16 v10, v6, v30, v10
	v_pk_fma_f16 v11, v6, v31, v11
	s_waitcnt lgkmcnt(0)
	v_mul_u32_u24_sdwa v32, v2, v18 dst_sel:DWORD dst_unused:UNUSED_PAD src0_sel:WORD_0 src1_sel:DWORD
	v_mul_u32_u24_sdwa v2, v2, v18 dst_sel:DWORD dst_unused:UNUSED_PAD src0_sel:WORD_1 src1_sel:DWORD
	v_mul_u32_u24_sdwa v33, v3, v18 dst_sel:DWORD dst_unused:UNUSED_PAD src0_sel:WORD_0 src1_sel:DWORD
	v_mul_u32_u24_sdwa v3, v3, v18 dst_sel:DWORD dst_unused:UNUSED_PAD src0_sel:WORD_1 src1_sel:DWORD
	;; [unrolled: 2-line block ×4, first 2 shown]
	v_pk_fma_f16 v12, v6, v32, v12
	v_pk_fma_f16 v0, v6, v2, v0
	;; [unrolled: 1-line block ×8, first 2 shown]
	ds_read_b128 v[2:5], v139 offset:10192
	s_waitcnt lgkmcnt(0)
	v_mul_u32_u24_sdwa v23, v2, v18 dst_sel:DWORD dst_unused:UNUSED_PAD src0_sel:WORD_0 src1_sel:DWORD
	v_mul_u32_u24_sdwa v24, v2, v18 dst_sel:DWORD dst_unused:UNUSED_PAD src0_sel:WORD_1 src1_sel:DWORD
	v_mul_u32_u24_sdwa v25, v3, v18 dst_sel:DWORD dst_unused:UNUSED_PAD src0_sel:WORD_0 src1_sel:DWORD
	v_mul_u32_u24_sdwa v26, v3, v18 dst_sel:DWORD dst_unused:UNUSED_PAD src0_sel:WORD_1 src1_sel:DWORD
	;; [unrolled: 2-line block ×4, first 2 shown]
	ds_read_b128 v[2:5], v139 offset:11216
	v_pk_fma_f16 v19, v7, v23, v19
	v_pk_fma_f16 v20, v7, v24, v20
	;; [unrolled: 1-line block ×8, first 2 shown]
	s_waitcnt lgkmcnt(0)
	v_mul_u32_u24_sdwa v31, v2, v18 dst_sel:DWORD dst_unused:UNUSED_PAD src0_sel:WORD_0 src1_sel:DWORD
	v_mul_u32_u24_sdwa v2, v2, v18 dst_sel:DWORD dst_unused:UNUSED_PAD src0_sel:WORD_1 src1_sel:DWORD
	v_mul_u32_u24_sdwa v32, v3, v18 dst_sel:DWORD dst_unused:UNUSED_PAD src0_sel:WORD_0 src1_sel:DWORD
	v_mul_u32_u24_sdwa v3, v3, v18 dst_sel:DWORD dst_unused:UNUSED_PAD src0_sel:WORD_1 src1_sel:DWORD
	;; [unrolled: 2-line block ×4, first 2 shown]
	v_pk_fma_f16 v0, v7, v2, v0
	v_pk_fma_f16 v14, v7, v3, v14
	;; [unrolled: 1-line block ×5, first 2 shown]
	ds_read2_b32 v[1:2], v1 offset0:192 offset1:224
	ds_read_b128 v[3:6], v139 offset:10208
	v_pk_fma_f16 v13, v7, v32, v13
	v_pk_fma_f16 v15, v7, v33, v15
	;; [unrolled: 1-line block ×3, first 2 shown]
	s_waitcnt lgkmcnt(0)
	v_mul_u32_u24_sdwa v7, v3, v18 dst_sel:DWORD dst_unused:UNUSED_PAD src0_sel:WORD_0 src1_sel:DWORD
	v_mul_u32_u24_sdwa v24, v3, v18 dst_sel:DWORD dst_unused:UNUSED_PAD src0_sel:WORD_1 src1_sel:DWORD
	v_mul_u32_u24_sdwa v25, v4, v18 dst_sel:DWORD dst_unused:UNUSED_PAD src0_sel:WORD_0 src1_sel:DWORD
	v_mul_u32_u24_sdwa v26, v4, v18 dst_sel:DWORD dst_unused:UNUSED_PAD src0_sel:WORD_1 src1_sel:DWORD
	;; [unrolled: 2-line block ×4, first 2 shown]
	ds_read_b128 v[3:6], v139 offset:11232
	s_waitcnt lgkmcnt(0)
	v_mul_u32_u24_sdwa v31, v3, v18 dst_sel:DWORD dst_unused:UNUSED_PAD src0_sel:WORD_0 src1_sel:DWORD
	v_mul_u32_u24_sdwa v32, v3, v18 dst_sel:DWORD dst_unused:UNUSED_PAD src0_sel:WORD_1 src1_sel:DWORD
	v_mul_u32_u24_sdwa v33, v4, v18 dst_sel:DWORD dst_unused:UNUSED_PAD src0_sel:WORD_0 src1_sel:DWORD
	v_mul_u32_u24_sdwa v72, v4, v18 dst_sel:DWORD dst_unused:UNUSED_PAD src0_sel:WORD_1 src1_sel:DWORD
	;; [unrolled: 2-line block ×4, first 2 shown]
	v_pk_fma_f16 v3, v1, v7, v19
	v_pk_fma_f16 v4, v1, v24, v20
	;; [unrolled: 1-line block ×16, first 2 shown]
	ds_read_b128 v[23:26], v139 offset:10224
	ds_read_b128 v[72:75], v139 offset:11248
	s_waitcnt lgkmcnt(0)
	s_barrier
	buffer_gl0_inv
	v_mul_u32_u24_sdwa v19, v23, v18 dst_sel:DWORD dst_unused:UNUSED_PAD src0_sel:WORD_0 src1_sel:DWORD
	v_mul_u32_u24_sdwa v20, v23, v18 dst_sel:DWORD dst_unused:UNUSED_PAD src0_sel:WORD_1 src1_sel:DWORD
	v_mul_u32_u24_sdwa v21, v24, v18 dst_sel:DWORD dst_unused:UNUSED_PAD src0_sel:WORD_0 src1_sel:DWORD
	v_mul_u32_u24_sdwa v22, v24, v18 dst_sel:DWORD dst_unused:UNUSED_PAD src0_sel:WORD_1 src1_sel:DWORD
	;; [unrolled: 2-line block ×8, first 2 shown]
	v_pk_fma_f16 v178, v2, v19, v3
	v_pk_fma_f16 v177, v2, v20, v4
	;; [unrolled: 1-line block ×16, first 2 shown]
	v_mov_b32_e32 v2, v34
	v_mov_b32_e32 v18, v50
	;; [unrolled: 1-line block ×32, first 2 shown]
.LBB52_240:
	v_cmp_lt_i32_e32 vcc_lo, v66, v70
	s_cmp_eq_u64 s[20:21], 0
	s_cselect_b32 s6, -1, 0
	s_cmp_lg_u32 s34, 0
	s_waitcnt vmcnt(0)
	v_cndmask_b32_e32 v0, v111, v66, vcc_lo
	v_cmp_lt_i32_e32 vcc_lo, v67, v70
	s_cselect_b32 s7, -1, 0
	s_or_b32 s6, s7, s6
	v_lshlrev_b32_e32 v0, 2, v0
	v_cndmask_b32_e32 v1, v111, v67, vcc_lo
	v_cmp_lt_i32_e32 vcc_lo, v68, v70
	ds_bpermute_b32 v36, v0, v18
	ds_bpermute_b32 v37, v0, v19
	ds_bpermute_b32 v39, v0, v20
	ds_bpermute_b32 v40, v0, v21
	v_lshlrev_b32_e32 v1, 2, v1
	ds_bpermute_b32 v41, v0, v22
	ds_bpermute_b32 v42, v0, v23
	;; [unrolled: 1-line block ×3, first 2 shown]
	v_cndmask_b32_e32 v34, v111, v68, vcc_lo
	ds_bpermute_b32 v43, v0, v24
	ds_bpermute_b32 v44, v0, v25
	;; [unrolled: 1-line block ×7, first 2 shown]
	v_lshlrev_b32_e32 v34, 2, v34
	v_cmp_lt_i32_e32 vcc_lo, v71, v70
	s_waitcnt lgkmcnt(13)
	v_add_f32_e32 v18, v18, v36
	s_waitcnt lgkmcnt(12)
	v_add_f32_e32 v19, v19, v37
	;; [unrolled: 2-line block ×4, first 2 shown]
	ds_bpermute_b32 v36, v0, v32
	ds_bpermute_b32 v37, v1, v18
	;; [unrolled: 1-line block ×4, first 2 shown]
	s_waitcnt lgkmcnt(13)
	v_add_f32_e32 v22, v22, v41
	ds_bpermute_b32 v39, v1, v19
	s_waitcnt lgkmcnt(13)
	v_add_f32_e32 v23, v23, v42
	s_waitcnt lgkmcnt(12)
	v_add_f32_e32 v28, v28, v47
	ds_bpermute_b32 v41, v1, v21
	ds_bpermute_b32 v42, v1, v22
	s_waitcnt lgkmcnt(13)
	v_add_f32_e32 v24, v24, v43
	s_waitcnt lgkmcnt(12)
	v_add_f32_e32 v25, v25, v44
	s_waitcnt lgkmcnt(11)
	v_add_f32_e32 v26, v26, v45
	s_waitcnt lgkmcnt(10)
	v_add_f32_e32 v27, v27, v46
	s_waitcnt lgkmcnt(9)
	v_add_f32_e32 v29, v29, v48
	s_waitcnt lgkmcnt(8)
	v_add_f32_e32 v30, v30, v49
	s_waitcnt lgkmcnt(7)
	v_add_f32_e32 v31, v31, v50
	v_cndmask_b32_e32 v35, v111, v71, vcc_lo
	ds_bpermute_b32 v43, v1, v23
	ds_bpermute_b32 v44, v1, v24
	s_waitcnt lgkmcnt(8)
	v_add_f32_e32 v32, v32, v36
	s_waitcnt lgkmcnt(7)
	v_add_f32_e32 v18, v18, v37
	ds_bpermute_b32 v37, v1, v28
	s_waitcnt lgkmcnt(6)
	v_add_f32_e32 v20, v20, v40
	v_add_f32_e32 v0, v33, v0
	ds_bpermute_b32 v45, v1, v25
	ds_bpermute_b32 v40, v34, v18
	;; [unrolled: 1-line block ×5, first 2 shown]
	s_waitcnt lgkmcnt(10)
	v_add_f32_e32 v19, v19, v39
	ds_bpermute_b32 v39, v1, v29
	ds_bpermute_b32 v33, v1, v30
	s_waitcnt lgkmcnt(11)
	v_add_f32_e32 v21, v21, v41
	ds_bpermute_b32 v41, v1, v31
	ds_bpermute_b32 v49, v1, v32
	;; [unrolled: 1-line block ×3, first 2 shown]
	s_waitcnt lgkmcnt(13)
	v_add_f32_e32 v22, v22, v42
	v_lshlrev_b32_e32 v35, 2, v35
	ds_bpermute_b32 v48, v34, v19
	ds_bpermute_b32 v42, v34, v21
	s_waitcnt lgkmcnt(14)
	v_add_f32_e32 v23, v23, v43
	s_waitcnt lgkmcnt(12)
	v_add_f32_e32 v28, v28, v37
	ds_bpermute_b32 v37, v34, v22
	v_add_f32_e32 v24, v24, v44
	s_waitcnt lgkmcnt(12)
	v_add_f32_e32 v25, v25, v45
	s_waitcnt lgkmcnt(11)
	;; [unrolled: 2-line block ×5, first 2 shown]
	v_add_f32_e32 v27, v27, v47
	ds_bpermute_b32 v43, v34, v24
	ds_bpermute_b32 v36, v35, v18
	s_waitcnt lgkmcnt(9)
	v_add_f32_e32 v29, v29, v39
	s_waitcnt lgkmcnt(8)
	v_add_f32_e32 v30, v30, v33
	s_waitcnt lgkmcnt(7)
	v_add_f32_e32 v31, v31, v41
	s_waitcnt lgkmcnt(6)
	v_add_f32_e32 v32, v32, v49
	s_waitcnt lgkmcnt(5)
	v_add_f32_e32 v0, v0, v1
	ds_bpermute_b32 v39, v34, v23
	ds_bpermute_b32 v1, v34, v25
	s_waitcnt lgkmcnt(6)
	v_add_f32_e32 v19, v19, v48
	s_waitcnt lgkmcnt(5)
	v_add_f32_e32 v21, v21, v42
	ds_bpermute_b32 v41, v34, v26
	ds_bpermute_b32 v42, v34, v27
	;; [unrolled: 1-line block ×7, first 2 shown]
	s_waitcnt lgkmcnt(11)
	v_add_f32_e32 v22, v22, v37
	ds_bpermute_b32 v34, v34, v0
	ds_bpermute_b32 v40, v35, v19
	;; [unrolled: 1-line block ×3, first 2 shown]
	s_waitcnt lgkmcnt(12)
	v_add_f32_e32 v18, v18, v36
	ds_bpermute_b32 v36, v35, v22
	ds_bpermute_b32 v33, v35, v20
	v_cmp_lt_i32_e32 vcc_lo, v69, v70
	v_add_f32_e32 v24, v24, v43
	s_waitcnt lgkmcnt(13)
	v_add_f32_e32 v23, v23, v39
	s_waitcnt lgkmcnt(12)
	v_add_f32_e32 v1, v25, v1
	v_cndmask_b32_e32 v38, v111, v69, vcc_lo
	s_waitcnt lgkmcnt(11)
	v_add_f32_e32 v26, v26, v41
	s_waitcnt lgkmcnt(10)
	v_add_f32_e32 v27, v27, v42
	;; [unrolled: 2-line block ×7, first 2 shown]
	v_lshlrev_b32_e32 v38, 2, v38
	s_waitcnt lgkmcnt(4)
	v_add_f32_e32 v0, v0, v34
	s_waitcnt lgkmcnt(3)
	v_add_f32_e32 v19, v19, v40
	ds_bpermute_b32 v39, v35, v23
	ds_bpermute_b32 v40, v35, v24
	s_waitcnt lgkmcnt(4)
	v_add_f32_e32 v21, v21, v44
	ds_bpermute_b32 v41, v35, v1
	ds_bpermute_b32 v42, v35, v26
	;; [unrolled: 1-line block ×6, first 2 shown]
	s_waitcnt lgkmcnt(9)
	v_add_f32_e32 v22, v22, v36
	ds_bpermute_b32 v34, v35, v31
	ds_bpermute_b32 v36, v35, v32
	;; [unrolled: 1-line block ×3, first 2 shown]
	s_waitcnt lgkmcnt(11)
	v_add_f32_e32 v20, v20, v33
	ds_bpermute_b32 v33, v38, v18
	ds_bpermute_b32 v37, v38, v19
	s_and_b32 vcc_lo, exec_lo, s6
	ds_bpermute_b32 v25, v38, v20
	s_waitcnt lgkmcnt(13)
	v_add_f32_e32 v23, v23, v39
	s_waitcnt lgkmcnt(12)
	v_add_f32_e32 v24, v24, v40
	ds_bpermute_b32 v39, v38, v21
	s_waitcnt lgkmcnt(12)
	v_add_f32_e32 v1, v1, v41
	s_waitcnt lgkmcnt(11)
	v_add_f32_e32 v26, v26, v42
	;; [unrolled: 2-line block ×6, first 2 shown]
	ds_bpermute_b32 v40, v38, v22
	s_waitcnt lgkmcnt(7)
	v_add_f32_e32 v34, v31, v34
	s_waitcnt lgkmcnt(6)
	v_add_f32_e32 v32, v32, v36
	s_waitcnt lgkmcnt(5)
	v_add_f32_e32 v0, v0, v35
	ds_bpermute_b32 v41, v38, v23
	ds_bpermute_b32 v47, v38, v24
	;; [unrolled: 1-line block ×10, first 2 shown]
	s_waitcnt lgkmcnt(14)
	v_add_f32_e32 v58, v18, v33
	ds_bpermute_b32 v18, v38, v0
	s_waitcnt lgkmcnt(14)
	v_add_f32_e32 v56, v19, v37
	s_waitcnt lgkmcnt(13)
	v_add_f32_e32 v54, v20, v25
	s_waitcnt lgkmcnt(12)
	v_add_f32_e32 v52, v21, v39
	s_waitcnt lgkmcnt(11)
	v_add_f32_e32 v50, v22, v40
	s_waitcnt lgkmcnt(10)
	v_add_f32_e32 v48, v23, v41
	s_waitcnt lgkmcnt(9)
	v_add_f32_e32 v46, v24, v47
	s_waitcnt lgkmcnt(8)
	v_add_f32_e32 v44, v1, v42
	s_waitcnt lgkmcnt(7)
	v_add_f32_e32 v42, v26, v43
	s_waitcnt lgkmcnt(6)
	v_add_f32_e32 v40, v27, v45
	s_waitcnt lgkmcnt(5)
	v_add_f32_e32 v33, v28, v49
	s_waitcnt lgkmcnt(4)
	v_add_f32_e32 v31, v29, v51
	s_waitcnt lgkmcnt(3)
	v_add_f32_e32 v38, v30, v53
	s_waitcnt lgkmcnt(2)
	v_add_f32_e32 v36, v34, v35
	s_waitcnt lgkmcnt(1)
	v_add_f32_e32 v34, v32, v55
	s_waitcnt lgkmcnt(0)
	v_add_f32_e32 v1, v0, v18
	s_cbranch_vccnz .LBB52_242
; %bb.241:
	s_lshl_b64 s[6:7], s[44:45], 2
	v_mov_b32_e32 v0, 0
	s_add_u32 s6, s20, s6
	s_addc_u32 s7, s21, s7
	v_max_f32_e32 v18, v2, v2
	v_max_f32_e32 v19, v3, v3
	global_load_dword v37, v0, s[6:7]
	v_max_f32_e32 v0, v4, v4
	v_max_f32_e32 v21, v5, v5
	;; [unrolled: 1-line block ×7, first 2 shown]
	v_mov_b32_e32 v132, v109
	v_max_f32_e32 v27, v11, v11
	v_max_f32_e32 v28, v12, v12
	;; [unrolled: 1-line block ×3, first 2 shown]
	v_mov_b32_e32 v35, 0x10001
	v_max_f32_e32 v30, v14, v14
	s_waitcnt vmcnt(0)
	v_max_f32_e32 v39, v37, v37
	v_max_f32_e32 v18, v18, v39
	;; [unrolled: 1-line block ×6, first 2 shown]
	v_sub_f32_e32 v0, v2, v18
	v_sub_f32_e32 v2, v37, v18
	;; [unrolled: 1-line block ×5, first 2 shown]
	v_mul_f32_e32 v60, 0x3fb8aa3b, v0
	v_mul_f32_e32 v61, 0x3fb8aa3b, v2
	;; [unrolled: 1-line block ×4, first 2 shown]
	v_sub_f32_e32 v41, v37, v20
	v_fma_f32 v84, 0x3fb8aa3b, v0, -v60
	v_rndne_f32_e32 v85, v60
	v_fma_f32 v86, 0x3fb8aa3b, v2, -v61
	v_rndne_f32_e32 v87, v61
	v_fma_f32 v88, 0x3fb8aa3b, v3, -v62
	v_fmac_f32_e32 v84, 0x32a5705f, v0
	v_sub_f32_e32 v60, v60, v85
	v_rndne_f32_e32 v89, v62
	v_fmac_f32_e32 v86, 0x32a5705f, v2
	v_sub_f32_e32 v61, v61, v87
	v_mul_f32_e32 v64, 0x3fb8aa3b, v4
	v_add_f32_e32 v60, v60, v84
	v_fma_f32 v90, 0x3fb8aa3b, v32, -v63
	v_rndne_f32_e32 v91, v63
	v_fmac_f32_e32 v88, 0x32a5705f, v3
	v_sub_f32_e32 v62, v62, v89
	v_add_f32_e32 v61, v61, v86
	v_exp_f32_e32 v60, v60
	v_sub_f32_e32 v5, v5, v21
	v_mul_f32_e32 v65, 0x3fb8aa3b, v41
	v_fma_f32 v92, 0x3fb8aa3b, v4, -v64
	v_rndne_f32_e32 v93, v64
	v_cvt_i32_f32_e32 v85, v85
	v_fmac_f32_e32 v90, 0x32a5705f, v32
	v_sub_f32_e32 v63, v63, v91
	v_add_f32_e32 v62, v62, v88
	v_exp_f32_e32 v61, v61
	v_sub_f32_e32 v43, v37, v21
	v_mul_f32_e32 v66, 0x3fb8aa3b, v5
	v_fma_f32 v94, 0x3fb8aa3b, v41, -v65
	v_rndne_f32_e32 v95, v65
	v_cvt_i32_f32_e32 v87, v87
	v_fmac_f32_e32 v92, 0x32a5705f, v4
	v_sub_f32_e32 v64, v64, v93
	v_add_f32_e32 v63, v63, v90
	v_exp_f32_e32 v62, v62
	v_ldexp_f32 v60, v60, v85
	v_cmp_ngt_f32_e32 vcc_lo, 0xc2ce8ed0, v0
	v_sub_f32_e32 v6, v6, v22
	v_mul_f32_e32 v67, 0x3fb8aa3b, v43
	v_fma_f32 v96, 0x3fb8aa3b, v5, -v66
	v_rndne_f32_e32 v97, v66
	v_cvt_i32_f32_e32 v89, v89
	v_fmac_f32_e32 v94, 0x32a5705f, v41
	v_sub_f32_e32 v65, v65, v95
	v_add_f32_e32 v64, v64, v92
	v_exp_f32_e32 v63, v63
	v_ldexp_f32 v61, v61, v87
	v_cndmask_b32_e32 v60, 0, v60, vcc_lo
	v_cmp_ngt_f32_e32 vcc_lo, 0xc2ce8ed0, v2
	v_max_f32_e32 v23, v23, v39
	v_sub_f32_e32 v45, v37, v22
	v_mul_f32_e32 v68, 0x3fb8aa3b, v6
	v_fma_f32 v98, 0x3fb8aa3b, v43, -v67
	v_rndne_f32_e32 v99, v67
	v_cvt_i32_f32_e32 v91, v91
	v_fmac_f32_e32 v96, 0x32a5705f, v5
	v_sub_f32_e32 v66, v66, v97
	v_add_f32_e32 v65, v65, v94
	v_exp_f32_e32 v64, v64
	v_ldexp_f32 v62, v62, v89
	v_cndmask_b32_e32 v61, 0, v61, vcc_lo
	v_cmp_ngt_f32_e32 vcc_lo, 0xc2ce8ed0, v3
	v_sub_f32_e32 v7, v7, v23
	v_mul_f32_e32 v69, 0x3fb8aa3b, v45
	v_fma_f32 v100, 0x3fb8aa3b, v6, -v68
	v_rndne_f32_e32 v101, v68
	v_cvt_i32_f32_e32 v93, v93
	v_fmac_f32_e32 v98, 0x32a5705f, v43
	v_sub_f32_e32 v67, v67, v99
	v_add_f32_e32 v66, v66, v96
	v_exp_f32_e32 v65, v65
	v_ldexp_f32 v63, v63, v91
	v_cndmask_b32_e32 v62, 0, v62, vcc_lo
	v_cmp_ngt_f32_e32 vcc_lo, 0xc2ce8ed0, v32
	v_max_f32_e32 v24, v24, v39
	v_sub_f32_e32 v47, v37, v23
	v_mul_f32_e32 v70, 0x3fb8aa3b, v7
	v_fma_f32 v102, 0x3fb8aa3b, v45, -v69
	v_rndne_f32_e32 v103, v69
	v_cvt_i32_f32_e32 v95, v95
	v_fmac_f32_e32 v100, 0x32a5705f, v6
	v_sub_f32_e32 v68, v68, v101
	v_add_f32_e32 v67, v67, v98
	v_exp_f32_e32 v66, v66
	v_ldexp_f32 v64, v64, v93
	v_cndmask_b32_e32 v63, 0, v63, vcc_lo
	;; [unrolled: 25-line block ×6, first 2 shown]
	v_cmp_ngt_f32_e32 vcc_lo, 0xc2ce8ed0, v8
	v_sub_f32_e32 v12, v12, v28
	v_mul_f32_e32 v79, 0x3fb8aa3b, v55
	v_fma_f32 v120, 0x3fb8aa3b, v11, -v78
	v_rndne_f32_e32 v121, v78
	v_cvt_i32_f32_e32 v113, v113
	v_fmac_f32_e32 v118, 0x32a5705f, v53
	v_sub_f32_e32 v77, v77, v119
	v_add_f32_e32 v76, v76, v116
	v_exp_f32_e32 v75, v75
	v_ldexp_f32 v73, v73, v111
	v_cndmask_b32_e32 v72, 0, v72, vcc_lo
	v_cmp_ngt_f32_e32 vcc_lo, 0xc2ce8ed0, v49
	v_sub_f32_e32 v57, v37, v28
	v_mul_f32_e32 v80, 0x3fb8aa3b, v12
	v_fma_f32 v122, 0x3fb8aa3b, v55, -v79
	v_rndne_f32_e32 v123, v79
	v_cvt_i32_f32_e32 v115, v115
	v_fmac_f32_e32 v120, 0x32a5705f, v11
	v_sub_f32_e32 v78, v78, v121
	v_add_f32_e32 v77, v77, v118
	v_exp_f32_e32 v76, v76
	v_ldexp_f32 v74, v74, v113
	v_cndmask_b32_e32 v73, 0, v73, vcc_lo
	v_cmp_ngt_f32_e32 vcc_lo, 0xc2ce8ed0, v9
	v_mul_f32_e32 v81, 0x3fb8aa3b, v57
	v_fma_f32 v124, 0x3fb8aa3b, v12, -v80
	v_rndne_f32_e32 v125, v80
	v_cvt_i32_f32_e32 v117, v117
	v_fmac_f32_e32 v122, 0x32a5705f, v55
	v_sub_f32_e32 v79, v79, v123
	v_add_f32_e32 v78, v78, v120
	v_exp_f32_e32 v77, v77
	v_ldexp_f32 v75, v75, v115
	v_cndmask_b32_e32 v74, 0, v74, vcc_lo
	v_cmp_ngt_f32_e32 vcc_lo, 0xc2ce8ed0, v51
	v_fma_f32 v126, 0x3fb8aa3b, v57, -v81
	v_rndne_f32_e32 v127, v81
	v_cvt_i32_f32_e32 v119, v119
	v_fmac_f32_e32 v124, 0x32a5705f, v12
	v_sub_f32_e32 v80, v80, v125
	v_add_f32_e32 v79, v79, v122
	v_exp_f32_e32 v78, v78
	v_ldexp_f32 v76, v76, v117
	v_cndmask_b32_e32 v75, 0, v75, vcc_lo
	v_cmp_ngt_f32_e32 vcc_lo, 0xc2ce8ed0, v10
	v_cvt_i32_f32_e32 v121, v121
	v_fmac_f32_e32 v126, 0x32a5705f, v57
	v_sub_f32_e32 v81, v81, v127
	v_add_f32_e32 v80, v80, v124
	v_exp_f32_e32 v79, v79
	v_ldexp_f32 v77, v77, v119
	v_cndmask_b32_e32 v76, 0, v76, vcc_lo
	v_cmp_ngt_f32_e32 vcc_lo, 0xc2ce8ed0, v53
	v_cvt_i32_f32_e32 v123, v123
	v_add_f32_e32 v81, v81, v126
	v_exp_f32_e32 v80, v80
	v_ldexp_f32 v78, v78, v121
	v_cndmask_b32_e32 v77, 0, v77, vcc_lo
	v_cmp_ngt_f32_e32 vcc_lo, 0xc2ce8ed0, v11
	v_cvt_i32_f32_e32 v125, v125
	v_exp_f32_e32 v81, v81
	v_ldexp_f32 v79, v79, v123
	v_cvt_i32_f32_e32 v127, v127
	v_cndmask_b32_e32 v78, 0, v78, vcc_lo
	v_cmp_ngt_f32_e32 vcc_lo, 0xc2ce8ed0, v55
	v_ldexp_f32 v80, v80, v125
	v_max_f32_e32 v29, v29, v39
	v_max_f32_e32 v30, v30, v39
	v_mov_b32_e32 v109, v132
	v_cndmask_b32_e32 v79, 0, v79, vcc_lo
	v_cmp_ngt_f32_e32 vcc_lo, 0xc2ce8ed0, v12
	v_ldexp_f32 v81, v81, v127
	v_sub_f32_e32 v13, v13, v29
	v_sub_f32_e32 v59, v37, v29
	v_cndmask_b32_e32 v80, 0, v80, vcc_lo
	v_cmp_ngt_f32_e32 vcc_lo, 0xc2ce8ed0, v57
	v_mul_f32_e32 v82, 0x3fb8aa3b, v13
	v_mul_f32_e32 v83, 0x3fb8aa3b, v59
	v_cndmask_b32_e32 v81, 0, v81, vcc_lo
	v_cmp_nlt_f32_e32 vcc_lo, 0x42b17218, v0
	v_fma_f32 v128, 0x3fb8aa3b, v13, -v82
	v_rndne_f32_e32 v129, v82
	v_fma_f32 v130, 0x3fb8aa3b, v59, -v83
	v_rndne_f32_e32 v131, v83
	v_cndmask_b32_e32 v0, 0x7f800000, v60, vcc_lo
	v_cmp_nlt_f32_e32 vcc_lo, 0x42b17218, v2
	v_fmac_f32_e32 v128, 0x32a5705f, v13
	v_sub_f32_e32 v82, v82, v129
	v_fmac_f32_e32 v130, 0x32a5705f, v59
	v_sub_f32_e32 v83, v83, v131
	v_cndmask_b32_e32 v60, 0x7f800000, v61, vcc_lo
	v_cmp_nlt_f32_e32 vcc_lo, 0x42b17218, v3
	v_add_f32_e32 v82, v82, v128
	v_add_f32_e32 v83, v83, v130
	v_fmac_f32_e32 v60, v58, v0
	v_cndmask_b32_e32 v2, 0x7f800000, v62, vcc_lo
	v_cmp_nlt_f32_e32 vcc_lo, 0x42b17218, v32
	v_exp_f32_e32 v82, v82
	v_cvt_f16_f32_e32 v0, v0
	v_mov_b32_e32 v58, v60
	v_cndmask_b32_e32 v61, 0x7f800000, v63, vcc_lo
	v_cmp_nlt_f32_e32 vcc_lo, 0x42b17218, v4
	v_mul_u32_u24_sdwa v0, v0, v35 dst_sel:DWORD dst_unused:UNUSED_PAD src0_sel:WORD_0 src1_sel:DWORD
	v_fmac_f32_e32 v61, v56, v2
	v_cndmask_b32_e32 v3, 0x7f800000, v64, vcc_lo
	v_cmp_nlt_f32_e32 vcc_lo, 0x42b17218, v41
	v_cvt_f16_f32_e32 v2, v2
	v_pk_mul_f16 v178, v178, v0
	v_mov_b32_e32 v56, v61
	v_cndmask_b32_e32 v41, 0x7f800000, v65, vcc_lo
	v_cmp_nlt_f32_e32 vcc_lo, 0x42b17218, v5
	v_mul_u32_u24_sdwa v2, v2, v35 dst_sel:DWORD dst_unused:UNUSED_PAD src0_sel:WORD_0 src1_sel:DWORD
	v_fmac_f32_e32 v41, v54, v3
	v_cndmask_b32_e32 v4, 0x7f800000, v66, vcc_lo
	v_cmp_nlt_f32_e32 vcc_lo, 0x42b17218, v43
	v_cvt_f16_f32_e32 v3, v3
	v_pk_mul_f16 v177, v177, v2
	v_cvt_i32_f32_e32 v2, v129
	v_mov_b32_e32 v54, v41
	v_cndmask_b32_e32 v43, 0x7f800000, v67, vcc_lo
	v_cmp_nlt_f32_e32 vcc_lo, 0x42b17218, v6
	v_mul_u32_u24_sdwa v3, v3, v35 dst_sel:DWORD dst_unused:UNUSED_PAD src0_sel:WORD_0 src1_sel:DWORD
	v_ldexp_f32 v2, v82, v2
	v_fmac_f32_e32 v43, v52, v4
	v_cndmask_b32_e32 v5, 0x7f800000, v68, vcc_lo
	v_cmp_nlt_f32_e32 vcc_lo, 0x42b17218, v45
	v_cvt_f16_f32_e32 v4, v4
	v_pk_mul_f16 v176, v176, v3
	v_exp_f32_e32 v3, v83
	v_mov_b32_e32 v52, v43
	v_cndmask_b32_e32 v45, 0x7f800000, v69, vcc_lo
	v_cmp_nlt_f32_e32 vcc_lo, 0x42b17218, v7
	v_mul_u32_u24_sdwa v4, v4, v35 dst_sel:DWORD dst_unused:UNUSED_PAD src0_sel:WORD_0 src1_sel:DWORD
	v_fmac_f32_e32 v45, v50, v5
	v_cndmask_b32_e32 v6, 0x7f800000, v70, vcc_lo
	v_cmp_nlt_f32_e32 vcc_lo, 0x42b17218, v47
	v_cvt_f16_f32_e32 v5, v5
	v_pk_mul_f16 v175, v175, v4
	v_sub_f32_e32 v4, v14, v30
	v_mov_b32_e32 v50, v45
	v_cndmask_b32_e32 v47, 0x7f800000, v71, vcc_lo
	v_cmp_nlt_f32_e32 vcc_lo, 0x42b17218, v8
	v_mul_u32_u24_sdwa v5, v5, v35 dst_sel:DWORD dst_unused:UNUSED_PAD src0_sel:WORD_0 src1_sel:DWORD
	v_fmac_f32_e32 v47, v48, v6
	v_cndmask_b32_e32 v7, 0x7f800000, v72, vcc_lo
	v_cmp_nlt_f32_e32 vcc_lo, 0x42b17218, v49
	v_cvt_f16_f32_e32 v6, v6
	v_pk_mul_f16 v174, v174, v5
	v_mov_b32_e32 v48, v47
	v_cndmask_b32_e32 v49, 0x7f800000, v73, vcc_lo
	v_cmp_nlt_f32_e32 vcc_lo, 0x42b17218, v9
	v_mul_u32_u24_sdwa v6, v6, v35 dst_sel:DWORD dst_unused:UNUSED_PAD src0_sel:WORD_0 src1_sel:DWORD
	v_fmac_f32_e32 v49, v46, v7
	v_cndmask_b32_e32 v8, 0x7f800000, v74, vcc_lo
	v_cmp_nlt_f32_e32 vcc_lo, 0x42b17218, v51
	v_cvt_f16_f32_e32 v7, v7
	v_pk_mul_f16 v173, v173, v6
	v_cvt_i32_f32_e32 v6, v131
	v_mov_b32_e32 v46, v49
	v_cndmask_b32_e32 v51, 0x7f800000, v75, vcc_lo
	v_cmp_nlt_f32_e32 vcc_lo, 0x42b17218, v10
	v_mul_u32_u24_sdwa v7, v7, v35 dst_sel:DWORD dst_unused:UNUSED_PAD src0_sel:WORD_0 src1_sel:DWORD
	v_ldexp_f32 v3, v3, v6
	v_fmac_f32_e32 v51, v44, v8
	v_cndmask_b32_e32 v9, 0x7f800000, v76, vcc_lo
	v_cmp_nlt_f32_e32 vcc_lo, 0x42b17218, v53
	v_cvt_f16_f32_e32 v8, v8
	v_pk_mul_f16 v172, v172, v7
	v_mul_f32_e32 v7, 0x3fb8aa3b, v4
	v_mov_b32_e32 v44, v51
	v_cndmask_b32_e32 v53, 0x7f800000, v77, vcc_lo
	v_cmp_nlt_f32_e32 vcc_lo, 0x42b17218, v11
	v_mul_u32_u24_sdwa v8, v8, v35 dst_sel:DWORD dst_unused:UNUSED_PAD src0_sel:WORD_0 src1_sel:DWORD
	v_rndne_f32_e32 v6, v7
	v_fmac_f32_e32 v53, v42, v9
	v_cndmask_b32_e32 v10, 0x7f800000, v78, vcc_lo
	v_cmp_nlt_f32_e32 vcc_lo, 0x42b17218, v55
	v_cvt_f16_f32_e32 v9, v9
	v_pk_mul_f16 v171, v171, v8
	v_sub_f32_e32 v8, v37, v30
	v_mov_b32_e32 v42, v53
	v_cndmask_b32_e32 v55, 0x7f800000, v79, vcc_lo
	v_cmp_nlt_f32_e32 vcc_lo, 0x42b17218, v12
	v_mul_u32_u24_sdwa v9, v9, v35 dst_sel:DWORD dst_unused:UNUSED_PAD src0_sel:WORD_0 src1_sel:DWORD
	v_fmac_f32_e32 v55, v40, v10
	v_cndmask_b32_e32 v11, 0x7f800000, v80, vcc_lo
	v_cmp_nlt_f32_e32 vcc_lo, 0x42b17218, v57
	v_cvt_f16_f32_e32 v10, v10
	v_pk_mul_f16 v170, v170, v9
	v_mov_b32_e32 v40, v55
	v_cvt_f16_f32_e32 v12, v11
	v_cndmask_b32_e32 v0, 0x7f800000, v81, vcc_lo
	v_cmp_ngt_f32_e32 vcc_lo, 0xc2ce8ed0, v13
	v_mul_u32_u24_sdwa v10, v10, v35 dst_sel:DWORD dst_unused:UNUSED_PAD src0_sel:WORD_0 src1_sel:DWORD
	v_mul_u32_u24_sdwa v5, v12, v35 dst_sel:DWORD dst_unused:UNUSED_PAD src0_sel:WORD_0 src1_sel:DWORD
	v_fmac_f32_e32 v0, v33, v11
	v_cndmask_b32_e32 v2, 0, v2, vcc_lo
	v_cmp_nlt_f32_e32 vcc_lo, 0x42b17218, v13
	v_pk_mul_f16 v169, v169, v10
	v_pk_mul_f16 v168, v168, v5
	v_fma_f32 v5, 0x3fb8aa3b, v4, -v7
	v_sub_f32_e32 v7, v7, v6
	v_cndmask_b32_e32 v2, 0x7f800000, v2, vcc_lo
	v_cmp_ngt_f32_e32 vcc_lo, 0xc2ce8ed0, v59
	v_cvt_i32_f32_e32 v6, v6
	v_fmac_f32_e32 v5, 0x32a5705f, v4
	v_cvt_f16_f32_e32 v9, v2
	v_cndmask_b32_e32 v3, 0, v3, vcc_lo
	v_cmp_nlt_f32_e32 vcc_lo, 0x42b17218, v59
	v_add_f32_e32 v5, v7, v5
	v_mul_f32_e32 v7, 0x3fb8aa3b, v8
	v_cndmask_b32_e32 v57, 0x7f800000, v3, vcc_lo
	v_max_f32_e32 v3, v15, v15
	v_cmp_ngt_f32_e32 vcc_lo, 0xc2ce8ed0, v4
	v_fmac_f32_e32 v57, v31, v2
	v_max_f32_e32 v31, v3, v39
	v_mul_u32_u24_sdwa v2, v9, v35 dst_sel:DWORD dst_unused:UNUSED_PAD src0_sel:WORD_0 src1_sel:DWORD
	v_exp_f32_e32 v3, v5
	v_fma_f32 v5, 0x3fb8aa3b, v8, -v7
	v_rndne_f32_e32 v9, v7
	v_sub_f32_e32 v10, v15, v31
	v_sub_f32_e32 v11, v37, v31
	v_pk_mul_f16 v167, v167, v2
	v_fmac_f32_e32 v5, 0x32a5705f, v8
	v_sub_f32_e32 v7, v7, v9
	v_mul_f32_e32 v12, 0x3fb8aa3b, v10
	v_mul_f32_e32 v2, 0x3fb8aa3b, v11
	v_ldexp_f32 v3, v3, v6
	v_cvt_i32_f32_e32 v9, v9
	v_add_f32_e32 v5, v7, v5
	v_fma_f32 v6, 0x3fb8aa3b, v10, -v12
	v_rndne_f32_e32 v7, v12
	v_fma_f32 v13, 0x3fb8aa3b, v11, -v2
	v_rndne_f32_e32 v14, v2
	v_exp_f32_e32 v5, v5
	v_fmac_f32_e32 v6, 0x32a5705f, v10
	v_sub_f32_e32 v12, v12, v7
	v_fmac_f32_e32 v13, 0x32a5705f, v11
	v_sub_f32_e32 v2, v2, v14
	v_cndmask_b32_e32 v3, 0, v3, vcc_lo
	v_cmp_nlt_f32_e32 vcc_lo, 0x42b17218, v4
	v_add_f32_e32 v6, v12, v6
	v_cvt_i32_f32_e32 v7, v7
	v_add_f32_e32 v2, v2, v13
	v_ldexp_f32 v5, v5, v9
	v_cndmask_b32_e32 v3, 0x7f800000, v3, vcc_lo
	v_exp_f32_e32 v4, v6
	v_cmp_ngt_f32_e32 vcc_lo, 0xc2ce8ed0, v8
	v_exp_f32_e32 v2, v2
	v_cvt_i32_f32_e32 v9, v14
	v_cvt_f16_f32_e32 v6, v3
	v_max_f32_e32 v12, v16, v16
	v_cndmask_b32_e32 v5, 0, v5, vcc_lo
	v_cmp_nlt_f32_e32 vcc_lo, 0x42b17218, v8
	v_ldexp_f32 v4, v4, v7
	v_max_f32_e32 v32, v12, v39
	v_cndmask_b32_e32 v59, 0x7f800000, v5, vcc_lo
	v_cmp_ngt_f32_e32 vcc_lo, 0xc2ce8ed0, v10
	v_ldexp_f32 v2, v2, v9
	v_mul_u32_u24_sdwa v5, v6, v35 dst_sel:DWORD dst_unused:UNUSED_PAD src0_sel:WORD_0 src1_sel:DWORD
	v_max_f32_e32 v6, v17, v17
	v_sub_f32_e32 v7, v16, v32
	v_cndmask_b32_e32 v4, 0, v4, vcc_lo
	v_cmp_ngt_f32_e32 vcc_lo, 0xc2ce8ed0, v11
	v_fmac_f32_e32 v59, v38, v3
	v_max_f32_e32 v33, v6, v39
	v_pk_mul_f16 v166, v166, v5
	v_sub_f32_e32 v9, v37, v32
	v_cndmask_b32_e32 v2, 0, v2, vcc_lo
	v_cmp_nlt_f32_e32 vcc_lo, 0x42b17218, v10
	v_sub_f32_e32 v3, v17, v33
	v_sub_f32_e32 v13, v37, v33
	v_mul_f32_e32 v12, 0x3fb8aa3b, v9
	v_mov_b32_e32 v38, v59
	v_cndmask_b32_e32 v4, 0x7f800000, v4, vcc_lo
	v_cmp_nlt_f32_e32 vcc_lo, 0x42b17218, v11
	v_mul_f32_e32 v8, 0x3fb8aa3b, v3
	v_mul_f32_e32 v14, 0x3fb8aa3b, v13
	v_rndne_f32_e32 v15, v12
	v_cndmask_b32_e32 v39, 0x7f800000, v2, vcc_lo
	v_mul_f32_e32 v2, 0x3fb8aa3b, v7
	v_fma_f32 v10, 0x3fb8aa3b, v3, -v8
	v_rndne_f32_e32 v11, v8
	v_rndne_f32_e32 v16, v14
	v_cmp_ngt_f32_e32 vcc_lo, 0xc2ce8ed0, v7
	v_fma_f32 v5, 0x3fb8aa3b, v7, -v2
	v_rndne_f32_e32 v6, v2
	v_fmac_f32_e32 v10, 0x32a5705f, v3
	v_fmac_f32_e32 v39, v36, v4
	v_cvt_f16_f32_e32 v4, v4
	v_fmac_f32_e32 v5, 0x32a5705f, v7
	v_sub_f32_e32 v2, v2, v6
	v_cvt_i32_f32_e32 v6, v6
	v_mov_b32_e32 v36, v39
	v_mul_u32_u24_sdwa v4, v4, v35 dst_sel:DWORD dst_unused:UNUSED_PAD src0_sel:WORD_0 src1_sel:DWORD
	v_add_f32_e32 v2, v2, v5
	v_sub_f32_e32 v5, v8, v11
	v_fma_f32 v8, 0x3fb8aa3b, v9, -v12
	v_sub_f32_e32 v12, v12, v15
	v_cvt_i32_f32_e32 v11, v11
	v_exp_f32_e32 v2, v2
	v_add_f32_e32 v5, v5, v10
	v_fmac_f32_e32 v8, 0x32a5705f, v9
	v_fma_f32 v10, 0x3fb8aa3b, v13, -v14
	v_sub_f32_e32 v14, v14, v16
	v_pk_mul_f16 v165, v165, v4
	v_exp_f32_e32 v5, v5
	v_add_f32_e32 v8, v12, v8
	v_fmac_f32_e32 v10, 0x32a5705f, v13
	v_ldexp_f32 v2, v2, v6
	v_exp_f32_e32 v8, v8
	v_add_f32_e32 v6, v14, v10
	v_cvt_i32_f32_e32 v10, v15
	v_cndmask_b32_e32 v2, 0, v2, vcc_lo
	v_ldexp_f32 v5, v5, v11
	v_cmp_ngt_f32_e32 vcc_lo, 0xc2ce8ed0, v3
	v_exp_f32_e32 v6, v6
	v_cvt_i32_f32_e32 v11, v16
	v_cndmask_b32_e32 v5, 0, v5, vcc_lo
	v_cmp_nlt_f32_e32 vcc_lo, 0x42b17218, v7
	v_ldexp_f32 v7, v8, v10
	v_cndmask_b32_e32 v2, 0x7f800000, v2, vcc_lo
	v_cmp_nlt_f32_e32 vcc_lo, 0x42b17218, v3
	v_cndmask_b32_e32 v3, 0x7f800000, v5, vcc_lo
	v_cmp_ngt_f32_e32 vcc_lo, 0xc2ce8ed0, v9
	v_ldexp_f32 v5, v6, v11
	v_cvt_f16_f32_e32 v8, v3
	v_cndmask_b32_e32 v6, 0, v7, vcc_lo
	v_cmp_ngt_f32_e32 vcc_lo, 0xc2ce8ed0, v13
	v_cvt_f16_f32_e32 v7, v2
	v_cndmask_b32_e32 v5, 0, v5, vcc_lo
	v_cmp_nlt_f32_e32 vcc_lo, 0x42b17218, v9
	v_cndmask_b32_e32 v37, 0x7f800000, v6, vcc_lo
	v_cmp_nlt_f32_e32 vcc_lo, 0x42b17218, v13
	v_mul_u32_u24_sdwa v6, v7, v35 dst_sel:DWORD dst_unused:UNUSED_PAD src0_sel:WORD_0 src1_sel:DWORD
	v_fmac_f32_e32 v37, v34, v2
	v_cndmask_b32_e32 v62, 0x7f800000, v5, vcc_lo
	v_mul_u32_u24_sdwa v5, v8, v35 dst_sel:DWORD dst_unused:UNUSED_PAD src0_sel:WORD_0 src1_sel:DWORD
	v_pk_mul_f16 v164, v164, v6
	v_mov_b32_e32 v34, v37
	v_fmac_f32_e32 v62, v1, v3
	v_pk_mul_f16 v163, v163, v5
	v_mov_b32_e32 v2, v18
	v_mov_b32_e32 v3, v19
	;; [unrolled: 1-line block ×19, first 2 shown]
.LBB52_242:
	s_mov_b32 s6, exec_lo
	v_cmpx_gt_i32_e64 s30, v109
	s_cbranch_execz .LBB52_322
; %bb.243:
	s_load_dword s5, s[4:5], 0xd4
	v_mov_b32_e32 v20, 1.0
	s_waitcnt lgkmcnt(0)
	s_cmp_lg_u32 s5, 1
	s_cselect_b32 s8, -1, 0
	s_cmp_eq_u32 s5, 1
	s_cselect_b32 s7, -1, 0
	s_and_b32 vcc_lo, exec_lo, s8
	s_cbranch_vccnz .LBB52_245
; %bb.244:
	v_div_scale_f32 v0, null, v58, v58, 1.0
	v_rcp_f32_e32 v18, v0
	v_fma_f32 v19, -v0, v18, 1.0
	v_fmac_f32_e32 v18, v19, v18
	v_div_scale_f32 v19, vcc_lo, 1.0, v58, 1.0
	v_mul_f32_e32 v20, v19, v18
	v_fma_f32 v21, -v0, v20, v19
	v_fmac_f32_e32 v20, v21, v18
	v_fma_f32 v0, -v0, v20, v19
	v_div_fmas_f32 v0, v0, v18, v20
	v_div_fixup_f32 v20, v0, v58, 1.0
.LBB52_245:
	buffer_load_dword v0, off, s[0:3], 0 offset:68 ; 4-byte Folded Reload
	s_mul_i32 s6, s33, s30
	v_mov_b32_e32 v22, 0
	s_add_i32 s6, s6, s18
	v_cvt_f32_f16_sdwa v23, v178 dst_sel:DWORD dst_unused:UNUSED_PAD src0_sel:WORD_1
	v_cmp_eq_u32_e32 vcc_lo, 0, v190
	s_waitcnt vmcnt(0)
	v_add_nc_u32_e32 v0, s6, v0
	v_mad_u64_u32 v[18:19], null, v0, s31, s[44:45]
	v_cvt_f32_f16_e32 v0, v178
	v_mad_u64_u32 v[18:19], null, s5, v18, s[34:35]
	v_mul_f32_e32 v19, v20, v0
	v_mul_f32_e32 v20, v20, v23
	v_lshl_add_u32 v21, v18, 6, v160
	v_lshlrev_b64 v[21:22], 2, v[21:22]
	v_add_co_u32 v21, s4, s24, v21
	v_add_co_ci_u32_e64 v22, null, s25, v22, s4
	s_and_b32 s4, vcc_lo, s8
	global_store_dwordx2 v[21:22], v[19:20], off
	s_and_saveexec_b32 s8, s4
	s_cbranch_execz .LBB52_247
; %bb.246:
	v_ashrrev_i32_e32 v19, 31, v18
	v_mov_b32_e32 v57, v2
	v_lshlrev_b64 v[18:19], 3, v[18:19]
	v_add_co_u32 v18, vcc_lo, s26, v18
	v_add_co_ci_u32_e64 v19, null, s27, v19, vcc_lo
	global_store_dwordx2 v[18:19], v[57:58], off
.LBB52_247:
	s_or_b32 exec_lo, exec_lo, s8
	buffer_load_dword v0, off, s[0:3], 0 offset:72 ; 4-byte Folded Reload
	s_waitcnt vmcnt(0)
	v_cmp_gt_i32_e32 vcc_lo, s30, v0
	s_and_b32 exec_lo, exec_lo, vcc_lo
	s_cbranch_execz .LBB52_322
; %bb.248:
	v_cndmask_b32_e64 v0, 0, 1, s7
	v_mov_b32_e32 v2, 1.0
	s_andn2_b32 vcc_lo, exec_lo, s7
	s_cbranch_vccnz .LBB52_250
; %bb.249:
	v_div_scale_f32 v2, null, v56, v56, 1.0
	v_rcp_f32_e32 v18, v2
	v_fma_f32 v19, -v2, v18, 1.0
	v_fmac_f32_e32 v18, v19, v18
	v_div_scale_f32 v19, vcc_lo, 1.0, v56, 1.0
	v_mul_f32_e32 v20, v19, v18
	v_fma_f32 v21, -v2, v20, v19
	v_fmac_f32_e32 v20, v21, v18
	v_fma_f32 v2, -v2, v20, v19
	v_div_fmas_f32 v2, v2, v18, v20
	v_div_fixup_f32 v2, v2, v56, 1.0
.LBB52_250:
	buffer_load_dword v18, off, s[0:3], 0 offset:136 ; 4-byte Folded Reload
	v_mov_b32_e32 v20, 0
	v_cvt_f32_f16_e32 v21, v177
	v_cvt_f32_f16_sdwa v22, v177 dst_sel:DWORD dst_unused:UNUSED_PAD src0_sel:WORD_1
	v_mul_f32_e32 v21, v2, v21
	v_mul_f32_e32 v22, v2, v22
	s_waitcnt vmcnt(0)
	v_add_nc_u32_e32 v18, s6, v18
	v_mad_u64_u32 v[18:19], null, v18, s31, s[44:45]
	v_mad_u64_u32 v[18:19], null, s5, v18, s[34:35]
	v_lshl_add_u32 v19, v18, 6, v160
	v_lshlrev_b64 v[19:20], 2, v[19:20]
	v_add_co_u32 v19, vcc_lo, s24, v19
	v_add_co_ci_u32_e64 v20, null, s25, v20, vcc_lo
	global_store_dwordx2 v[19:20], v[21:22], off
	s_and_saveexec_b32 s7, s4
	s_cbranch_execz .LBB52_252
; %bb.251:
	v_ashrrev_i32_e32 v19, 31, v18
	v_mov_b32_e32 v55, v3
	v_lshlrev_b64 v[18:19], 3, v[18:19]
	v_add_co_u32 v18, vcc_lo, s26, v18
	v_add_co_ci_u32_e64 v19, null, s27, v19, vcc_lo
	global_store_dwordx2 v[18:19], v[55:56], off
.LBB52_252:
	s_or_b32 exec_lo, exec_lo, s7
	buffer_load_dword v2, off, s[0:3], 0 offset:132 ; 4-byte Folded Reload
	s_waitcnt vmcnt(0)
	v_cmp_gt_i32_e32 vcc_lo, s30, v2
	s_and_b32 exec_lo, exec_lo, vcc_lo
	s_cbranch_execz .LBB52_322
; %bb.253:
	v_cmp_ne_u32_e32 vcc_lo, 1, v0
	v_mov_b32_e32 v18, 1.0
	s_cbranch_vccnz .LBB52_255
; %bb.254:
	v_div_scale_f32 v2, null, v54, v54, 1.0
	v_rcp_f32_e32 v3, v2
	v_fma_f32 v18, -v2, v3, 1.0
	v_fmac_f32_e32 v3, v18, v3
	v_div_scale_f32 v18, vcc_lo, 1.0, v54, 1.0
	v_mul_f32_e32 v19, v18, v3
	v_fma_f32 v20, -v2, v19, v18
	v_fmac_f32_e32 v19, v20, v3
	v_fma_f32 v2, -v2, v19, v18
	v_div_fmas_f32 v2, v2, v3, v19
	v_div_fixup_f32 v18, v2, v54, 1.0
.LBB52_255:
	buffer_load_dword v2, off, s[0:3], 0 offset:140 ; 4-byte Folded Reload
	v_mov_b32_e32 v20, 0
	v_cvt_f32_f16_sdwa v22, v176 dst_sel:DWORD dst_unused:UNUSED_PAD src0_sel:WORD_1
	v_mul_f32_e32 v22, v18, v22
	s_waitcnt vmcnt(0)
	v_add_nc_u32_e32 v2, s6, v2
	v_mad_u64_u32 v[2:3], null, v2, s31, s[44:45]
	v_mad_u64_u32 v[2:3], null, s5, v2, s[34:35]
	v_cvt_f32_f16_e32 v3, v176
	v_mul_f32_e32 v21, v18, v3
	v_lshl_add_u32 v19, v2, 6, v160
	v_lshlrev_b64 v[19:20], 2, v[19:20]
	v_add_co_u32 v18, vcc_lo, s24, v19
	v_add_co_ci_u32_e64 v19, null, s25, v20, vcc_lo
	global_store_dwordx2 v[18:19], v[21:22], off
	s_and_saveexec_b32 s7, s4
	s_cbranch_execz .LBB52_257
; %bb.256:
	v_ashrrev_i32_e32 v3, 31, v2
	v_mov_b32_e32 v53, v4
	v_lshlrev_b64 v[2:3], 3, v[2:3]
	v_add_co_u32 v2, vcc_lo, s26, v2
	v_add_co_ci_u32_e64 v3, null, s27, v3, vcc_lo
	global_store_dwordx2 v[2:3], v[53:54], off
.LBB52_257:
	s_or_b32 exec_lo, exec_lo, s7
	buffer_load_dword v2, off, s[0:3], 0 offset:144 ; 4-byte Folded Reload
	s_waitcnt vmcnt(0)
	v_cmp_gt_i32_e32 vcc_lo, s30, v2
	s_and_b32 exec_lo, exec_lo, vcc_lo
	s_cbranch_execz .LBB52_322
; %bb.258:
	v_cmp_ne_u32_e32 vcc_lo, 1, v0
	v_mov_b32_e32 v4, 1.0
	s_cbranch_vccnz .LBB52_260
; %bb.259:
	v_div_scale_f32 v2, null, v52, v52, 1.0
	v_rcp_f32_e32 v3, v2
	v_fma_f32 v4, -v2, v3, 1.0
	v_fmac_f32_e32 v3, v4, v3
	v_div_scale_f32 v4, vcc_lo, 1.0, v52, 1.0
	v_mul_f32_e32 v18, v4, v3
	v_fma_f32 v19, -v2, v18, v4
	v_fmac_f32_e32 v18, v19, v3
	v_fma_f32 v2, -v2, v18, v4
	v_div_fmas_f32 v2, v2, v3, v18
	v_div_fixup_f32 v4, v2, v52, 1.0
.LBB52_260:
	buffer_load_dword v2, off, s[0:3], 0 offset:148 ; 4-byte Folded Reload
	v_mov_b32_e32 v19, 0
	v_cvt_f32_f16_sdwa v20, v175 dst_sel:DWORD dst_unused:UNUSED_PAD src0_sel:WORD_1
	s_waitcnt vmcnt(0)
	v_add_nc_u32_e32 v2, s6, v2
	v_mad_u64_u32 v[2:3], null, v2, s31, s[44:45]
	v_mad_u64_u32 v[2:3], null, s5, v2, s[34:35]
	v_cvt_f32_f16_e32 v3, v175
	v_mul_f32_e32 v3, v4, v3
	v_lshl_add_u32 v18, v2, 6, v160
	v_mul_f32_e32 v4, v4, v20
	v_lshlrev_b64 v[18:19], 2, v[18:19]
	v_add_co_u32 v18, vcc_lo, s24, v18
	v_add_co_ci_u32_e64 v19, null, s25, v19, vcc_lo
	global_store_dwordx2 v[18:19], v[3:4], off
	s_and_saveexec_b32 s7, s4
	s_cbranch_execz .LBB52_262
; %bb.261:
	v_ashrrev_i32_e32 v3, 31, v2
	v_mov_b32_e32 v51, v5
	v_lshlrev_b64 v[2:3], 3, v[2:3]
	v_add_co_u32 v2, vcc_lo, s26, v2
	v_add_co_ci_u32_e64 v3, null, s27, v3, vcc_lo
	global_store_dwordx2 v[2:3], v[51:52], off
.LBB52_262:
	s_or_b32 exec_lo, exec_lo, s7
	buffer_load_dword v2, off, s[0:3], 0 offset:152 ; 4-byte Folded Reload
	s_waitcnt vmcnt(0)
	v_cmp_gt_i32_e32 vcc_lo, s30, v2
	s_and_b32 exec_lo, exec_lo, vcc_lo
	s_cbranch_execz .LBB52_322
; %bb.263:
	v_cmp_ne_u32_e32 vcc_lo, 1, v0
	v_mov_b32_e32 v4, 1.0
	s_cbranch_vccnz .LBB52_265
; %bb.264:
	v_div_scale_f32 v2, null, v50, v50, 1.0
	v_rcp_f32_e32 v3, v2
	v_fma_f32 v4, -v2, v3, 1.0
	v_fmac_f32_e32 v3, v4, v3
	v_div_scale_f32 v4, vcc_lo, 1.0, v50, 1.0
	v_mul_f32_e32 v5, v4, v3
	v_fma_f32 v18, -v2, v5, v4
	v_fmac_f32_e32 v5, v18, v3
	v_fma_f32 v2, -v2, v5, v4
	v_div_fmas_f32 v2, v2, v3, v5
	v_div_fixup_f32 v4, v2, v50, 1.0
.LBB52_265:
	buffer_load_dword v2, off, s[0:3], 0 offset:156 ; 4-byte Folded Reload
	v_mov_b32_e32 v19, 0
	v_cvt_f32_f16_sdwa v5, v174 dst_sel:DWORD dst_unused:UNUSED_PAD src0_sel:WORD_1
	s_waitcnt vmcnt(0)
	v_add_nc_u32_e32 v2, s6, v2
	v_mad_u64_u32 v[2:3], null, v2, s31, s[44:45]
	v_mad_u64_u32 v[2:3], null, s5, v2, s[34:35]
	v_cvt_f32_f16_e32 v3, v174
	v_mul_f32_e32 v3, v4, v3
	v_lshl_add_u32 v18, v2, 6, v160
	v_mul_f32_e32 v4, v4, v5
	v_lshlrev_b64 v[18:19], 2, v[18:19]
	v_add_co_u32 v18, vcc_lo, s24, v18
	v_add_co_ci_u32_e64 v19, null, s25, v19, vcc_lo
	global_store_dwordx2 v[18:19], v[3:4], off
	s_and_saveexec_b32 s7, s4
	s_cbranch_execz .LBB52_267
; %bb.266:
	v_ashrrev_i32_e32 v3, 31, v2
	v_mov_b32_e32 v49, v6
	v_lshlrev_b64 v[2:3], 3, v[2:3]
	v_add_co_u32 v2, vcc_lo, s26, v2
	v_add_co_ci_u32_e64 v3, null, s27, v3, vcc_lo
	global_store_dwordx2 v[2:3], v[49:50], off
.LBB52_267:
	s_or_b32 exec_lo, exec_lo, s7
	buffer_load_dword v2, off, s[0:3], 0 offset:160 ; 4-byte Folded Reload
	s_waitcnt vmcnt(0)
	v_cmp_gt_i32_e32 vcc_lo, s30, v2
	s_and_b32 exec_lo, exec_lo, vcc_lo
	s_cbranch_execz .LBB52_322
; %bb.268:
	v_cmp_ne_u32_e32 vcc_lo, 1, v0
	v_mov_b32_e32 v4, 1.0
	s_cbranch_vccnz .LBB52_270
; %bb.269:
	v_div_scale_f32 v2, null, v48, v48, 1.0
	v_rcp_f32_e32 v3, v2
	v_fma_f32 v4, -v2, v3, 1.0
	v_fmac_f32_e32 v3, v4, v3
	v_div_scale_f32 v4, vcc_lo, 1.0, v48, 1.0
	v_mul_f32_e32 v5, v4, v3
	v_fma_f32 v6, -v2, v5, v4
	v_fmac_f32_e32 v5, v6, v3
	v_fma_f32 v2, -v2, v5, v4
	v_div_fmas_f32 v2, v2, v3, v5
	v_div_fixup_f32 v4, v2, v48, 1.0
.LBB52_270:
	buffer_load_dword v2, off, s[0:3], 0 offset:168 ; 4-byte Folded Reload
	v_mov_b32_e32 v6, 0
	v_cvt_f32_f16_sdwa v18, v173 dst_sel:DWORD dst_unused:UNUSED_PAD src0_sel:WORD_1
	s_waitcnt vmcnt(0)
	v_add_nc_u32_e32 v2, s6, v2
	v_mad_u64_u32 v[2:3], null, v2, s31, s[44:45]
	v_mad_u64_u32 v[2:3], null, s5, v2, s[34:35]
	v_cvt_f32_f16_e32 v3, v173
	v_mul_f32_e32 v3, v4, v3
	v_lshl_add_u32 v5, v2, 6, v160
	v_mul_f32_e32 v4, v4, v18
	v_lshlrev_b64 v[5:6], 2, v[5:6]
	v_add_co_u32 v5, vcc_lo, s24, v5
	v_add_co_ci_u32_e64 v6, null, s25, v6, vcc_lo
	global_store_dwordx2 v[5:6], v[3:4], off
	s_and_saveexec_b32 s7, s4
	s_cbranch_execz .LBB52_272
; %bb.271:
	v_ashrrev_i32_e32 v3, 31, v2
	v_mov_b32_e32 v47, v7
	v_lshlrev_b64 v[2:3], 3, v[2:3]
	v_add_co_u32 v2, vcc_lo, s26, v2
	v_add_co_ci_u32_e64 v3, null, s27, v3, vcc_lo
	global_store_dwordx2 v[2:3], v[47:48], off
.LBB52_272:
	s_or_b32 exec_lo, exec_lo, s7
	buffer_load_dword v2, off, s[0:3], 0 offset:164 ; 4-byte Folded Reload
	s_waitcnt vmcnt(0)
	v_cmp_gt_i32_e32 vcc_lo, s30, v2
	s_and_b32 exec_lo, exec_lo, vcc_lo
	s_cbranch_execz .LBB52_322
; %bb.273:
	v_cmp_ne_u32_e32 vcc_lo, 1, v0
	v_mov_b32_e32 v4, 1.0
	s_cbranch_vccnz .LBB52_275
; %bb.274:
	v_div_scale_f32 v2, null, v46, v46, 1.0
	v_rcp_f32_e32 v3, v2
	v_fma_f32 v4, -v2, v3, 1.0
	v_fmac_f32_e32 v3, v4, v3
	v_div_scale_f32 v4, vcc_lo, 1.0, v46, 1.0
	v_mul_f32_e32 v5, v4, v3
	v_fma_f32 v6, -v2, v5, v4
	v_fmac_f32_e32 v5, v6, v3
	v_fma_f32 v2, -v2, v5, v4
	v_div_fmas_f32 v2, v2, v3, v5
	v_div_fixup_f32 v4, v2, v46, 1.0
.LBB52_275:
	buffer_load_dword v2, off, s[0:3], 0 offset:176 ; 4-byte Folded Reload
	v_mov_b32_e32 v6, 0
	v_cvt_f32_f16_sdwa v7, v172 dst_sel:DWORD dst_unused:UNUSED_PAD src0_sel:WORD_1
	s_waitcnt vmcnt(0)
	v_add_nc_u32_e32 v2, s6, v2
	v_mad_u64_u32 v[2:3], null, v2, s31, s[44:45]
	v_mad_u64_u32 v[2:3], null, s5, v2, s[34:35]
	v_cvt_f32_f16_e32 v3, v172
	v_mul_f32_e32 v3, v4, v3
	v_lshl_add_u32 v5, v2, 6, v160
	v_mul_f32_e32 v4, v4, v7
	v_lshlrev_b64 v[5:6], 2, v[5:6]
	v_add_co_u32 v5, vcc_lo, s24, v5
	v_add_co_ci_u32_e64 v6, null, s25, v6, vcc_lo
	global_store_dwordx2 v[5:6], v[3:4], off
	s_and_saveexec_b32 s7, s4
	s_cbranch_execz .LBB52_277
; %bb.276:
	v_ashrrev_i32_e32 v3, 31, v2
	v_mov_b32_e32 v45, v8
	v_lshlrev_b64 v[2:3], 3, v[2:3]
	v_add_co_u32 v2, vcc_lo, s26, v2
	v_add_co_ci_u32_e64 v3, null, s27, v3, vcc_lo
	global_store_dwordx2 v[2:3], v[45:46], off
.LBB52_277:
	s_or_b32 exec_lo, exec_lo, s7
	buffer_load_dword v2, off, s[0:3], 0 offset:172 ; 4-byte Folded Reload
	s_waitcnt vmcnt(0)
	v_cmp_gt_i32_e32 vcc_lo, s30, v2
	s_and_b32 exec_lo, exec_lo, vcc_lo
	s_cbranch_execz .LBB52_322
; %bb.278:
	v_cmp_ne_u32_e32 vcc_lo, 1, v0
	v_mov_b32_e32 v4, 1.0
	s_cbranch_vccnz .LBB52_280
; %bb.279:
	v_div_scale_f32 v2, null, v44, v44, 1.0
	v_rcp_f32_e32 v3, v2
	v_fma_f32 v4, -v2, v3, 1.0
	v_fmac_f32_e32 v3, v4, v3
	v_div_scale_f32 v4, vcc_lo, 1.0, v44, 1.0
	v_mul_f32_e32 v5, v4, v3
	v_fma_f32 v6, -v2, v5, v4
	v_fmac_f32_e32 v5, v6, v3
	v_fma_f32 v2, -v2, v5, v4
	v_div_fmas_f32 v2, v2, v3, v5
	v_div_fixup_f32 v4, v2, v44, 1.0
.LBB52_280:
	buffer_load_dword v2, off, s[0:3], 0 offset:180 ; 4-byte Folded Reload
	v_mov_b32_e32 v6, 0
	v_cvt_f32_f16_sdwa v7, v171 dst_sel:DWORD dst_unused:UNUSED_PAD src0_sel:WORD_1
	s_waitcnt vmcnt(0)
	v_add_nc_u32_e32 v2, s6, v2
	v_mad_u64_u32 v[2:3], null, v2, s31, s[44:45]
	v_mad_u64_u32 v[2:3], null, s5, v2, s[34:35]
	v_cvt_f32_f16_e32 v3, v171
	v_mul_f32_e32 v3, v4, v3
	v_lshl_add_u32 v5, v2, 6, v160
	v_mul_f32_e32 v4, v4, v7
	v_lshlrev_b64 v[5:6], 2, v[5:6]
	v_add_co_u32 v5, vcc_lo, s24, v5
	v_add_co_ci_u32_e64 v6, null, s25, v6, vcc_lo
	global_store_dwordx2 v[5:6], v[3:4], off
	s_and_saveexec_b32 s7, s4
	s_cbranch_execz .LBB52_282
; %bb.281:
	v_ashrrev_i32_e32 v3, 31, v2
	v_mov_b32_e32 v43, v9
	v_lshlrev_b64 v[2:3], 3, v[2:3]
	v_add_co_u32 v2, vcc_lo, s26, v2
	v_add_co_ci_u32_e64 v3, null, s27, v3, vcc_lo
	global_store_dwordx2 v[2:3], v[43:44], off
.LBB52_282:
	s_or_b32 exec_lo, exec_lo, s7
	buffer_load_dword v2, off, s[0:3], 0 offset:184 ; 4-byte Folded Reload
	s_waitcnt vmcnt(0)
	v_cmp_gt_i32_e32 vcc_lo, s30, v2
	s_and_b32 exec_lo, exec_lo, vcc_lo
	s_cbranch_execz .LBB52_322
; %bb.283:
	v_cmp_ne_u32_e32 vcc_lo, 1, v0
	v_mov_b32_e32 v4, 1.0
	s_cbranch_vccnz .LBB52_285
; %bb.284:
	v_div_scale_f32 v2, null, v42, v42, 1.0
	v_rcp_f32_e32 v3, v2
	v_fma_f32 v4, -v2, v3, 1.0
	v_fmac_f32_e32 v3, v4, v3
	v_div_scale_f32 v4, vcc_lo, 1.0, v42, 1.0
	v_mul_f32_e32 v5, v4, v3
	v_fma_f32 v6, -v2, v5, v4
	v_fmac_f32_e32 v5, v6, v3
	v_fma_f32 v2, -v2, v5, v4
	v_div_fmas_f32 v2, v2, v3, v5
	v_div_fixup_f32 v4, v2, v42, 1.0
.LBB52_285:
	buffer_load_dword v2, off, s[0:3], 0 offset:192 ; 4-byte Folded Reload
	v_mov_b32_e32 v6, 0
	v_cvt_f32_f16_sdwa v7, v170 dst_sel:DWORD dst_unused:UNUSED_PAD src0_sel:WORD_1
	s_waitcnt vmcnt(0)
	v_add_nc_u32_e32 v2, s6, v2
	v_mad_u64_u32 v[2:3], null, v2, s31, s[44:45]
	v_mad_u64_u32 v[2:3], null, s5, v2, s[34:35]
	v_cvt_f32_f16_e32 v3, v170
	v_mul_f32_e32 v3, v4, v3
	v_lshl_add_u32 v5, v2, 6, v160
	v_mul_f32_e32 v4, v4, v7
	v_lshlrev_b64 v[5:6], 2, v[5:6]
	v_add_co_u32 v5, vcc_lo, s24, v5
	v_add_co_ci_u32_e64 v6, null, s25, v6, vcc_lo
	global_store_dwordx2 v[5:6], v[3:4], off
	s_and_saveexec_b32 s7, s4
	s_cbranch_execz .LBB52_287
; %bb.286:
	v_ashrrev_i32_e32 v3, 31, v2
	v_mov_b32_e32 v41, v10
	v_lshlrev_b64 v[2:3], 3, v[2:3]
	v_add_co_u32 v2, vcc_lo, s26, v2
	v_add_co_ci_u32_e64 v3, null, s27, v3, vcc_lo
	global_store_dwordx2 v[2:3], v[41:42], off
.LBB52_287:
	s_or_b32 exec_lo, exec_lo, s7
	buffer_load_dword v2, off, s[0:3], 0 offset:188 ; 4-byte Folded Reload
	s_waitcnt vmcnt(0)
	v_cmp_gt_i32_e32 vcc_lo, s30, v2
	s_and_b32 exec_lo, exec_lo, vcc_lo
	s_cbranch_execz .LBB52_322
; %bb.288:
	v_cmp_ne_u32_e32 vcc_lo, 1, v0
	v_mov_b32_e32 v4, 1.0
	s_cbranch_vccnz .LBB52_290
; %bb.289:
	v_div_scale_f32 v2, null, v40, v40, 1.0
	v_rcp_f32_e32 v3, v2
	v_fma_f32 v4, -v2, v3, 1.0
	v_fmac_f32_e32 v3, v4, v3
	v_div_scale_f32 v4, vcc_lo, 1.0, v40, 1.0
	v_mul_f32_e32 v5, v4, v3
	v_fma_f32 v6, -v2, v5, v4
	v_fmac_f32_e32 v5, v6, v3
	v_fma_f32 v2, -v2, v5, v4
	v_div_fmas_f32 v2, v2, v3, v5
	v_div_fixup_f32 v4, v2, v40, 1.0
.LBB52_290:
	buffer_load_dword v2, off, s[0:3], 0 offset:200 ; 4-byte Folded Reload
	v_mov_b32_e32 v6, 0
	v_cvt_f32_f16_sdwa v7, v169 dst_sel:DWORD dst_unused:UNUSED_PAD src0_sel:WORD_1
	s_waitcnt vmcnt(0)
	v_add_nc_u32_e32 v2, s6, v2
	v_mad_u64_u32 v[2:3], null, v2, s31, s[44:45]
	v_mad_u64_u32 v[2:3], null, s5, v2, s[34:35]
	v_cvt_f32_f16_e32 v3, v169
	v_mul_f32_e32 v3, v4, v3
	v_lshl_add_u32 v5, v2, 6, v160
	v_mul_f32_e32 v4, v4, v7
	v_lshlrev_b64 v[5:6], 2, v[5:6]
	v_add_co_u32 v5, vcc_lo, s24, v5
	v_add_co_ci_u32_e64 v6, null, s25, v6, vcc_lo
	global_store_dwordx2 v[5:6], v[3:4], off
	s_and_saveexec_b32 s7, s4
	s_cbranch_execz .LBB52_292
; %bb.291:
	v_ashrrev_i32_e32 v3, 31, v2
	v_mov_b32_e32 v39, v11
	v_lshlrev_b64 v[2:3], 3, v[2:3]
	v_add_co_u32 v2, vcc_lo, s26, v2
	v_add_co_ci_u32_e64 v3, null, s27, v3, vcc_lo
	global_store_dwordx2 v[2:3], v[39:40], off
.LBB52_292:
	s_or_b32 exec_lo, exec_lo, s7
	buffer_load_dword v2, off, s[0:3], 0 offset:196 ; 4-byte Folded Reload
	s_waitcnt vmcnt(0)
	v_cmp_gt_i32_e32 vcc_lo, s30, v2
	s_and_b32 exec_lo, exec_lo, vcc_lo
	s_cbranch_execz .LBB52_322
; %bb.293:
	v_cmp_ne_u32_e32 vcc_lo, 1, v0
	v_mov_b32_e32 v4, 1.0
	s_cbranch_vccnz .LBB52_295
; %bb.294:
	v_div_scale_f32 v2, null, v33, v33, 1.0
	v_rcp_f32_e32 v3, v2
	v_fma_f32 v4, -v2, v3, 1.0
	v_fmac_f32_e32 v3, v4, v3
	v_div_scale_f32 v4, vcc_lo, 1.0, v33, 1.0
	v_mul_f32_e32 v5, v4, v3
	v_fma_f32 v6, -v2, v5, v4
	v_fmac_f32_e32 v5, v6, v3
	v_fma_f32 v2, -v2, v5, v4
	v_div_fmas_f32 v2, v2, v3, v5
	v_div_fixup_f32 v4, v2, v33, 1.0
.LBB52_295:
	v_add_nc_u32_e32 v2, s6, v191
	v_mov_b32_e32 v6, 0
	v_cvt_f32_f16_sdwa v7, v168 dst_sel:DWORD dst_unused:UNUSED_PAD src0_sel:WORD_1
	v_mad_u64_u32 v[2:3], null, v2, s31, s[44:45]
	v_mad_u64_u32 v[2:3], null, s5, v2, s[34:35]
	v_cvt_f32_f16_e32 v3, v168
	v_mul_f32_e32 v3, v4, v3
	v_lshl_add_u32 v5, v2, 6, v160
	v_mul_f32_e32 v4, v4, v7
	v_lshlrev_b64 v[5:6], 2, v[5:6]
	v_add_co_u32 v5, vcc_lo, s24, v5
	v_add_co_ci_u32_e64 v6, null, s25, v6, vcc_lo
	global_store_dwordx2 v[5:6], v[3:4], off
	s_and_saveexec_b32 s7, s4
	s_cbranch_execz .LBB52_297
; %bb.296:
	v_ashrrev_i32_e32 v3, 31, v2
	v_mov_b32_e32 v32, v12
	v_lshlrev_b64 v[2:3], 3, v[2:3]
	v_add_co_u32 v2, vcc_lo, s26, v2
	v_add_co_ci_u32_e64 v3, null, s27, v3, vcc_lo
	global_store_dwordx2 v[2:3], v[32:33], off
.LBB52_297:
	s_or_b32 exec_lo, exec_lo, s7
	v_cmp_gt_i32_e32 vcc_lo, s30, v189
	s_and_b32 exec_lo, exec_lo, vcc_lo
	s_cbranch_execz .LBB52_322
; %bb.298:
	v_cmp_ne_u32_e32 vcc_lo, 1, v0
	v_mov_b32_e32 v4, 1.0
	s_cbranch_vccnz .LBB52_300
; %bb.299:
	v_div_scale_f32 v2, null, v31, v31, 1.0
	v_rcp_f32_e32 v3, v2
	v_fma_f32 v4, -v2, v3, 1.0
	v_fmac_f32_e32 v3, v4, v3
	v_div_scale_f32 v4, vcc_lo, 1.0, v31, 1.0
	v_mul_f32_e32 v5, v4, v3
	v_fma_f32 v6, -v2, v5, v4
	v_fmac_f32_e32 v5, v6, v3
	v_fma_f32 v2, -v2, v5, v4
	v_div_fmas_f32 v2, v2, v3, v5
	v_div_fixup_f32 v4, v2, v31, 1.0
.LBB52_300:
	v_add_nc_u32_e32 v2, s6, v158
	v_mov_b32_e32 v6, 0
	v_cvt_f32_f16_sdwa v7, v167 dst_sel:DWORD dst_unused:UNUSED_PAD src0_sel:WORD_1
	v_mad_u64_u32 v[2:3], null, v2, s31, s[44:45]
	v_mad_u64_u32 v[2:3], null, s5, v2, s[34:35]
	v_cvt_f32_f16_e32 v3, v167
	v_mul_f32_e32 v3, v4, v3
	v_lshl_add_u32 v5, v2, 6, v160
	v_mul_f32_e32 v4, v4, v7
	v_lshlrev_b64 v[5:6], 2, v[5:6]
	v_add_co_u32 v5, vcc_lo, s24, v5
	v_add_co_ci_u32_e64 v6, null, s25, v6, vcc_lo
	global_store_dwordx2 v[5:6], v[3:4], off
	s_and_saveexec_b32 s7, s4
	s_cbranch_execz .LBB52_302
; %bb.301:
	v_ashrrev_i32_e32 v3, 31, v2
	v_mov_b32_e32 v30, v13
	v_lshlrev_b64 v[2:3], 3, v[2:3]
	v_add_co_u32 v2, vcc_lo, s26, v2
	v_add_co_ci_u32_e64 v3, null, s27, v3, vcc_lo
	global_store_dwordx2 v[2:3], v[30:31], off
.LBB52_302:
	s_or_b32 exec_lo, exec_lo, s7
	;; [unrolled: 44-line block ×4, first 2 shown]
	buffer_load_dword v2, off, s[0:3], 0 offset:204 ; 4-byte Folded Reload
	s_waitcnt vmcnt(0)
	v_cmp_gt_i32_e32 vcc_lo, s30, v2
	s_and_b32 exec_lo, exec_lo, vcc_lo
	s_cbranch_execz .LBB52_322
; %bb.313:
	v_cmp_ne_u32_e32 vcc_lo, 1, v0
	v_mov_b32_e32 v4, 1.0
	s_cbranch_vccnz .LBB52_315
; %bb.314:
	v_div_scale_f32 v2, null, v34, v34, 1.0
	v_rcp_f32_e32 v3, v2
	v_fma_f32 v4, -v2, v3, 1.0
	v_fmac_f32_e32 v3, v4, v3
	v_div_scale_f32 v4, vcc_lo, 1.0, v34, 1.0
	v_mul_f32_e32 v5, v4, v3
	v_fma_f32 v6, -v2, v5, v4
	v_fmac_f32_e32 v5, v6, v3
	v_fma_f32 v2, -v2, v5, v4
	v_div_fmas_f32 v2, v2, v3, v5
	v_div_fixup_f32 v4, v2, v34, 1.0
.LBB52_315:
	buffer_load_dword v2, off, s[0:3], 0 offset:212 ; 4-byte Folded Reload
	v_mov_b32_e32 v6, 0
	v_cvt_f32_f16_sdwa v7, v164 dst_sel:DWORD dst_unused:UNUSED_PAD src0_sel:WORD_1
	s_waitcnt vmcnt(0)
	v_add_nc_u32_e32 v2, s6, v2
	v_mad_u64_u32 v[2:3], null, v2, s31, s[44:45]
	v_mad_u64_u32 v[2:3], null, s5, v2, s[34:35]
	v_cvt_f32_f16_e32 v3, v164
	v_mul_f32_e32 v3, v4, v3
	v_lshl_add_u32 v5, v2, 6, v160
	v_mul_f32_e32 v4, v4, v7
	v_lshlrev_b64 v[5:6], 2, v[5:6]
	v_add_co_u32 v5, vcc_lo, s24, v5
	v_add_co_ci_u32_e64 v6, null, s25, v6, vcc_lo
	global_store_dwordx2 v[5:6], v[3:4], off
	s_and_saveexec_b32 s7, s4
	s_cbranch_execz .LBB52_317
; %bb.316:
	v_ashrrev_i32_e32 v3, 31, v2
	v_mov_b32_e32 v33, v16
	v_lshlrev_b64 v[2:3], 3, v[2:3]
	v_add_co_u32 v2, vcc_lo, s26, v2
	v_add_co_ci_u32_e64 v3, null, s27, v3, vcc_lo
	global_store_dwordx2 v[2:3], v[33:34], off
.LBB52_317:
	s_or_b32 exec_lo, exec_lo, s7
	buffer_load_dword v2, off, s[0:3], 0 offset:208 ; 4-byte Folded Reload
	s_waitcnt vmcnt(0)
	v_cmp_gt_i32_e32 vcc_lo, s30, v2
	s_and_b32 exec_lo, exec_lo, vcc_lo
	s_cbranch_execz .LBB52_322
; %bb.318:
	v_cmp_ne_u32_e32 vcc_lo, 1, v0
	v_mov_b32_e32 v0, 1.0
	s_cbranch_vccnz .LBB52_320
; %bb.319:
	v_div_scale_f32 v0, null, v1, v1, 1.0
	v_rcp_f32_e32 v2, v0
	v_fma_f32 v3, -v0, v2, 1.0
	v_fmac_f32_e32 v2, v3, v2
	v_div_scale_f32 v3, vcc_lo, 1.0, v1, 1.0
	v_mul_f32_e32 v4, v3, v2
	v_fma_f32 v5, -v0, v4, v3
	v_fmac_f32_e32 v4, v5, v2
	v_fma_f32 v0, -v0, v4, v3
	v_div_fmas_f32 v0, v0, v2, v4
	v_div_fixup_f32 v0, v0, v1, 1.0
.LBB52_320:
	buffer_load_dword v2, off, s[0:3], 0 offset:216 ; 4-byte Folded Reload
	v_mov_b32_e32 v4, 0
	v_cvt_f32_f16_e32 v5, v163
	v_cvt_f32_f16_sdwa v6, v163 dst_sel:DWORD dst_unused:UNUSED_PAD src0_sel:WORD_1
	v_mul_f32_e32 v5, v0, v5
	v_mul_f32_e32 v6, v0, v6
	s_waitcnt vmcnt(0)
	v_add_nc_u32_e32 v2, s6, v2
	v_mad_u64_u32 v[2:3], null, v2, s31, s[44:45]
	v_mad_u64_u32 v[2:3], null, s5, v2, s[34:35]
	v_lshl_add_u32 v3, v2, 6, v160
	v_lshlrev_b64 v[3:4], 2, v[3:4]
	v_add_co_u32 v3, vcc_lo, s24, v3
	v_add_co_ci_u32_e64 v4, null, s25, v4, vcc_lo
	global_store_dwordx2 v[3:4], v[5:6], off
	s_and_b32 exec_lo, exec_lo, s4
	s_cbranch_execz .LBB52_322
; %bb.321:
	v_ashrrev_i32_e32 v3, 31, v2
	v_mov_b32_e32 v0, v17
	v_lshlrev_b64 v[2:3], 3, v[2:3]
	v_add_co_u32 v2, vcc_lo, s26, v2
	v_add_co_ci_u32_e64 v3, null, s27, v3, vcc_lo
	global_store_dwordx2 v[2:3], v[0:1], off
.LBB52_322:
	s_endpgm
	.section	.rodata,"a",@progbits
	.p2align	6, 0x0
	.amdhsa_kernel _ZL15flash_attn_tileILi64ELi64ELi64ELi1ELb0EEvPKcS1_S1_S1_S1_PKiPfP15HIP_vector_typeIfLj2EEffffjfiS5_IjLj3EEiiiiiiiiiiiliiliiiiil
		.amdhsa_group_segment_fixed_size 25600
		.amdhsa_private_segment_fixed_size 256
		.amdhsa_kernarg_size 464
		.amdhsa_user_sgpr_count 8
		.amdhsa_user_sgpr_private_segment_buffer 1
		.amdhsa_user_sgpr_dispatch_ptr 0
		.amdhsa_user_sgpr_queue_ptr 0
		.amdhsa_user_sgpr_kernarg_segment_ptr 1
		.amdhsa_user_sgpr_dispatch_id 0
		.amdhsa_user_sgpr_flat_scratch_init 1
		.amdhsa_user_sgpr_private_segment_size 0
		.amdhsa_wavefront_size32 1
		.amdhsa_uses_dynamic_stack 0
		.amdhsa_system_sgpr_private_segment_wavefront_offset 1
		.amdhsa_system_sgpr_workgroup_id_x 1
		.amdhsa_system_sgpr_workgroup_id_y 1
		.amdhsa_system_sgpr_workgroup_id_z 1
		.amdhsa_system_sgpr_workgroup_info 0
		.amdhsa_system_vgpr_workitem_id 1
		.amdhsa_next_free_vgpr 192
		.amdhsa_next_free_sgpr 52
		.amdhsa_reserve_vcc 1
		.amdhsa_reserve_flat_scratch 1
		.amdhsa_float_round_mode_32 0
		.amdhsa_float_round_mode_16_64 0
		.amdhsa_float_denorm_mode_32 3
		.amdhsa_float_denorm_mode_16_64 3
		.amdhsa_dx10_clamp 1
		.amdhsa_ieee_mode 1
		.amdhsa_fp16_overflow 0
		.amdhsa_workgroup_processor_mode 1
		.amdhsa_memory_ordered 1
		.amdhsa_forward_progress 1
		.amdhsa_shared_vgpr_count 0
		.amdhsa_exception_fp_ieee_invalid_op 0
		.amdhsa_exception_fp_denorm_src 0
		.amdhsa_exception_fp_ieee_div_zero 0
		.amdhsa_exception_fp_ieee_overflow 0
		.amdhsa_exception_fp_ieee_underflow 0
		.amdhsa_exception_fp_ieee_inexact 0
		.amdhsa_exception_int_div_zero 0
	.end_amdhsa_kernel
	.section	.text._ZL15flash_attn_tileILi64ELi64ELi64ELi1ELb0EEvPKcS1_S1_S1_S1_PKiPfP15HIP_vector_typeIfLj2EEffffjfiS5_IjLj3EEiiiiiiiiiiiliiliiiiil,"axG",@progbits,_ZL15flash_attn_tileILi64ELi64ELi64ELi1ELb0EEvPKcS1_S1_S1_S1_PKiPfP15HIP_vector_typeIfLj2EEffffjfiS5_IjLj3EEiiiiiiiiiiiliiliiiiil,comdat
.Lfunc_end52:
	.size	_ZL15flash_attn_tileILi64ELi64ELi64ELi1ELb0EEvPKcS1_S1_S1_S1_PKiPfP15HIP_vector_typeIfLj2EEffffjfiS5_IjLj3EEiiiiiiiiiiiliiliiiiil, .Lfunc_end52-_ZL15flash_attn_tileILi64ELi64ELi64ELi1ELb0EEvPKcS1_S1_S1_S1_PKiPfP15HIP_vector_typeIfLj2EEffffjfiS5_IjLj3EEiiiiiiiiiiiliiliiiiil
                                        ; -- End function
	.set _ZL15flash_attn_tileILi64ELi64ELi64ELi1ELb0EEvPKcS1_S1_S1_S1_PKiPfP15HIP_vector_typeIfLj2EEffffjfiS5_IjLj3EEiiiiiiiiiiiliiliiiiil.num_vgpr, 192
	.set _ZL15flash_attn_tileILi64ELi64ELi64ELi1ELb0EEvPKcS1_S1_S1_S1_PKiPfP15HIP_vector_typeIfLj2EEffffjfiS5_IjLj3EEiiiiiiiiiiiliiliiiiil.num_agpr, 0
	.set _ZL15flash_attn_tileILi64ELi64ELi64ELi1ELb0EEvPKcS1_S1_S1_S1_PKiPfP15HIP_vector_typeIfLj2EEffffjfiS5_IjLj3EEiiiiiiiiiiiliiliiiiil.numbered_sgpr, 52
	.set _ZL15flash_attn_tileILi64ELi64ELi64ELi1ELb0EEvPKcS1_S1_S1_S1_PKiPfP15HIP_vector_typeIfLj2EEffffjfiS5_IjLj3EEiiiiiiiiiiiliiliiiiil.num_named_barrier, 0
	.set _ZL15flash_attn_tileILi64ELi64ELi64ELi1ELb0EEvPKcS1_S1_S1_S1_PKiPfP15HIP_vector_typeIfLj2EEffffjfiS5_IjLj3EEiiiiiiiiiiiliiliiiiil.private_seg_size, 256
	.set _ZL15flash_attn_tileILi64ELi64ELi64ELi1ELb0EEvPKcS1_S1_S1_S1_PKiPfP15HIP_vector_typeIfLj2EEffffjfiS5_IjLj3EEiiiiiiiiiiiliiliiiiil.uses_vcc, 1
	.set _ZL15flash_attn_tileILi64ELi64ELi64ELi1ELb0EEvPKcS1_S1_S1_S1_PKiPfP15HIP_vector_typeIfLj2EEffffjfiS5_IjLj3EEiiiiiiiiiiiliiliiiiil.uses_flat_scratch, 1
	.set _ZL15flash_attn_tileILi64ELi64ELi64ELi1ELb0EEvPKcS1_S1_S1_S1_PKiPfP15HIP_vector_typeIfLj2EEffffjfiS5_IjLj3EEiiiiiiiiiiiliiliiiiil.has_dyn_sized_stack, 0
	.set _ZL15flash_attn_tileILi64ELi64ELi64ELi1ELb0EEvPKcS1_S1_S1_S1_PKiPfP15HIP_vector_typeIfLj2EEffffjfiS5_IjLj3EEiiiiiiiiiiiliiliiiiil.has_recursion, 0
	.set _ZL15flash_attn_tileILi64ELi64ELi64ELi1ELb0EEvPKcS1_S1_S1_S1_PKiPfP15HIP_vector_typeIfLj2EEffffjfiS5_IjLj3EEiiiiiiiiiiiliiliiiiil.has_indirect_call, 0
	.section	.AMDGPU.csdata,"",@progbits
; Kernel info:
; codeLenInByte = 119008
; TotalNumSgprs: 54
; NumVgprs: 192
; ScratchSize: 256
; MemoryBound: 0
; FloatMode: 240
; IeeeMode: 1
; LDSByteSize: 25600 bytes/workgroup (compile time only)
; SGPRBlocks: 0
; VGPRBlocks: 23
; NumSGPRsForWavesPerEU: 54
; NumVGPRsForWavesPerEU: 192
; Occupancy: 5
; WaveLimiterHint : 0
; COMPUTE_PGM_RSRC2:SCRATCH_EN: 1
; COMPUTE_PGM_RSRC2:USER_SGPR: 8
; COMPUTE_PGM_RSRC2:TRAP_HANDLER: 0
; COMPUTE_PGM_RSRC2:TGID_X_EN: 1
; COMPUTE_PGM_RSRC2:TGID_Y_EN: 1
; COMPUTE_PGM_RSRC2:TGID_Z_EN: 1
; COMPUTE_PGM_RSRC2:TIDIG_COMP_CNT: 1
	.section	.text._ZL25flash_attn_mask_to_KV_maxILi64EEvPK7__half2Piiii,"axG",@progbits,_ZL25flash_attn_mask_to_KV_maxILi64EEvPK7__half2Piiii,comdat
	.globl	_ZL25flash_attn_mask_to_KV_maxILi64EEvPK7__half2Piiii ; -- Begin function _ZL25flash_attn_mask_to_KV_maxILi64EEvPK7__half2Piiii
	.p2align	8
	.type	_ZL25flash_attn_mask_to_KV_maxILi64EEvPK7__half2Piiii,@function
_ZL25flash_attn_mask_to_KV_maxILi64EEvPK7__half2Piiii: ; @_ZL25flash_attn_mask_to_KV_maxILi64EEvPK7__half2Piiii
; %bb.0:
	s_load_dwordx4 s[8:11], s[4:5], 0x0
	s_mov_b32 s0, exec_lo
	v_cmpx_gt_u32_e32 32, v0
; %bb.1:
	v_lshlrev_b32_e32 v1, 2, v0
	v_mov_b32_e32 v2, 1
	ds_write_b32 v1, v2
; %bb.2:
	s_or_b32 exec_lo, exec_lo, s0
	s_clause 0x1
	s_load_dwordx4 s[12:15], s[4:5], 0x10
	s_load_dword s1, s[4:5], 0x20
	v_and_b32_e32 v1, 31, v0
	v_lshrrev_b32_e32 v5, 3, v0
	v_mov_b32_e32 v2, 0
	v_mov_b32_e32 v6, 0x204
	s_waitcnt lgkmcnt(0)
	v_lshlrev_b32_e32 v7, 2, v1
	s_barrier
	buffer_gl0_inv
	s_mul_i32 s0, s6, s13
	s_mul_i32 s2, s14, s7
	s_lshl_b32 s0, s0, 6
	s_add_i32 s2, s2, s0
	v_cmp_eq_u32_e64 s0, 0, v1
	s_ashr_i32 s3, s2, 31
	s_lshl_b64 s[4:5], s[2:3], 2
	s_add_u32 s3, s8, s4
	s_addc_u32 s4, s9, s5
	s_lshl_b32 s5, s12, 8
	s_branch .LBB53_4
.LBB53_3:                               ;   in Loop: Header=BB53_4 Depth=1
	s_or_b32 exec_lo, exec_lo, s8
	s_waitcnt lgkmcnt(0)
	s_barrier
	buffer_gl0_inv
	ds_read_b32 v1, v7
	s_waitcnt lgkmcnt(0)
	s_barrier
	buffer_gl0_inv
	v_cmp_ne_u32_e32 vcc_lo, 0, v1
	s_cmp_lg_u32 vcc_lo, exec_lo
	s_cselect_b32 s8, -1, 0
	s_and_b32 vcc_lo, exec_lo, s8
	s_cbranch_vccnz .LBB53_260
.LBB53_4:                               ; =>This Inner Loop Header: Depth=1
	s_mov_b32 s2, s5
	s_addk_i32 s5, 0xff00
	s_cmp_lt_i32 s5, 0
	s_cbranch_scc1 .LBB53_259
; %bb.5:                                ;   in Loop: Header=BB53_4 Depth=1
	s_lshr_b32 s8, s5, 1
	v_add_nc_u32_e32 v1, s8, v0
	v_lshlrev_b64 v[3:4], 2, v[1:2]
	v_add_co_u32 v3, vcc_lo, s3, v3
	v_add_co_ci_u32_e64 v4, null, s4, v4, vcc_lo
	global_load_dword v3, v[3:4], off
	s_waitcnt vmcnt(0)
	v_cmp_class_f16_e64 s8, v3, 0x204
	v_cmp_class_f16_sdwa s9, v3, v6 src0_sel:WORD_1 src1_sel:DWORD
	s_and_b32 s12, s8, s9
	s_mov_b32 s9, 0
	s_and_saveexec_b32 s8, s12
	s_cbranch_execz .LBB53_257
; %bb.6:                                ;   in Loop: Header=BB53_4 Depth=1
	v_add_nc_u32_e32 v3, s13, v1
	s_mov_b32 s12, 0
	v_ashrrev_i32_e32 v4, 31, v3
	v_lshlrev_b64 v[8:9], 2, v[3:4]
	v_add_co_u32 v8, vcc_lo, s3, v8
	v_add_co_ci_u32_e64 v9, null, s4, v9, vcc_lo
	global_load_dword v1, v[8:9], off
	s_waitcnt vmcnt(0)
	v_cmp_class_f16_e64 s14, v1, 0x204
	s_and_saveexec_b32 s9, s14
	s_cbranch_execz .LBB53_256
; %bb.7:                                ;   in Loop: Header=BB53_4 Depth=1
	v_cmp_class_f16_sdwa s15, v1, v6 src0_sel:WORD_1 src1_sel:DWORD
	s_mov_b32 s14, 0
	s_and_saveexec_b32 s12, s15
	s_cbranch_execz .LBB53_255
; %bb.8:                                ;   in Loop: Header=BB53_4 Depth=1
	v_add_nc_u32_e32 v3, s13, v3
	s_mov_b32 s15, 0
	v_ashrrev_i32_e32 v4, 31, v3
	v_lshlrev_b64 v[8:9], 2, v[3:4]
	v_add_co_u32 v8, vcc_lo, s3, v8
	v_add_co_ci_u32_e64 v9, null, s4, v9, vcc_lo
	global_load_dword v1, v[8:9], off
	s_waitcnt vmcnt(0)
	v_cmp_class_f16_e64 s16, v1, 0x204
	s_and_saveexec_b32 s14, s16
	s_cbranch_execz .LBB53_254
; %bb.9:                                ;   in Loop: Header=BB53_4 Depth=1
	v_cmp_class_f16_sdwa s17, v1, v6 src0_sel:WORD_1 src1_sel:DWORD
	s_mov_b32 s16, 0
	s_and_saveexec_b32 s15, s17
	s_cbranch_execz .LBB53_253
; %bb.10:                               ;   in Loop: Header=BB53_4 Depth=1
	v_add_nc_u32_e32 v3, s13, v3
	s_mov_b32 s17, 0
	v_ashrrev_i32_e32 v4, 31, v3
	v_lshlrev_b64 v[8:9], 2, v[3:4]
	v_add_co_u32 v8, vcc_lo, s3, v8
	v_add_co_ci_u32_e64 v9, null, s4, v9, vcc_lo
	global_load_dword v1, v[8:9], off
	s_waitcnt vmcnt(0)
	v_cmp_class_f16_e64 s18, v1, 0x204
	s_and_saveexec_b32 s16, s18
	s_cbranch_execz .LBB53_252
; %bb.11:                               ;   in Loop: Header=BB53_4 Depth=1
	v_cmp_class_f16_sdwa s19, v1, v6 src0_sel:WORD_1 src1_sel:DWORD
	s_mov_b32 s18, 0
	s_and_saveexec_b32 s17, s19
	s_cbranch_execz .LBB53_251
; %bb.12:                               ;   in Loop: Header=BB53_4 Depth=1
	v_add_nc_u32_e32 v3, s13, v3
	s_mov_b32 s19, 0
	v_ashrrev_i32_e32 v4, 31, v3
	v_lshlrev_b64 v[8:9], 2, v[3:4]
	v_add_co_u32 v8, vcc_lo, s3, v8
	v_add_co_ci_u32_e64 v9, null, s4, v9, vcc_lo
	global_load_dword v1, v[8:9], off
	s_waitcnt vmcnt(0)
	v_cmp_class_f16_e64 s20, v1, 0x204
	s_and_saveexec_b32 s18, s20
	s_cbranch_execz .LBB53_250
; %bb.13:                               ;   in Loop: Header=BB53_4 Depth=1
	;; [unrolled: 17-line block ×24, first 2 shown]
	v_cmp_class_f16_sdwa s66, v1, v6 src0_sel:WORD_1 src1_sel:DWORD
	s_mov_b32 s65, 0
	s_and_saveexec_b32 s64, s66
	s_cbranch_execz .LBB53_205
; %bb.58:                               ;   in Loop: Header=BB53_4 Depth=1
	v_add_nc_u32_e32 v3, s13, v3
	v_ashrrev_i32_e32 v4, 31, v3
	v_lshlrev_b64 v[8:9], 2, v[3:4]
	v_add_co_u32 v8, vcc_lo, s3, v8
	v_add_co_ci_u32_e64 v9, null, s4, v9, vcc_lo
	global_load_dword v1, v[8:9], off
	s_waitcnt vmcnt(0)
	v_cmp_class_f16_e64 s66, v1, 0x204
	s_mov_b32 s67, exec_lo
	s_and_b32 s66, s67, s66
                                        ; implicit-def: $vgpr11 : SGPR spill to VGPR lane
	v_writelane_b32 v11, s67, 0
	s_mov_b32 exec_lo, s66
	s_cbranch_execz .LBB53_204
; %bb.59:                               ;   in Loop: Header=BB53_4 Depth=1
	v_cmp_class_f16_sdwa s66, v1, v6 src0_sel:WORD_1 src1_sel:DWORD
	s_mov_b32 s67, exec_lo
	s_and_b32 s66, s67, s66
	v_writelane_b32 v11, s67, 1
	s_mov_b32 exec_lo, s66
	s_cbranch_execz .LBB53_203
; %bb.60:                               ;   in Loop: Header=BB53_4 Depth=1
	v_add_nc_u32_e32 v3, s13, v3
	v_ashrrev_i32_e32 v4, 31, v3
	v_lshlrev_b64 v[8:9], 2, v[3:4]
	v_add_co_u32 v8, vcc_lo, s3, v8
	v_add_co_ci_u32_e64 v9, null, s4, v9, vcc_lo
	global_load_dword v1, v[8:9], off
	s_waitcnt vmcnt(0)
	v_cmp_class_f16_e64 s66, v1, 0x204
	s_mov_b32 s67, exec_lo
	s_and_b32 s66, s67, s66
	v_writelane_b32 v11, s67, 2
	s_mov_b32 exec_lo, s66
	s_cbranch_execz .LBB53_202
; %bb.61:                               ;   in Loop: Header=BB53_4 Depth=1
	v_cmp_class_f16_sdwa s66, v1, v6 src0_sel:WORD_1 src1_sel:DWORD
	s_mov_b32 s67, exec_lo
	s_and_b32 s66, s67, s66
	v_writelane_b32 v11, s67, 3
	s_mov_b32 exec_lo, s66
	s_cbranch_execz .LBB53_201
; %bb.62:                               ;   in Loop: Header=BB53_4 Depth=1
	v_add_nc_u32_e32 v3, s13, v3
	v_ashrrev_i32_e32 v4, 31, v3
	v_lshlrev_b64 v[8:9], 2, v[3:4]
	v_add_co_u32 v8, vcc_lo, s3, v8
	v_add_co_ci_u32_e64 v9, null, s4, v9, vcc_lo
	global_load_dword v1, v[8:9], off
	s_waitcnt vmcnt(0)
	v_cmp_class_f16_e64 s66, v1, 0x204
	s_mov_b32 s67, exec_lo
	s_and_b32 s66, s67, s66
	;; [unrolled: 21-line block ×16, first 2 shown]
                                        ; implicit-def: $vgpr10 : SGPR spill to VGPR lane
	v_writelane_b32 v10, s67, 0
	s_mov_b32 exec_lo, s66
	s_cbranch_execz .LBB53_172
; %bb.91:                               ;   in Loop: Header=BB53_4 Depth=1
	v_cmp_class_f16_sdwa s66, v1, v6 src0_sel:WORD_1 src1_sel:DWORD
	s_mov_b32 s67, exec_lo
	s_and_b32 s66, s67, s66
	v_writelane_b32 v10, s67, 1
	s_mov_b32 exec_lo, s66
	s_cbranch_execz .LBB53_171
; %bb.92:                               ;   in Loop: Header=BB53_4 Depth=1
	v_add_nc_u32_e32 v3, s13, v3
	v_ashrrev_i32_e32 v4, 31, v3
	v_lshlrev_b64 v[8:9], 2, v[3:4]
	v_add_co_u32 v8, vcc_lo, s3, v8
	v_add_co_ci_u32_e64 v9, null, s4, v9, vcc_lo
	global_load_dword v1, v[8:9], off
	s_waitcnt vmcnt(0)
	v_cmp_class_f16_e64 s66, v1, 0x204
	s_mov_b32 s67, exec_lo
	s_and_b32 s66, s67, s66
	v_writelane_b32 v10, s67, 2
	s_mov_b32 exec_lo, s66
	s_cbranch_execz .LBB53_170
; %bb.93:                               ;   in Loop: Header=BB53_4 Depth=1
	v_cmp_class_f16_sdwa s66, v1, v6 src0_sel:WORD_1 src1_sel:DWORD
	s_mov_b32 s67, exec_lo
	s_and_b32 s66, s67, s66
	v_writelane_b32 v10, s67, 3
	s_mov_b32 exec_lo, s66
	s_cbranch_execz .LBB53_169
; %bb.94:                               ;   in Loop: Header=BB53_4 Depth=1
	v_add_nc_u32_e32 v3, s13, v3
	v_ashrrev_i32_e32 v4, 31, v3
	v_lshlrev_b64 v[8:9], 2, v[3:4]
	v_add_co_u32 v8, vcc_lo, s3, v8
	v_add_co_ci_u32_e64 v9, null, s4, v9, vcc_lo
	global_load_dword v1, v[8:9], off
	s_waitcnt vmcnt(0)
	v_cmp_class_f16_e64 s66, v1, 0x204
	s_mov_b32 s67, exec_lo
	s_and_b32 s66, s67, s66
	v_writelane_b32 v10, s67, 4
	s_mov_b32 exec_lo, s66
	s_cbranch_execz .LBB53_168
; %bb.95:                               ;   in Loop: Header=BB53_4 Depth=1
	v_cmp_class_f16_sdwa s67, v1, v6 src0_sel:WORD_1 src1_sel:DWORD
	s_mov_b32 s66, 0
	s_and_saveexec_b32 s65, s67
	s_cbranch_execz .LBB53_167
; %bb.96:                               ;   in Loop: Header=BB53_4 Depth=1
	v_add_nc_u32_e32 v3, s13, v3
	s_mov_b32 s67, 0
	v_ashrrev_i32_e32 v4, 31, v3
	v_lshlrev_b64 v[8:9], 2, v[3:4]
	v_add_co_u32 v8, vcc_lo, s3, v8
	v_add_co_ci_u32_e64 v9, null, s4, v9, vcc_lo
	global_load_dword v1, v[8:9], off
	s_waitcnt vmcnt(0)
	v_cmp_class_f16_e64 s68, v1, 0x204
	s_and_saveexec_b32 s66, s68
	s_cbranch_execz .LBB53_166
; %bb.97:                               ;   in Loop: Header=BB53_4 Depth=1
	v_cmp_class_f16_sdwa s69, v1, v6 src0_sel:WORD_1 src1_sel:DWORD
	s_mov_b32 s68, 0
	s_and_saveexec_b32 s67, s69
	s_cbranch_execz .LBB53_165
; %bb.98:                               ;   in Loop: Header=BB53_4 Depth=1
	v_add_nc_u32_e32 v3, s13, v3
	s_mov_b32 s69, 0
	v_ashrrev_i32_e32 v4, 31, v3
	v_lshlrev_b64 v[8:9], 2, v[3:4]
	v_add_co_u32 v8, vcc_lo, s3, v8
	v_add_co_ci_u32_e64 v9, null, s4, v9, vcc_lo
	global_load_dword v1, v[8:9], off
	s_waitcnt vmcnt(0)
	v_cmp_class_f16_e64 s70, v1, 0x204
	s_and_saveexec_b32 s68, s70
	s_cbranch_execz .LBB53_164
; %bb.99:                               ;   in Loop: Header=BB53_4 Depth=1
	v_cmp_class_f16_sdwa s71, v1, v6 src0_sel:WORD_1 src1_sel:DWORD
	s_mov_b32 s70, 0
	s_and_saveexec_b32 s69, s71
	s_cbranch_execz .LBB53_163
; %bb.100:                              ;   in Loop: Header=BB53_4 Depth=1
	v_add_nc_u32_e32 v3, s13, v3
	s_mov_b32 s71, 0
	v_ashrrev_i32_e32 v4, 31, v3
	v_lshlrev_b64 v[8:9], 2, v[3:4]
	v_add_co_u32 v8, vcc_lo, s3, v8
	v_add_co_ci_u32_e64 v9, null, s4, v9, vcc_lo
	global_load_dword v1, v[8:9], off
	s_waitcnt vmcnt(0)
	v_cmp_class_f16_e64 s72, v1, 0x204
	s_and_saveexec_b32 s70, s72
	s_cbranch_execz .LBB53_162
; %bb.101:                              ;   in Loop: Header=BB53_4 Depth=1
	v_cmp_class_f16_sdwa s73, v1, v6 src0_sel:WORD_1 src1_sel:DWORD
	s_mov_b32 s72, 0
	s_and_saveexec_b32 s71, s73
	s_cbranch_execz .LBB53_161
; %bb.102:                              ;   in Loop: Header=BB53_4 Depth=1
	v_add_nc_u32_e32 v3, s13, v3
	s_mov_b32 s73, 0
	v_ashrrev_i32_e32 v4, 31, v3
	v_lshlrev_b64 v[8:9], 2, v[3:4]
	v_add_co_u32 v8, vcc_lo, s3, v8
	v_add_co_ci_u32_e64 v9, null, s4, v9, vcc_lo
	global_load_dword v1, v[8:9], off
	s_waitcnt vmcnt(0)
	v_cmp_class_f16_e64 s74, v1, 0x204
	s_and_saveexec_b32 s72, s74
	s_cbranch_execz .LBB53_160
; %bb.103:                              ;   in Loop: Header=BB53_4 Depth=1
	;; [unrolled: 17-line block ×15, first 2 shown]
	v_cmp_class_f16_sdwa s104, v1, v6 src0_sel:WORD_1 src1_sel:DWORD
	s_mov_b32 vcc_lo, 0
	s_and_saveexec_b32 s99, s104
	s_cbranch_execz .LBB53_133
; %bb.130:                              ;   in Loop: Header=BB53_4 Depth=1
	v_add_nc_u32_e32 v3, s13, v3
	v_ashrrev_i32_e32 v4, 31, v3
	v_lshlrev_b64 v[3:4], 2, v[3:4]
	v_add_co_u32 v3, vcc_lo, s3, v3
	v_add_co_ci_u32_e64 v4, null, s4, v4, vcc_lo
	s_mov_b32 vcc_lo, 0
	global_load_dword v1, v[3:4], off
	s_waitcnt vmcnt(0)
	v_cmp_class_f16_e64 vcc_hi, v1, 0x204
	s_and_saveexec_b32 s104, vcc_hi
; %bb.131:                              ;   in Loop: Header=BB53_4 Depth=1
	v_cmp_class_f16_sdwa vcc_hi, v1, v6 src0_sel:WORD_1 src1_sel:DWORD
	s_and_b32 vcc_lo, vcc_hi, exec_lo
; %bb.132:                              ;   in Loop: Header=BB53_4 Depth=1
	s_or_b32 exec_lo, exec_lo, s104
	s_and_b32 vcc_lo, vcc_lo, exec_lo
.LBB53_133:                             ;   in Loop: Header=BB53_4 Depth=1
	s_or_b32 exec_lo, exec_lo, s99
	s_and_b32 s99, vcc_lo, exec_lo
.LBB53_134:                             ;   in Loop: Header=BB53_4 Depth=1
	s_or_b32 exec_lo, exec_lo, s98
	s_and_b32 s98, s99, exec_lo
.LBB53_135:                             ;   in Loop: Header=BB53_4 Depth=1
	s_or_b32 exec_lo, exec_lo, s97
	s_and_b32 s97, s98, exec_lo
.LBB53_136:                             ;   in Loop: Header=BB53_4 Depth=1
	s_or_b32 exec_lo, exec_lo, s96
	s_and_b32 s96, s97, exec_lo
.LBB53_137:                             ;   in Loop: Header=BB53_4 Depth=1
	s_or_b32 exec_lo, exec_lo, s95
	s_and_b32 s95, s96, exec_lo
.LBB53_138:                             ;   in Loop: Header=BB53_4 Depth=1
	s_or_b32 exec_lo, exec_lo, s94
	s_and_b32 s94, s95, exec_lo
.LBB53_139:                             ;   in Loop: Header=BB53_4 Depth=1
	s_or_b32 exec_lo, exec_lo, s93
	s_and_b32 s93, s94, exec_lo
.LBB53_140:                             ;   in Loop: Header=BB53_4 Depth=1
	s_or_b32 exec_lo, exec_lo, s92
	s_and_b32 s92, s93, exec_lo
.LBB53_141:                             ;   in Loop: Header=BB53_4 Depth=1
	s_or_b32 exec_lo, exec_lo, s91
	s_and_b32 s91, s92, exec_lo
.LBB53_142:                             ;   in Loop: Header=BB53_4 Depth=1
	s_or_b32 exec_lo, exec_lo, s90
	s_and_b32 s90, s91, exec_lo
.LBB53_143:                             ;   in Loop: Header=BB53_4 Depth=1
	s_or_b32 exec_lo, exec_lo, s89
	s_and_b32 s89, s90, exec_lo
.LBB53_144:                             ;   in Loop: Header=BB53_4 Depth=1
	s_or_b32 exec_lo, exec_lo, s88
	s_and_b32 s88, s89, exec_lo
.LBB53_145:                             ;   in Loop: Header=BB53_4 Depth=1
	s_or_b32 exec_lo, exec_lo, s87
	s_and_b32 s87, s88, exec_lo
.LBB53_146:                             ;   in Loop: Header=BB53_4 Depth=1
	s_or_b32 exec_lo, exec_lo, s86
	s_and_b32 s86, s87, exec_lo
.LBB53_147:                             ;   in Loop: Header=BB53_4 Depth=1
	s_or_b32 exec_lo, exec_lo, s85
	s_and_b32 s85, s86, exec_lo
.LBB53_148:                             ;   in Loop: Header=BB53_4 Depth=1
	s_or_b32 exec_lo, exec_lo, s84
	s_and_b32 s84, s85, exec_lo
.LBB53_149:                             ;   in Loop: Header=BB53_4 Depth=1
	s_or_b32 exec_lo, exec_lo, s83
	s_and_b32 s83, s84, exec_lo
.LBB53_150:                             ;   in Loop: Header=BB53_4 Depth=1
	s_or_b32 exec_lo, exec_lo, s82
	s_and_b32 s82, s83, exec_lo
.LBB53_151:                             ;   in Loop: Header=BB53_4 Depth=1
	s_or_b32 exec_lo, exec_lo, s81
	s_and_b32 s81, s82, exec_lo
.LBB53_152:                             ;   in Loop: Header=BB53_4 Depth=1
	s_or_b32 exec_lo, exec_lo, s80
	s_and_b32 s80, s81, exec_lo
.LBB53_153:                             ;   in Loop: Header=BB53_4 Depth=1
	s_or_b32 exec_lo, exec_lo, s79
	s_and_b32 s79, s80, exec_lo
.LBB53_154:                             ;   in Loop: Header=BB53_4 Depth=1
	s_or_b32 exec_lo, exec_lo, s78
	s_and_b32 s78, s79, exec_lo
.LBB53_155:                             ;   in Loop: Header=BB53_4 Depth=1
	s_or_b32 exec_lo, exec_lo, s77
	s_and_b32 s77, s78, exec_lo
.LBB53_156:                             ;   in Loop: Header=BB53_4 Depth=1
	s_or_b32 exec_lo, exec_lo, s76
	s_and_b32 s76, s77, exec_lo
.LBB53_157:                             ;   in Loop: Header=BB53_4 Depth=1
	s_or_b32 exec_lo, exec_lo, s75
	s_and_b32 s75, s76, exec_lo
.LBB53_158:                             ;   in Loop: Header=BB53_4 Depth=1
	s_or_b32 exec_lo, exec_lo, s74
	s_and_b32 s74, s75, exec_lo
.LBB53_159:                             ;   in Loop: Header=BB53_4 Depth=1
	s_or_b32 exec_lo, exec_lo, s73
	s_and_b32 s73, s74, exec_lo
.LBB53_160:                             ;   in Loop: Header=BB53_4 Depth=1
	s_or_b32 exec_lo, exec_lo, s72
	s_and_b32 s72, s73, exec_lo
.LBB53_161:                             ;   in Loop: Header=BB53_4 Depth=1
	s_or_b32 exec_lo, exec_lo, s71
	s_and_b32 s71, s72, exec_lo
.LBB53_162:                             ;   in Loop: Header=BB53_4 Depth=1
	s_or_b32 exec_lo, exec_lo, s70
	s_and_b32 s70, s71, exec_lo
.LBB53_163:                             ;   in Loop: Header=BB53_4 Depth=1
	s_or_b32 exec_lo, exec_lo, s69
	s_and_b32 s69, s70, exec_lo
.LBB53_164:                             ;   in Loop: Header=BB53_4 Depth=1
	s_or_b32 exec_lo, exec_lo, s68
	s_and_b32 s68, s69, exec_lo
.LBB53_165:                             ;   in Loop: Header=BB53_4 Depth=1
	s_or_b32 exec_lo, exec_lo, s67
	s_and_b32 s67, s68, exec_lo
.LBB53_166:                             ;   in Loop: Header=BB53_4 Depth=1
	s_or_b32 exec_lo, exec_lo, s66
	s_and_b32 s66, s67, exec_lo
.LBB53_167:                             ;   in Loop: Header=BB53_4 Depth=1
	s_or_b32 exec_lo, exec_lo, s65
	s_and_b32 s65, s66, exec_lo
.LBB53_168:                             ;   in Loop: Header=BB53_4 Depth=1
	v_readlane_b32 s66, v10, 4
	s_or_b32 exec_lo, exec_lo, s66
	s_and_b32 s65, s65, exec_lo
.LBB53_169:                             ;   in Loop: Header=BB53_4 Depth=1
	v_readlane_b32 s66, v10, 3
	s_or_b32 exec_lo, exec_lo, s66
	s_and_b32 s65, s65, exec_lo
.LBB53_170:                             ;   in Loop: Header=BB53_4 Depth=1
	v_readlane_b32 s66, v10, 2
	s_or_b32 exec_lo, exec_lo, s66
	s_and_b32 s65, s65, exec_lo
.LBB53_171:                             ;   in Loop: Header=BB53_4 Depth=1
	v_readlane_b32 s66, v10, 1
	s_or_b32 exec_lo, exec_lo, s66
	s_and_b32 s65, s65, exec_lo
.LBB53_172:                             ;   in Loop: Header=BB53_4 Depth=1
	v_readlane_b32 s66, v10, 0
	s_or_b32 exec_lo, exec_lo, s66
	s_and_b32 s65, s65, exec_lo
.LBB53_173:                             ;   in Loop: Header=BB53_4 Depth=1
	v_readlane_b32 s66, v11, 31
	s_or_b32 exec_lo, exec_lo, s66
	s_and_b32 s65, s65, exec_lo
.LBB53_174:                             ;   in Loop: Header=BB53_4 Depth=1
	v_readlane_b32 s66, v11, 30
	s_or_b32 exec_lo, exec_lo, s66
	s_and_b32 s65, s65, exec_lo
.LBB53_175:                             ;   in Loop: Header=BB53_4 Depth=1
	v_readlane_b32 s66, v11, 29
	s_or_b32 exec_lo, exec_lo, s66
	s_and_b32 s65, s65, exec_lo
.LBB53_176:                             ;   in Loop: Header=BB53_4 Depth=1
	v_readlane_b32 s66, v11, 28
	s_or_b32 exec_lo, exec_lo, s66
	s_and_b32 s65, s65, exec_lo
.LBB53_177:                             ;   in Loop: Header=BB53_4 Depth=1
	v_readlane_b32 s66, v11, 27
	s_or_b32 exec_lo, exec_lo, s66
	s_and_b32 s65, s65, exec_lo
.LBB53_178:                             ;   in Loop: Header=BB53_4 Depth=1
	v_readlane_b32 s66, v11, 26
	s_or_b32 exec_lo, exec_lo, s66
	s_and_b32 s65, s65, exec_lo
.LBB53_179:                             ;   in Loop: Header=BB53_4 Depth=1
	v_readlane_b32 s66, v11, 25
	s_or_b32 exec_lo, exec_lo, s66
	s_and_b32 s65, s65, exec_lo
.LBB53_180:                             ;   in Loop: Header=BB53_4 Depth=1
	v_readlane_b32 s66, v11, 24
	s_or_b32 exec_lo, exec_lo, s66
	s_and_b32 s65, s65, exec_lo
.LBB53_181:                             ;   in Loop: Header=BB53_4 Depth=1
	v_readlane_b32 s66, v11, 23
	s_or_b32 exec_lo, exec_lo, s66
	s_and_b32 s65, s65, exec_lo
.LBB53_182:                             ;   in Loop: Header=BB53_4 Depth=1
	v_readlane_b32 s66, v11, 22
	s_or_b32 exec_lo, exec_lo, s66
	s_and_b32 s65, s65, exec_lo
.LBB53_183:                             ;   in Loop: Header=BB53_4 Depth=1
	v_readlane_b32 s66, v11, 21
	s_or_b32 exec_lo, exec_lo, s66
	s_and_b32 s65, s65, exec_lo
.LBB53_184:                             ;   in Loop: Header=BB53_4 Depth=1
	v_readlane_b32 s66, v11, 20
	s_or_b32 exec_lo, exec_lo, s66
	s_and_b32 s65, s65, exec_lo
.LBB53_185:                             ;   in Loop: Header=BB53_4 Depth=1
	v_readlane_b32 s66, v11, 19
	s_or_b32 exec_lo, exec_lo, s66
	s_and_b32 s65, s65, exec_lo
.LBB53_186:                             ;   in Loop: Header=BB53_4 Depth=1
	v_readlane_b32 s66, v11, 18
	s_or_b32 exec_lo, exec_lo, s66
	s_and_b32 s65, s65, exec_lo
.LBB53_187:                             ;   in Loop: Header=BB53_4 Depth=1
	v_readlane_b32 s66, v11, 17
	s_or_b32 exec_lo, exec_lo, s66
	s_and_b32 s65, s65, exec_lo
.LBB53_188:                             ;   in Loop: Header=BB53_4 Depth=1
	v_readlane_b32 s66, v11, 16
	s_or_b32 exec_lo, exec_lo, s66
	s_and_b32 s65, s65, exec_lo
.LBB53_189:                             ;   in Loop: Header=BB53_4 Depth=1
	v_readlane_b32 s66, v11, 15
	s_or_b32 exec_lo, exec_lo, s66
	s_and_b32 s65, s65, exec_lo
.LBB53_190:                             ;   in Loop: Header=BB53_4 Depth=1
	v_readlane_b32 s66, v11, 14
	s_or_b32 exec_lo, exec_lo, s66
	s_and_b32 s65, s65, exec_lo
.LBB53_191:                             ;   in Loop: Header=BB53_4 Depth=1
	v_readlane_b32 s66, v11, 13
	s_or_b32 exec_lo, exec_lo, s66
	s_and_b32 s65, s65, exec_lo
.LBB53_192:                             ;   in Loop: Header=BB53_4 Depth=1
	v_readlane_b32 s66, v11, 12
	s_or_b32 exec_lo, exec_lo, s66
	s_and_b32 s65, s65, exec_lo
.LBB53_193:                             ;   in Loop: Header=BB53_4 Depth=1
	v_readlane_b32 s66, v11, 11
	s_or_b32 exec_lo, exec_lo, s66
	s_and_b32 s65, s65, exec_lo
.LBB53_194:                             ;   in Loop: Header=BB53_4 Depth=1
	v_readlane_b32 s66, v11, 10
	s_or_b32 exec_lo, exec_lo, s66
	s_and_b32 s65, s65, exec_lo
.LBB53_195:                             ;   in Loop: Header=BB53_4 Depth=1
	v_readlane_b32 s66, v11, 9
	s_or_b32 exec_lo, exec_lo, s66
	s_and_b32 s65, s65, exec_lo
.LBB53_196:                             ;   in Loop: Header=BB53_4 Depth=1
	v_readlane_b32 s66, v11, 8
	s_or_b32 exec_lo, exec_lo, s66
	s_and_b32 s65, s65, exec_lo
.LBB53_197:                             ;   in Loop: Header=BB53_4 Depth=1
	v_readlane_b32 s66, v11, 7
	s_or_b32 exec_lo, exec_lo, s66
	s_and_b32 s65, s65, exec_lo
.LBB53_198:                             ;   in Loop: Header=BB53_4 Depth=1
	v_readlane_b32 s66, v11, 6
	s_or_b32 exec_lo, exec_lo, s66
	s_and_b32 s65, s65, exec_lo
.LBB53_199:                             ;   in Loop: Header=BB53_4 Depth=1
	v_readlane_b32 s66, v11, 5
	s_or_b32 exec_lo, exec_lo, s66
	s_and_b32 s65, s65, exec_lo
.LBB53_200:                             ;   in Loop: Header=BB53_4 Depth=1
	v_readlane_b32 s66, v11, 4
	s_or_b32 exec_lo, exec_lo, s66
	s_and_b32 s65, s65, exec_lo
.LBB53_201:                             ;   in Loop: Header=BB53_4 Depth=1
	v_readlane_b32 s66, v11, 3
	s_or_b32 exec_lo, exec_lo, s66
	s_and_b32 s65, s65, exec_lo
.LBB53_202:                             ;   in Loop: Header=BB53_4 Depth=1
	v_readlane_b32 s66, v11, 2
	s_or_b32 exec_lo, exec_lo, s66
	s_and_b32 s65, s65, exec_lo
.LBB53_203:                             ;   in Loop: Header=BB53_4 Depth=1
	v_readlane_b32 s66, v11, 1
	s_or_b32 exec_lo, exec_lo, s66
	s_and_b32 s65, s65, exec_lo
.LBB53_204:                             ;   in Loop: Header=BB53_4 Depth=1
	v_readlane_b32 s66, v11, 0
	s_or_b32 exec_lo, exec_lo, s66
	s_and_b32 s65, s65, exec_lo
.LBB53_205:                             ;   in Loop: Header=BB53_4 Depth=1
	s_or_b32 exec_lo, exec_lo, s64
	s_and_b32 s64, s65, exec_lo
.LBB53_206:                             ;   in Loop: Header=BB53_4 Depth=1
	s_or_b32 exec_lo, exec_lo, s63
	s_and_b32 s63, s64, exec_lo
.LBB53_207:                             ;   in Loop: Header=BB53_4 Depth=1
	s_or_b32 exec_lo, exec_lo, s62
	s_and_b32 s62, s63, exec_lo
.LBB53_208:                             ;   in Loop: Header=BB53_4 Depth=1
	s_or_b32 exec_lo, exec_lo, s61
	s_and_b32 s61, s62, exec_lo
.LBB53_209:                             ;   in Loop: Header=BB53_4 Depth=1
	s_or_b32 exec_lo, exec_lo, s60
	s_and_b32 s60, s61, exec_lo
.LBB53_210:                             ;   in Loop: Header=BB53_4 Depth=1
	s_or_b32 exec_lo, exec_lo, s59
	s_and_b32 s59, s60, exec_lo
.LBB53_211:                             ;   in Loop: Header=BB53_4 Depth=1
	s_or_b32 exec_lo, exec_lo, s58
	s_and_b32 s58, s59, exec_lo
.LBB53_212:                             ;   in Loop: Header=BB53_4 Depth=1
	s_or_b32 exec_lo, exec_lo, s57
	s_and_b32 s57, s58, exec_lo
.LBB53_213:                             ;   in Loop: Header=BB53_4 Depth=1
	s_or_b32 exec_lo, exec_lo, s56
	s_and_b32 s56, s57, exec_lo
.LBB53_214:                             ;   in Loop: Header=BB53_4 Depth=1
	s_or_b32 exec_lo, exec_lo, s55
	s_and_b32 s55, s56, exec_lo
.LBB53_215:                             ;   in Loop: Header=BB53_4 Depth=1
	s_or_b32 exec_lo, exec_lo, s54
	s_and_b32 s54, s55, exec_lo
.LBB53_216:                             ;   in Loop: Header=BB53_4 Depth=1
	s_or_b32 exec_lo, exec_lo, s53
	s_and_b32 s53, s54, exec_lo
.LBB53_217:                             ;   in Loop: Header=BB53_4 Depth=1
	s_or_b32 exec_lo, exec_lo, s52
	s_and_b32 s52, s53, exec_lo
.LBB53_218:                             ;   in Loop: Header=BB53_4 Depth=1
	s_or_b32 exec_lo, exec_lo, s51
	s_and_b32 s51, s52, exec_lo
.LBB53_219:                             ;   in Loop: Header=BB53_4 Depth=1
	s_or_b32 exec_lo, exec_lo, s50
	s_and_b32 s50, s51, exec_lo
.LBB53_220:                             ;   in Loop: Header=BB53_4 Depth=1
	s_or_b32 exec_lo, exec_lo, s49
	s_and_b32 s49, s50, exec_lo
.LBB53_221:                             ;   in Loop: Header=BB53_4 Depth=1
	s_or_b32 exec_lo, exec_lo, s48
	s_and_b32 s48, s49, exec_lo
.LBB53_222:                             ;   in Loop: Header=BB53_4 Depth=1
	s_or_b32 exec_lo, exec_lo, s47
	s_and_b32 s47, s48, exec_lo
.LBB53_223:                             ;   in Loop: Header=BB53_4 Depth=1
	s_or_b32 exec_lo, exec_lo, s46
	s_and_b32 s46, s47, exec_lo
.LBB53_224:                             ;   in Loop: Header=BB53_4 Depth=1
	s_or_b32 exec_lo, exec_lo, s45
	s_and_b32 s45, s46, exec_lo
.LBB53_225:                             ;   in Loop: Header=BB53_4 Depth=1
	s_or_b32 exec_lo, exec_lo, s44
	s_and_b32 s44, s45, exec_lo
.LBB53_226:                             ;   in Loop: Header=BB53_4 Depth=1
	s_or_b32 exec_lo, exec_lo, s43
	s_and_b32 s43, s44, exec_lo
.LBB53_227:                             ;   in Loop: Header=BB53_4 Depth=1
	s_or_b32 exec_lo, exec_lo, s42
	s_and_b32 s42, s43, exec_lo
.LBB53_228:                             ;   in Loop: Header=BB53_4 Depth=1
	s_or_b32 exec_lo, exec_lo, s41
	s_and_b32 s41, s42, exec_lo
.LBB53_229:                             ;   in Loop: Header=BB53_4 Depth=1
	s_or_b32 exec_lo, exec_lo, s40
	s_and_b32 s40, s41, exec_lo
.LBB53_230:                             ;   in Loop: Header=BB53_4 Depth=1
	s_or_b32 exec_lo, exec_lo, s39
	s_and_b32 s39, s40, exec_lo
.LBB53_231:                             ;   in Loop: Header=BB53_4 Depth=1
	s_or_b32 exec_lo, exec_lo, s38
	s_and_b32 s38, s39, exec_lo
.LBB53_232:                             ;   in Loop: Header=BB53_4 Depth=1
	s_or_b32 exec_lo, exec_lo, s37
	s_and_b32 s37, s38, exec_lo
.LBB53_233:                             ;   in Loop: Header=BB53_4 Depth=1
	s_or_b32 exec_lo, exec_lo, s36
	s_and_b32 s36, s37, exec_lo
.LBB53_234:                             ;   in Loop: Header=BB53_4 Depth=1
	s_or_b32 exec_lo, exec_lo, s35
	s_and_b32 s35, s36, exec_lo
.LBB53_235:                             ;   in Loop: Header=BB53_4 Depth=1
	s_or_b32 exec_lo, exec_lo, s34
	s_and_b32 s34, s35, exec_lo
.LBB53_236:                             ;   in Loop: Header=BB53_4 Depth=1
	s_or_b32 exec_lo, exec_lo, s33
	s_and_b32 s33, s34, exec_lo
.LBB53_237:                             ;   in Loop: Header=BB53_4 Depth=1
	s_or_b32 exec_lo, exec_lo, s31
	s_and_b32 s31, s33, exec_lo
.LBB53_238:                             ;   in Loop: Header=BB53_4 Depth=1
	s_or_b32 exec_lo, exec_lo, s30
	s_and_b32 s30, s31, exec_lo
.LBB53_239:                             ;   in Loop: Header=BB53_4 Depth=1
	s_or_b32 exec_lo, exec_lo, s29
	s_and_b32 s29, s30, exec_lo
.LBB53_240:                             ;   in Loop: Header=BB53_4 Depth=1
	s_or_b32 exec_lo, exec_lo, s28
	s_and_b32 s28, s29, exec_lo
.LBB53_241:                             ;   in Loop: Header=BB53_4 Depth=1
	s_or_b32 exec_lo, exec_lo, s27
	s_and_b32 s27, s28, exec_lo
.LBB53_242:                             ;   in Loop: Header=BB53_4 Depth=1
	s_or_b32 exec_lo, exec_lo, s26
	s_and_b32 s26, s27, exec_lo
.LBB53_243:                             ;   in Loop: Header=BB53_4 Depth=1
	s_or_b32 exec_lo, exec_lo, s25
	s_and_b32 s25, s26, exec_lo
.LBB53_244:                             ;   in Loop: Header=BB53_4 Depth=1
	s_or_b32 exec_lo, exec_lo, s24
	s_and_b32 s24, s25, exec_lo
.LBB53_245:                             ;   in Loop: Header=BB53_4 Depth=1
	s_or_b32 exec_lo, exec_lo, s23
	s_and_b32 s23, s24, exec_lo
.LBB53_246:                             ;   in Loop: Header=BB53_4 Depth=1
	s_or_b32 exec_lo, exec_lo, s22
	s_and_b32 s22, s23, exec_lo
.LBB53_247:                             ;   in Loop: Header=BB53_4 Depth=1
	s_or_b32 exec_lo, exec_lo, s21
	s_and_b32 s21, s22, exec_lo
.LBB53_248:                             ;   in Loop: Header=BB53_4 Depth=1
	s_or_b32 exec_lo, exec_lo, s20
	s_and_b32 s20, s21, exec_lo
.LBB53_249:                             ;   in Loop: Header=BB53_4 Depth=1
	s_or_b32 exec_lo, exec_lo, s19
	s_and_b32 s19, s20, exec_lo
.LBB53_250:                             ;   in Loop: Header=BB53_4 Depth=1
	s_or_b32 exec_lo, exec_lo, s18
	s_and_b32 s18, s19, exec_lo
.LBB53_251:                             ;   in Loop: Header=BB53_4 Depth=1
	s_or_b32 exec_lo, exec_lo, s17
	s_and_b32 s17, s18, exec_lo
.LBB53_252:                             ;   in Loop: Header=BB53_4 Depth=1
	s_or_b32 exec_lo, exec_lo, s16
	s_and_b32 s16, s17, exec_lo
.LBB53_253:                             ;   in Loop: Header=BB53_4 Depth=1
	s_or_b32 exec_lo, exec_lo, s15
	s_and_b32 s15, s16, exec_lo
.LBB53_254:                             ;   in Loop: Header=BB53_4 Depth=1
	s_or_b32 exec_lo, exec_lo, s14
	s_and_b32 s14, s15, exec_lo
.LBB53_255:                             ;   in Loop: Header=BB53_4 Depth=1
	s_or_b32 exec_lo, exec_lo, s12
	s_and_b32 s12, s14, exec_lo
.LBB53_256:                             ;   in Loop: Header=BB53_4 Depth=1
	s_or_b32 exec_lo, exec_lo, s9
	s_and_b32 s9, s12, exec_lo
.LBB53_257:                             ;   in Loop: Header=BB53_4 Depth=1
	s_or_b32 exec_lo, exec_lo, s8
	v_cndmask_b32_e64 v1, 0, 1, s9
	s_mov_b32 s12, exec_lo
	v_cmp_ne_u32_e32 vcc_lo, 0, v1
	s_and_saveexec_b32 s8, s0
	s_cbranch_execz .LBB53_3
; %bb.258:                              ;   in Loop: Header=BB53_4 Depth=1
	s_cmp_eq_u32 vcc_lo, s12
	s_cselect_b32 s9, -1, 0
	v_cndmask_b32_e64 v1, 0, 1, s9
	ds_write_b32 v5, v1
	s_branch .LBB53_3
.LBB53_259:                             ;   in Loop: Header=BB53_4 Depth=1
	s_cbranch_execz .LBB53_4
.LBB53_260:
	s_mov_b32 s0, exec_lo
	v_cmpx_eq_u32_e32 0, v0
	s_cbranch_execz .LBB53_262
; %bb.261:
	s_mul_i32 s0, s1, s7
	v_mov_b32_e32 v0, 0
	s_add_i32 s0, s0, s6
	v_mov_b32_e32 v1, s2
	s_ashr_i32 s1, s0, 31
	s_lshl_b64 s[0:1], s[0:1], 2
	s_add_u32 s0, s10, s0
	s_addc_u32 s1, s11, s1
	global_store_dword v0, v1, s[0:1]
.LBB53_262:
	s_endpgm
	.section	.rodata,"a",@progbits
	.p2align	6, 0x0
	.amdhsa_kernel _ZL25flash_attn_mask_to_KV_maxILi64EEvPK7__half2Piiii
		.amdhsa_group_segment_fixed_size 128
		.amdhsa_private_segment_fixed_size 0
		.amdhsa_kernarg_size 288
		.amdhsa_user_sgpr_count 6
		.amdhsa_user_sgpr_private_segment_buffer 1
		.amdhsa_user_sgpr_dispatch_ptr 0
		.amdhsa_user_sgpr_queue_ptr 0
		.amdhsa_user_sgpr_kernarg_segment_ptr 1
		.amdhsa_user_sgpr_dispatch_id 0
		.amdhsa_user_sgpr_flat_scratch_init 0
		.amdhsa_user_sgpr_private_segment_size 0
		.amdhsa_wavefront_size32 1
		.amdhsa_uses_dynamic_stack 0
		.amdhsa_system_sgpr_private_segment_wavefront_offset 0
		.amdhsa_system_sgpr_workgroup_id_x 1
		.amdhsa_system_sgpr_workgroup_id_y 1
		.amdhsa_system_sgpr_workgroup_id_z 0
		.amdhsa_system_sgpr_workgroup_info 0
		.amdhsa_system_vgpr_workitem_id 0
		.amdhsa_next_free_vgpr 12
		.amdhsa_next_free_sgpr 105
		.amdhsa_reserve_vcc 1
		.amdhsa_reserve_flat_scratch 0
		.amdhsa_float_round_mode_32 0
		.amdhsa_float_round_mode_16_64 0
		.amdhsa_float_denorm_mode_32 3
		.amdhsa_float_denorm_mode_16_64 3
		.amdhsa_dx10_clamp 1
		.amdhsa_ieee_mode 1
		.amdhsa_fp16_overflow 0
		.amdhsa_workgroup_processor_mode 1
		.amdhsa_memory_ordered 1
		.amdhsa_forward_progress 1
		.amdhsa_shared_vgpr_count 0
		.amdhsa_exception_fp_ieee_invalid_op 0
		.amdhsa_exception_fp_denorm_src 0
		.amdhsa_exception_fp_ieee_div_zero 0
		.amdhsa_exception_fp_ieee_overflow 0
		.amdhsa_exception_fp_ieee_underflow 0
		.amdhsa_exception_fp_ieee_inexact 0
		.amdhsa_exception_int_div_zero 0
	.end_amdhsa_kernel
	.section	.text._ZL25flash_attn_mask_to_KV_maxILi64EEvPK7__half2Piiii,"axG",@progbits,_ZL25flash_attn_mask_to_KV_maxILi64EEvPK7__half2Piiii,comdat
.Lfunc_end53:
	.size	_ZL25flash_attn_mask_to_KV_maxILi64EEvPK7__half2Piiii, .Lfunc_end53-_ZL25flash_attn_mask_to_KV_maxILi64EEvPK7__half2Piiii
                                        ; -- End function
	.set _ZL25flash_attn_mask_to_KV_maxILi64EEvPK7__half2Piiii.num_vgpr, 12
	.set _ZL25flash_attn_mask_to_KV_maxILi64EEvPK7__half2Piiii.num_agpr, 0
	.set _ZL25flash_attn_mask_to_KV_maxILi64EEvPK7__half2Piiii.numbered_sgpr, 105
	.set _ZL25flash_attn_mask_to_KV_maxILi64EEvPK7__half2Piiii.num_named_barrier, 0
	.set _ZL25flash_attn_mask_to_KV_maxILi64EEvPK7__half2Piiii.private_seg_size, 0
	.set _ZL25flash_attn_mask_to_KV_maxILi64EEvPK7__half2Piiii.uses_vcc, 1
	.set _ZL25flash_attn_mask_to_KV_maxILi64EEvPK7__half2Piiii.uses_flat_scratch, 0
	.set _ZL25flash_attn_mask_to_KV_maxILi64EEvPK7__half2Piiii.has_dyn_sized_stack, 0
	.set _ZL25flash_attn_mask_to_KV_maxILi64EEvPK7__half2Piiii.has_recursion, 0
	.set _ZL25flash_attn_mask_to_KV_maxILi64EEvPK7__half2Piiii.has_indirect_call, 0
	.section	.AMDGPU.csdata,"",@progbits
; Kernel info:
; codeLenInByte = 7692
; TotalNumSgprs: 107
; NumVgprs: 12
; ScratchSize: 0
; MemoryBound: 0
; FloatMode: 240
; IeeeMode: 1
; LDSByteSize: 128 bytes/workgroup (compile time only)
; SGPRBlocks: 0
; VGPRBlocks: 1
; NumSGPRsForWavesPerEU: 107
; NumVGPRsForWavesPerEU: 12
; Occupancy: 16
; WaveLimiterHint : 0
; COMPUTE_PGM_RSRC2:SCRATCH_EN: 0
; COMPUTE_PGM_RSRC2:USER_SGPR: 6
; COMPUTE_PGM_RSRC2:TRAP_HANDLER: 0
; COMPUTE_PGM_RSRC2:TGID_X_EN: 1
; COMPUTE_PGM_RSRC2:TGID_Y_EN: 1
; COMPUTE_PGM_RSRC2:TGID_Z_EN: 0
; COMPUTE_PGM_RSRC2:TIDIG_COMP_CNT: 0
	.section	.text._ZL33flash_attn_stream_k_fixup_uniformILi64ELi64ELi1EEvPfPK15HIP_vector_typeIfLj2EEiiiiiiS1_IjLj3EES5_S5_,"axG",@progbits,_ZL33flash_attn_stream_k_fixup_uniformILi64ELi64ELi1EEvPfPK15HIP_vector_typeIfLj2EEiiiiiiS1_IjLj3EES5_S5_,comdat
	.globl	_ZL33flash_attn_stream_k_fixup_uniformILi64ELi64ELi1EEvPfPK15HIP_vector_typeIfLj2EEiiiiiiS1_IjLj3EES5_S5_ ; -- Begin function _ZL33flash_attn_stream_k_fixup_uniformILi64ELi64ELi1EEvPfPK15HIP_vector_typeIfLj2EEiiiiiiS1_IjLj3EES5_S5_
	.p2align	8
	.type	_ZL33flash_attn_stream_k_fixup_uniformILi64ELi64ELi1EEvPfPK15HIP_vector_typeIfLj2EEiiiiiiS1_IjLj3EES5_S5_,@function
_ZL33flash_attn_stream_k_fixup_uniformILi64ELi64ELi1EEvPfPK15HIP_vector_typeIfLj2EEiiiiiiS1_IjLj3EES5_S5_: ; @_ZL33flash_attn_stream_k_fixup_uniformILi64ELi64ELi1EEvPfPK15HIP_vector_typeIfLj2EEiiiiiiS1_IjLj3EES5_S5_
; %bb.0:
	s_clause 0x2
	s_load_dwordx8 s[12:19], s[4:5], 0x1c
	s_load_dwordx4 s[20:23], s[4:5], 0x3c
	s_load_dwordx2 s[10:11], s[4:5], 0x10
	s_waitcnt lgkmcnt(0)
	s_mul_hi_u32 s0, s15, s6
	s_add_i32 s0, s6, s0
	s_lshr_b32 s0, s0, s16
	s_mul_i32 s1, s0, s17
	s_sub_i32 s2, s6, s1
	s_mul_hi_u32 s1, s2, s18
	s_add_i32 s1, s2, s1
	s_lshr_b32 s1, s1, s19
	s_mul_i32 s3, s1, s20
	s_sub_i32 s2, s2, s3
	;; [unrolled: 5-line block ×3, first 2 shown]
	s_lshl_b32 s2, s15, 6
	s_add_i32 s2, s2, s7
	s_cmp_lt_i32 s2, s10
	s_cselect_b32 s2, -1, 0
	s_add_i32 s3, s9, s8
	s_cmp_lt_i32 s3, s13
	s_cselect_b32 s3, -1, 0
	s_and_b32 s2, s2, s3
	s_andn2_b32 vcc_lo, exec_lo, s2
	s_cbranch_vccnz .LBB54_6
; %bb.1:
	s_mul_i32 s0, s0, s10
	s_mul_i32 s10, s1, s13
	s_add_i32 s0, s0, s7
	s_mul_i32 s0, s0, s11
	s_add_i32 s13, s0, s8
	s_load_dwordx4 s[0:3], s[4:5], 0x0
	s_add_i32 s4, s13, s10
	s_mul_i32 s5, s11, s15
	s_add_i32 s4, s4, s9
	s_lshl_b32 s5, s5, 12
	s_lshl_b32 s4, s4, 6
	s_add_i32 s8, s7, s8
	s_add_i32 s5, s5, s4
	s_mul_i32 s4, s14, s6
	v_or_b32_e32 v1, s5, v0
	s_add_i32 s9, s4, s14
	v_ashrrev_i32_e32 v2, 31, v1
	v_lshlrev_b64 v[1:2], 2, v[1:2]
	s_waitcnt lgkmcnt(0)
	v_add_co_u32 v1, vcc_lo, s0, v1
	v_add_co_ci_u32_e64 v2, null, s1, v2, vcc_lo
	s_lshl_b32 s0, s9, 6
	s_add_i32 s0, s8, s0
	global_load_dword v5, v[1:2], off
	s_sub_i32 s0, s0, 64
	s_ashr_i32 s1, s0, 31
	s_lshl_b64 s[0:1], s[0:1], 3
	s_add_u32 s0, s2, s0
	s_addc_u32 s1, s3, s1
	s_add_i32 s5, s9, -2
	s_load_dword s10, s[0:1], 0x4
	s_cmp_lt_i32 s5, s4
	s_cbranch_scc1 .LBB54_4
; %bb.2:
	s_lshl_b32 s16, s12, 8
	s_load_dword s11, s[0:1], 0x0
	s_ashr_i32 s17, s16, 31
	s_waitcnt lgkmcnt(0)
	v_mov_b32_e32 v6, s10
	s_lshl_b64 s[0:1], s[16:17], 2
	s_add_u32 s5, s2, s0
	s_addc_u32 s7, s3, s1
	s_add_i32 s6, s6, 1
	s_lshl_b32 s1, s8, 6
	s_mul_i32 s0, s14, s6
	s_lshl_b32 s6, s0, 12
	s_lshl_b32 s0, s0, 6
	s_add_i32 s1, s1, s6
	s_add_i32 s0, s8, s0
	v_or_b32_e32 v0, s1, v0
	s_lshl_b32 s1, s12, 6
	s_add_i32 s6, s9, -1
	s_add_i32 s0, s0, s1
	v_add_nc_u32_e32 v3, 0xffffe000, v0
	v_mov_b32_e32 v0, s11
	s_addk_i32 s0, 0xff80
.LBB54_3:                               ; =>This Inner Loop Header: Depth=1
	v_ashrrev_i32_e32 v4, 31, v3
	s_ashr_i32 s1, s0, 31
	s_lshl_b64 s[8:9], s[0:1], 3
	s_add_u32 s8, s2, s8
	v_lshlrev_b64 v[7:8], 2, v[3:4]
	s_addc_u32 s9, s3, s9
	v_add_nc_u32_e32 v3, 0xfffff000, v3
	s_add_i32 s6, s6, -1
	s_sub_i32 s0, s0, 64
	s_cmp_le_i32 s6, s4
	v_add_co_u32 v7, vcc_lo, s5, v7
	v_add_co_ci_u32_e64 v8, null, s7, v8, vcc_lo
	s_load_dwordx2 s[8:9], s[8:9], 0x0
	global_load_dword v4, v[7:8], off
	v_max_f32_e32 v7, v0, v0
	s_waitcnt lgkmcnt(0)
	v_max_f32_e64 v8, s8, s8
	v_max_f32_e32 v7, v7, v8
	v_sub_f32_e32 v8, s8, v7
	v_sub_f32_e32 v0, v0, v7
	v_mul_f32_e32 v9, 0x3fb8aa3b, v8
	v_mul_f32_e32 v12, 0x3fb8aa3b, v0
	v_cmp_ngt_f32_e32 vcc_lo, 0xc2ce8ed0, v8
	v_fma_f32 v10, 0x3fb8aa3b, v8, -v9
	v_rndne_f32_e32 v11, v9
	v_fma_f32 v13, 0x3fb8aa3b, v0, -v12
	v_rndne_f32_e32 v14, v12
	v_fmac_f32_e32 v10, 0x32a5705f, v8
	v_sub_f32_e32 v9, v9, v11
	v_fmac_f32_e32 v13, 0x32a5705f, v0
	v_cvt_i32_f32_e32 v11, v11
	v_add_f32_e32 v9, v9, v10
	v_sub_f32_e32 v10, v12, v14
	v_exp_f32_e32 v9, v9
	v_add_f32_e32 v10, v10, v13
	v_exp_f32_e32 v10, v10
	v_ldexp_f32 v9, v9, v11
	v_cvt_i32_f32_e32 v11, v14
	v_cndmask_b32_e32 v9, 0, v9, vcc_lo
	v_cmp_nlt_f32_e32 vcc_lo, 0x42b17218, v8
	v_ldexp_f32 v10, v10, v11
	v_mov_b32_e32 v11, v6
	v_cndmask_b32_e32 v9, 0x7f800000, v9, vcc_lo
	v_cmp_ngt_f32_e32 vcc_lo, 0xc2ce8ed0, v0
	v_cndmask_b32_e32 v10, 0, v10, vcc_lo
	v_cmp_le_f32_e32 vcc_lo, 0xc1a00000, v8
	v_cndmask_b32_e32 v8, 0, v9, vcc_lo
	v_cmp_nlt_f32_e32 vcc_lo, 0x42b17218, v0
	s_waitcnt vmcnt(1)
	v_mov_b32_e32 v9, v5
	v_cndmask_b32_e32 v5, 0x7f800000, v10, vcc_lo
	v_mul_f32_e32 v10, s9, v8
	v_cmp_le_f32_e32 vcc_lo, 0xc1a00000, v0
	v_mov_b32_e32 v0, v7
	v_mov_b32_e32 v6, v10
	v_cndmask_b32_e32 v12, 0, v5, vcc_lo
	v_fmac_f32_e32 v6, v11, v12
	s_waitcnt vmcnt(0)
	v_mul_f32_e32 v5, v4, v8
	v_fmac_f32_e32 v5, v9, v12
	s_cbranch_scc0 .LBB54_3
	s_branch .LBB54_5
.LBB54_4:
	s_waitcnt lgkmcnt(0)
	v_mov_b32_e32 v6, s10
.LBB54_5:
	s_waitcnt vmcnt(0)
	v_div_scale_f32 v0, null, v6, v6, v5
	v_rcp_f32_e32 v3, v0
	v_fma_f32 v4, -v0, v3, 1.0
	v_fmac_f32_e32 v3, v4, v3
	v_div_scale_f32 v4, vcc_lo, v5, v6, v5
	v_mul_f32_e32 v7, v4, v3
	v_fma_f32 v8, -v0, v7, v4
	v_fmac_f32_e32 v7, v8, v3
	v_fma_f32 v0, -v0, v7, v4
	v_div_fmas_f32 v0, v0, v3, v7
	v_div_fixup_f32 v0, v0, v6, v5
	global_store_dword v[1:2], v0, off
.LBB54_6:
	s_endpgm
	.section	.rodata,"a",@progbits
	.p2align	6, 0x0
	.amdhsa_kernel _ZL33flash_attn_stream_k_fixup_uniformILi64ELi64ELi1EEvPfPK15HIP_vector_typeIfLj2EEiiiiiiS1_IjLj3EES5_S5_
		.amdhsa_group_segment_fixed_size 0
		.amdhsa_private_segment_fixed_size 0
		.amdhsa_kernarg_size 76
		.amdhsa_user_sgpr_count 6
		.amdhsa_user_sgpr_private_segment_buffer 1
		.amdhsa_user_sgpr_dispatch_ptr 0
		.amdhsa_user_sgpr_queue_ptr 0
		.amdhsa_user_sgpr_kernarg_segment_ptr 1
		.amdhsa_user_sgpr_dispatch_id 0
		.amdhsa_user_sgpr_flat_scratch_init 0
		.amdhsa_user_sgpr_private_segment_size 0
		.amdhsa_wavefront_size32 1
		.amdhsa_uses_dynamic_stack 0
		.amdhsa_system_sgpr_private_segment_wavefront_offset 0
		.amdhsa_system_sgpr_workgroup_id_x 1
		.amdhsa_system_sgpr_workgroup_id_y 1
		.amdhsa_system_sgpr_workgroup_id_z 1
		.amdhsa_system_sgpr_workgroup_info 0
		.amdhsa_system_vgpr_workitem_id 0
		.amdhsa_next_free_vgpr 15
		.amdhsa_next_free_sgpr 24
		.amdhsa_reserve_vcc 1
		.amdhsa_reserve_flat_scratch 0
		.amdhsa_float_round_mode_32 0
		.amdhsa_float_round_mode_16_64 0
		.amdhsa_float_denorm_mode_32 3
		.amdhsa_float_denorm_mode_16_64 3
		.amdhsa_dx10_clamp 1
		.amdhsa_ieee_mode 1
		.amdhsa_fp16_overflow 0
		.amdhsa_workgroup_processor_mode 1
		.amdhsa_memory_ordered 1
		.amdhsa_forward_progress 1
		.amdhsa_shared_vgpr_count 0
		.amdhsa_exception_fp_ieee_invalid_op 0
		.amdhsa_exception_fp_denorm_src 0
		.amdhsa_exception_fp_ieee_div_zero 0
		.amdhsa_exception_fp_ieee_overflow 0
		.amdhsa_exception_fp_ieee_underflow 0
		.amdhsa_exception_fp_ieee_inexact 0
		.amdhsa_exception_int_div_zero 0
	.end_amdhsa_kernel
	.section	.text._ZL33flash_attn_stream_k_fixup_uniformILi64ELi64ELi1EEvPfPK15HIP_vector_typeIfLj2EEiiiiiiS1_IjLj3EES5_S5_,"axG",@progbits,_ZL33flash_attn_stream_k_fixup_uniformILi64ELi64ELi1EEvPfPK15HIP_vector_typeIfLj2EEiiiiiiS1_IjLj3EES5_S5_,comdat
.Lfunc_end54:
	.size	_ZL33flash_attn_stream_k_fixup_uniformILi64ELi64ELi1EEvPfPK15HIP_vector_typeIfLj2EEiiiiiiS1_IjLj3EES5_S5_, .Lfunc_end54-_ZL33flash_attn_stream_k_fixup_uniformILi64ELi64ELi1EEvPfPK15HIP_vector_typeIfLj2EEiiiiiiS1_IjLj3EES5_S5_
                                        ; -- End function
	.set _ZL33flash_attn_stream_k_fixup_uniformILi64ELi64ELi1EEvPfPK15HIP_vector_typeIfLj2EEiiiiiiS1_IjLj3EES5_S5_.num_vgpr, 15
	.set _ZL33flash_attn_stream_k_fixup_uniformILi64ELi64ELi1EEvPfPK15HIP_vector_typeIfLj2EEiiiiiiS1_IjLj3EES5_S5_.num_agpr, 0
	.set _ZL33flash_attn_stream_k_fixup_uniformILi64ELi64ELi1EEvPfPK15HIP_vector_typeIfLj2EEiiiiiiS1_IjLj3EES5_S5_.numbered_sgpr, 24
	.set _ZL33flash_attn_stream_k_fixup_uniformILi64ELi64ELi1EEvPfPK15HIP_vector_typeIfLj2EEiiiiiiS1_IjLj3EES5_S5_.num_named_barrier, 0
	.set _ZL33flash_attn_stream_k_fixup_uniformILi64ELi64ELi1EEvPfPK15HIP_vector_typeIfLj2EEiiiiiiS1_IjLj3EES5_S5_.private_seg_size, 0
	.set _ZL33flash_attn_stream_k_fixup_uniformILi64ELi64ELi1EEvPfPK15HIP_vector_typeIfLj2EEiiiiiiS1_IjLj3EES5_S5_.uses_vcc, 1
	.set _ZL33flash_attn_stream_k_fixup_uniformILi64ELi64ELi1EEvPfPK15HIP_vector_typeIfLj2EEiiiiiiS1_IjLj3EES5_S5_.uses_flat_scratch, 0
	.set _ZL33flash_attn_stream_k_fixup_uniformILi64ELi64ELi1EEvPfPK15HIP_vector_typeIfLj2EEiiiiiiS1_IjLj3EES5_S5_.has_dyn_sized_stack, 0
	.set _ZL33flash_attn_stream_k_fixup_uniformILi64ELi64ELi1EEvPfPK15HIP_vector_typeIfLj2EEiiiiiiS1_IjLj3EES5_S5_.has_recursion, 0
	.set _ZL33flash_attn_stream_k_fixup_uniformILi64ELi64ELi1EEvPfPK15HIP_vector_typeIfLj2EEiiiiiiS1_IjLj3EES5_S5_.has_indirect_call, 0
	.section	.AMDGPU.csdata,"",@progbits
; Kernel info:
; codeLenInByte = 828
; TotalNumSgprs: 26
; NumVgprs: 15
; ScratchSize: 0
; MemoryBound: 0
; FloatMode: 240
; IeeeMode: 1
; LDSByteSize: 0 bytes/workgroup (compile time only)
; SGPRBlocks: 0
; VGPRBlocks: 1
; NumSGPRsForWavesPerEU: 26
; NumVGPRsForWavesPerEU: 15
; Occupancy: 16
; WaveLimiterHint : 0
; COMPUTE_PGM_RSRC2:SCRATCH_EN: 0
; COMPUTE_PGM_RSRC2:USER_SGPR: 6
; COMPUTE_PGM_RSRC2:TRAP_HANDLER: 0
; COMPUTE_PGM_RSRC2:TGID_X_EN: 1
; COMPUTE_PGM_RSRC2:TGID_Y_EN: 1
; COMPUTE_PGM_RSRC2:TGID_Z_EN: 1
; COMPUTE_PGM_RSRC2:TIDIG_COMP_CNT: 0
	.section	.text._ZL33flash_attn_stream_k_fixup_generalILi64ELi64ELi1EEvPfPK15HIP_vector_typeIfLj2EEiiiiS1_IjLj3EES5_S5_S5_,"axG",@progbits,_ZL33flash_attn_stream_k_fixup_generalILi64ELi64ELi1EEvPfPK15HIP_vector_typeIfLj2EEiiiiS1_IjLj3EES5_S5_S5_,comdat
	.globl	_ZL33flash_attn_stream_k_fixup_generalILi64ELi64ELi1EEvPfPK15HIP_vector_typeIfLj2EEiiiiS1_IjLj3EES5_S5_S5_ ; -- Begin function _ZL33flash_attn_stream_k_fixup_generalILi64ELi64ELi1EEvPfPK15HIP_vector_typeIfLj2EEiiiiS1_IjLj3EES5_S5_S5_
	.p2align	8
	.type	_ZL33flash_attn_stream_k_fixup_generalILi64ELi64ELi1EEvPfPK15HIP_vector_typeIfLj2EEiiiiS1_IjLj3EES5_S5_S5_,@function
_ZL33flash_attn_stream_k_fixup_generalILi64ELi64ELi1EEvPfPK15HIP_vector_typeIfLj2EEiiiiS1_IjLj3EES5_S5_S5_: ; @_ZL33flash_attn_stream_k_fixup_generalILi64ELi64ELi1EEvPfPK15HIP_vector_typeIfLj2EEiiiiS1_IjLj3EES5_S5_S5_
; %bb.0:
	s_clause 0x1
	s_load_dwordx4 s[0:3], s[4:5], 0x10
	s_load_dword s9, s[4:5], 0x50
	s_mov_b32 s16, 0
	s_waitcnt lgkmcnt(0)
	s_mul_hi_i32 s17, s3, s6
	s_mul_i32 s18, s3, s6
	s_cmp_lg_u64 s[16:17], 0
	s_cbranch_scc0 .LBB55_21
; %bb.1:
	s_add_u32 s10, s9, 0
	s_addc_u32 s11, 0, 0
	s_xor_b64 s[10:11], s[10:11], 0
	v_cvt_f32_u32_e32 v1, s10
	v_cvt_f32_u32_e32 v2, s11
	s_sub_u32 s14, 0, s10
	s_subb_u32 s15, 0, s11
	v_fmamk_f32 v1, v2, 0x4f800000, v1
	v_rcp_f32_e32 v1, v1
	v_mul_f32_e32 v1, 0x5f7ffffc, v1
	v_mul_f32_e32 v2, 0x2f800000, v1
	v_trunc_f32_e32 v2, v2
	v_fmamk_f32 v1, v2, 0xcf800000, v1
	v_cvt_u32_f32_e32 v2, v2
	v_cvt_u32_f32_e32 v1, v1
	v_readfirstlane_b32 s12, v2
	v_readfirstlane_b32 s13, v1
	s_mul_i32 s19, s14, s12
	s_mul_hi_u32 s21, s14, s13
	s_mul_i32 s20, s15, s13
	s_add_i32 s19, s21, s19
	s_mul_i32 s22, s14, s13
	s_add_i32 s19, s19, s20
	s_mul_hi_u32 s21, s13, s22
	s_mul_i32 s24, s13, s19
	s_mul_hi_u32 s23, s12, s22
	s_mul_i32 s20, s12, s22
	s_mul_hi_u32 s22, s13, s19
	s_add_u32 s21, s21, s24
	s_addc_u32 s22, 0, s22
	s_mul_hi_u32 s25, s12, s19
	s_add_u32 s20, s21, s20
	s_mul_i32 s19, s12, s19
	s_addc_u32 s20, s22, s23
	s_addc_u32 s21, s25, 0
	s_add_u32 s19, s20, s19
	s_addc_u32 s20, 0, s21
	s_add_u32 s13, s13, s19
	s_cselect_b32 s19, -1, 0
	s_mul_hi_u32 s21, s14, s13
	s_cmp_lg_u32 s19, 0
	s_mul_i32 s19, s14, s13
	s_addc_u32 s12, s12, s20
	s_mul_i32 s15, s15, s13
	s_mul_i32 s14, s14, s12
	s_mul_hi_u32 s20, s13, s19
	s_add_i32 s14, s21, s14
	s_mul_hi_u32 s21, s12, s19
	s_add_i32 s14, s14, s15
	s_mul_i32 s15, s12, s19
	s_mul_i32 s23, s13, s14
	s_mul_hi_u32 s22, s13, s14
	s_add_u32 s20, s20, s23
	s_addc_u32 s22, 0, s22
	s_mul_hi_u32 s19, s12, s14
	s_add_u32 s15, s20, s15
	s_mul_i32 s14, s12, s14
	s_addc_u32 s15, s22, s21
	s_addc_u32 s19, s19, 0
	s_add_u32 s14, s15, s14
	s_addc_u32 s15, 0, s19
	s_add_u32 s19, s13, s14
	s_cselect_b32 s13, -1, 0
	s_cmp_lg_u32 s13, 0
	s_addc_u32 s20, s12, s15
	s_ashr_i32 s12, s17, 31
	s_add_u32 s14, s18, s12
	s_mov_b32 s13, s12
	s_addc_u32 s15, s17, s12
	s_xor_b64 s[14:15], s[14:15], s[12:13]
	s_mul_i32 s21, s14, s20
	s_mul_hi_u32 s22, s14, s19
	s_mul_hi_u32 s17, s14, s20
	;; [unrolled: 1-line block ×3, first 2 shown]
	s_mul_i32 s19, s15, s19
	s_add_u32 s21, s22, s21
	s_addc_u32 s17, 0, s17
	s_mul_hi_u32 s23, s15, s20
	s_add_u32 s19, s21, s19
	s_mul_i32 s20, s15, s20
	s_addc_u32 s17, s17, s24
	s_addc_u32 s19, s23, 0
	s_add_u32 s17, s17, s20
	s_addc_u32 s19, 0, s19
	s_mul_hi_u32 s20, s10, s17
	s_mul_i32 s21, s10, s19
	s_mul_i32 s22, s11, s17
	s_add_i32 s20, s20, s21
	s_mul_i32 s21, s10, s17
	s_add_i32 s20, s20, s22
	s_sub_i32 s22, s15, s20
	s_sub_u32 s14, s14, s21
	s_cselect_b32 s21, -1, 0
	s_cmp_lg_u32 s21, 0
	s_subb_u32 s22, s22, s11
	s_sub_u32 s23, s14, s10
	s_cselect_b32 s24, -1, 0
	s_cmp_lg_u32 s24, 0
	s_subb_u32 s22, s22, 0
	s_cmp_ge_u32 s22, s11
	s_cselect_b32 s24, -1, 0
	s_cmp_ge_u32 s23, s10
	s_cselect_b32 s23, -1, 0
	s_cmp_eq_u32 s22, s11
	s_cselect_b32 s22, s23, s24
	s_add_u32 s23, s17, 1
	s_addc_u32 s24, s19, 0
	s_add_u32 s25, s17, 2
	s_addc_u32 s26, s19, 0
	s_cmp_lg_u32 s22, 0
	s_cselect_b32 s22, s25, s23
	s_cselect_b32 s23, s26, s24
	s_cmp_lg_u32 s21, 0
	s_subb_u32 s15, s15, s20
	s_cmp_ge_u32 s15, s11
	s_cselect_b32 s20, -1, 0
	s_cmp_ge_u32 s14, s10
	s_cselect_b32 s10, -1, 0
	s_cmp_eq_u32 s15, s11
	s_cselect_b32 s10, s10, s20
	s_cmp_lg_u32 s10, 0
	s_cselect_b32 s11, s23, s19
	s_cselect_b32 s10, s22, s17
	s_xor_b64 s[12:13], s[12:13], 0
	s_xor_b64 s[10:11], s[10:11], s[12:13]
	s_sub_u32 s10, s10, s12
	s_load_dwordx4 s[12:15], s[4:5], 0x44
	s_andn2_b32 vcc_lo, exec_lo, s16
	s_cbranch_vccnz .LBB55_3
.LBB55_2:
	v_cvt_f32_u32_e32 v1, s9
	s_sub_i32 s11, 0, s9
	v_rcp_iflag_f32_e32 v1, v1
	v_mul_f32_e32 v1, 0x4f7ffffe, v1
	v_cvt_u32_f32_e32 v1, v1
	v_readfirstlane_b32 s10, v1
	s_mul_i32 s11, s11, s10
	s_mul_hi_u32 s11, s10, s11
	s_add_i32 s10, s10, s11
	s_mul_hi_u32 s10, s18, s10
	s_mul_i32 s11, s10, s9
	s_waitcnt lgkmcnt(0)
	s_add_i32 s15, s10, 1
	s_sub_i32 s11, s18, s11
	s_sub_i32 s16, s11, s9
	s_cmp_ge_u32 s11, s9
	s_cselect_b32 s10, s15, s10
	s_cselect_b32 s11, s16, s11
	s_add_i32 s15, s10, 1
	s_cmp_ge_u32 s11, s9
	s_cselect_b32 s10, s15, s10
.LBB55_3:
	s_add_i32 s11, s6, 1
	s_mov_b32 s16, 0
	s_mul_hi_i32 s17, s3, s11
	s_mul_i32 s11, s3, s11
	s_cmp_lg_u64 s[16:17], 0
	s_cbranch_scc0 .LBB55_22
; %bb.4:
	s_add_u32 s18, s9, 0
	s_addc_u32 s19, 0, 0
	s_xor_b64 s[18:19], s[18:19], 0
	v_cvt_f32_u32_e32 v1, s18
	v_cvt_f32_u32_e32 v2, s19
	s_sub_u32 s21, 0, s18
	s_subb_u32 s22, 0, s19
	v_fmamk_f32 v1, v2, 0x4f800000, v1
	v_rcp_f32_e32 v1, v1
	v_mul_f32_e32 v1, 0x5f7ffffc, v1
	v_mul_f32_e32 v2, 0x2f800000, v1
	v_trunc_f32_e32 v2, v2
	v_fmamk_f32 v1, v2, 0xcf800000, v1
	v_cvt_u32_f32_e32 v2, v2
	v_cvt_u32_f32_e32 v1, v1
	s_waitcnt lgkmcnt(0)
	v_readfirstlane_b32 s15, v2
	v_readfirstlane_b32 s20, v1
	s_mul_i32 s23, s21, s15
	s_mul_hi_u32 s25, s21, s20
	s_mul_i32 s24, s22, s20
	s_add_i32 s23, s25, s23
	s_mul_i32 s26, s21, s20
	s_add_i32 s23, s23, s24
	s_mul_hi_u32 s25, s20, s26
	s_mul_i32 s28, s20, s23
	s_mul_hi_u32 s27, s15, s26
	s_mul_i32 s24, s15, s26
	s_mul_hi_u32 s26, s20, s23
	s_add_u32 s25, s25, s28
	s_addc_u32 s26, 0, s26
	s_mul_hi_u32 s29, s15, s23
	s_add_u32 s24, s25, s24
	s_mul_i32 s23, s15, s23
	s_addc_u32 s24, s26, s27
	s_addc_u32 s25, s29, 0
	s_add_u32 s23, s24, s23
	s_addc_u32 s24, 0, s25
	s_add_u32 s20, s20, s23
	s_cselect_b32 s23, -1, 0
	s_mul_hi_u32 s25, s21, s20
	s_cmp_lg_u32 s23, 0
	s_mul_i32 s23, s21, s20
	s_addc_u32 s15, s15, s24
	s_mul_i32 s22, s22, s20
	s_mul_i32 s21, s21, s15
	s_mul_hi_u32 s24, s20, s23
	s_add_i32 s21, s25, s21
	s_mul_hi_u32 s25, s15, s23
	s_add_i32 s21, s21, s22
	s_mul_i32 s22, s15, s23
	s_mul_i32 s27, s20, s21
	s_mul_hi_u32 s26, s20, s21
	s_add_u32 s24, s24, s27
	s_addc_u32 s26, 0, s26
	s_mul_hi_u32 s23, s15, s21
	s_add_u32 s22, s24, s22
	s_mul_i32 s21, s15, s21
	s_addc_u32 s22, s26, s25
	s_addc_u32 s23, s23, 0
	s_add_u32 s21, s22, s21
	s_addc_u32 s22, 0, s23
	s_add_u32 s24, s20, s21
	s_cselect_b32 s20, -1, 0
	s_cmp_lg_u32 s20, 0
	s_addc_u32 s15, s15, s22
	s_ashr_i32 s20, s17, 31
	s_add_u32 s22, s11, s20
	s_mov_b32 s21, s20
	s_addc_u32 s23, s17, s20
	s_xor_b64 s[22:23], s[22:23], s[20:21]
	s_mul_i32 s25, s22, s15
	s_mul_hi_u32 s26, s22, s24
	s_mul_hi_u32 s17, s22, s15
	;; [unrolled: 1-line block ×3, first 2 shown]
	s_mul_i32 s24, s23, s24
	s_add_u32 s25, s26, s25
	s_addc_u32 s17, 0, s17
	s_mul_hi_u32 s27, s23, s15
	s_add_u32 s24, s25, s24
	s_mul_i32 s15, s23, s15
	s_addc_u32 s17, s17, s28
	s_addc_u32 s24, s27, 0
	s_add_u32 s15, s17, s15
	s_addc_u32 s17, 0, s24
	s_mul_hi_u32 s24, s18, s15
	s_mul_i32 s25, s18, s17
	s_mul_i32 s26, s19, s15
	s_add_i32 s24, s24, s25
	s_mul_i32 s25, s18, s15
	s_add_i32 s24, s24, s26
	s_sub_i32 s26, s23, s24
	s_sub_u32 s22, s22, s25
	s_cselect_b32 s25, -1, 0
	s_cmp_lg_u32 s25, 0
	s_subb_u32 s26, s26, s19
	s_sub_u32 s27, s22, s18
	s_cselect_b32 s28, -1, 0
	s_cmp_lg_u32 s28, 0
	s_subb_u32 s26, s26, 0
	s_cmp_ge_u32 s26, s19
	s_cselect_b32 s28, -1, 0
	s_cmp_ge_u32 s27, s18
	s_cselect_b32 s27, -1, 0
	s_cmp_eq_u32 s26, s19
	s_cselect_b32 s26, s27, s28
	s_add_u32 s27, s15, 1
	s_addc_u32 s28, s17, 0
	s_add_u32 s29, s15, 2
	s_addc_u32 s30, s17, 0
	s_cmp_lg_u32 s26, 0
	s_cselect_b32 s26, s29, s27
	s_cselect_b32 s27, s30, s28
	s_cmp_lg_u32 s25, 0
	s_subb_u32 s23, s23, s24
	s_cmp_ge_u32 s23, s19
	s_cselect_b32 s24, -1, 0
	s_cmp_ge_u32 s22, s18
	s_cselect_b32 s18, -1, 0
	s_cmp_eq_u32 s23, s19
	s_cselect_b32 s18, s18, s24
	s_cmp_lg_u32 s18, 0
	s_cselect_b32 s19, s27, s17
	s_cselect_b32 s18, s26, s15
	s_xor_b64 s[20:21], s[20:21], 0
	s_xor_b64 s[18:19], s[18:19], s[20:21]
	s_sub_u32 s18, s18, s20
	s_andn2_b32 vcc_lo, exec_lo, s16
	s_cbranch_vccnz .LBB55_6
.LBB55_5:
	v_cvt_f32_u32_e32 v1, s9
	s_sub_i32 s16, 0, s9
	v_rcp_iflag_f32_e32 v1, v1
	v_mul_f32_e32 v1, 0x4f7ffffe, v1
	v_cvt_u32_f32_e32 v1, v1
	s_waitcnt lgkmcnt(0)
	v_readfirstlane_b32 s15, v1
	s_mul_i32 s16, s16, s15
	s_mul_hi_u32 s16, s15, s16
	s_add_i32 s15, s15, s16
	s_mul_hi_u32 s15, s11, s15
	s_mul_i32 s16, s15, s9
	s_sub_i32 s11, s11, s16
	s_add_i32 s16, s15, 1
	s_sub_i32 s17, s11, s9
	s_cmp_ge_u32 s11, s9
	s_cselect_b32 s15, s16, s15
	s_cselect_b32 s11, s17, s11
	s_add_i32 s16, s15, 1
	s_cmp_ge_u32 s11, s9
	s_cselect_b32 s18, s16, s15
.LBB55_6:
	s_cmp_eq_u32 s10, s18
	s_waitcnt lgkmcnt(0)
	s_mul_hi_u32 s11, s10, s12
	s_cselect_b32 s15, -1, 0
	s_add_i32 s11, s11, s10
	s_lshr_b32 s11, s11, s13
	s_mul_i32 s16, s11, s14
	s_cmp_eq_u32 s16, s10
	s_mul_hi_u32 s16, s18, s12
	s_cselect_b32 s17, -1, 0
	s_add_i32 s16, s16, s18
	s_lshr_b32 s16, s16, s13
	s_cmp_eq_u32 s11, s16
	s_mul_i32 s16, s16, s14
	s_cselect_b32 s19, -1, 0
	s_cmp_lg_u32 s16, s18
	s_cselect_b32 s16, -1, 0
	s_or_b32 s15, s15, s17
	s_and_b32 s16, s19, s16
	s_or_b32 s15, s15, s16
	s_and_b32 vcc_lo, exec_lo, s15
	s_cbranch_vccnz .LBB55_24
; %bb.7:
	s_load_dwordx8 s[20:27], s[4:5], 0x20
	s_waitcnt lgkmcnt(0)
	s_mul_hi_u32 s15, s10, s20
	s_add_i32 s15, s15, s10
	s_lshr_b32 s20, s15, s21
	s_load_dword s15, s[4:5], 0x40
	s_mul_i32 s16, s20, s22
	s_sub_i32 s16, s10, s16
	s_mul_hi_u32 s17, s16, s23
	s_add_i32 s17, s16, s17
	s_lshr_b32 s22, s17, s24
	s_mul_i32 s17, s22, s25
	s_sub_i32 s16, s16, s17
	s_mul_hi_u32 s17, s16, s26
	s_add_i32 s17, s16, s17
	s_lshr_b32 s23, s17, s27
	s_waitcnt lgkmcnt(0)
	s_mul_i32 s15, s23, s15
	s_sub_i32 s15, s16, s15
	s_mul_hi_u32 s16, s15, s12
	s_add_i32 s15, s15, s16
	s_lshr_b32 s24, s15, s13
	s_lshl_b32 s15, s24, 6
	s_add_i32 s15, s15, s7
	s_cmp_lt_i32 s15, s0
	s_cselect_b32 s15, -1, 0
	s_add_i32 s16, s23, s8
	s_cmp_lt_i32 s16, s2
	s_cselect_b32 s16, -1, 0
	s_and_b32 s15, s15, s16
	s_andn2_b32 vcc_lo, exec_lo, s15
	s_cbranch_vccnz .LBB55_24
; %bb.8:
	s_load_dwordx4 s[16:19], s[4:5], 0x0
	s_mov_b32 s4, 0
	s_lshl_b32 s26, s9, 8
	s_mov_b32 s27, s4
	s_add_i32 s15, s7, s8
	s_lshl_b64 s[26:27], s[26:27], 2
	s_mul_i32 s0, s20, s0
	s_mul_i32 s22, s22, s2
	v_cvt_f32_u32_e32 v4, s9
	v_rcp_iflag_f32_e32 v4, v4
	s_waitcnt lgkmcnt(0)
	s_add_u32 s20, s18, s26
	s_addc_u32 s21, s19, s27
	s_add_i32 s0, s0, s7
	v_mul_f32_e32 v4, 0x4f7ffffe, v4
	s_mul_i32 s0, s0, s1
	s_mul_i32 s1, s1, s24
	s_add_i32 s0, s0, s8
	s_lshl_b32 s1, s1, 12
	s_add_i32 s0, s0, s22
	v_cvt_u32_f32_e32 v4, v4
	s_add_i32 s0, s0, s23
	s_lshl_b32 s0, s0, 6
	s_add_i32 s1, s1, s0
	s_lshl_b32 s0, s6, 6
	v_or_b32_e32 v1, s1, v0
	s_add_i32 s0, s0, s15
	v_lshl_or_b32 v0, s15, 6, v0
	s_ashr_i32 s1, s0, 31
	v_ashrrev_i32_e32 v2, 31, v1
	s_lshl_b64 s[0:1], s[0:1], 3
	s_add_u32 s0, s18, s0
	s_addc_u32 s1, s19, s1
	v_lshlrev_b64 v[1:2], 2, v[1:2]
	s_load_dwordx2 s[0:1], s[0:1], 0x0
	s_add_i32 s8, s6, -1
	s_sub_i32 s2, 0, s9
	v_add_co_u32 v1, vcc_lo, s16, v1
	v_add_co_ci_u32_e64 v2, null, s17, v2, vcc_lo
	global_load_dword v3, v[1:2], off
	s_waitcnt lgkmcnt(0)
	v_mov_b32_e32 v5, s1
	v_mov_b32_e32 v6, s0
.LBB55_9:                               ; =>This Inner Loop Header: Depth=1
	s_mul_hi_i32 s5, s8, s3
	s_mul_i32 s6, s8, s3
	s_cmp_lg_u64 s[4:5], 0
	s_mov_b32 s7, -1
                                        ; implicit-def: $sgpr0_sgpr1
	s_cbranch_scc0 .LBB55_11
; %bb.10:                               ;   in Loop: Header=BB55_9 Depth=1
	s_add_u32 s0, s9, 0
	s_addc_u32 s1, 0, 0
	s_xor_b64 s[0:1], s[0:1], 0
	v_cvt_f32_u32_e32 v7, s0
	v_cvt_f32_u32_e32 v8, s1
	s_sub_u32 s17, 0, s0
	s_subb_u32 s22, 0, s1
	v_fmac_f32_e32 v7, 0x4f800000, v8
	v_rcp_f32_e32 v7, v7
	v_mul_f32_e32 v7, 0x5f7ffffc, v7
	v_mul_f32_e32 v8, 0x2f800000, v7
	v_trunc_f32_e32 v8, v8
	v_fmac_f32_e32 v7, 0xcf800000, v8
	v_cvt_u32_f32_e32 v8, v8
	v_cvt_u32_f32_e32 v7, v7
	v_readfirstlane_b32 s7, v8
	v_readfirstlane_b32 s16, v7
	s_mul_i32 s23, s17, s7
	s_mul_hi_u32 s25, s17, s16
	s_mul_i32 s24, s22, s16
	s_add_i32 s23, s25, s23
	s_mul_i32 s26, s17, s16
	s_add_i32 s23, s23, s24
	s_mul_hi_u32 s25, s16, s26
	s_mul_i32 s28, s16, s23
	s_mul_hi_u32 s27, s7, s26
	s_mul_i32 s24, s7, s26
	s_mul_hi_u32 s26, s16, s23
	s_add_u32 s25, s25, s28
	s_addc_u32 s26, 0, s26
	s_mul_hi_u32 s29, s7, s23
	s_add_u32 s24, s25, s24
	s_mul_i32 s23, s7, s23
	s_addc_u32 s24, s26, s27
	s_addc_u32 s25, s29, 0
	s_add_u32 s23, s24, s23
	s_addc_u32 s24, 0, s25
	s_add_u32 s16, s16, s23
	s_cselect_b32 s23, -1, 0
	s_mul_hi_u32 s25, s17, s16
	s_cmp_lg_u32 s23, 0
	s_mul_i32 s23, s17, s16
	s_addc_u32 s7, s7, s24
	s_mul_i32 s22, s22, s16
	s_mul_i32 s17, s17, s7
	s_mul_hi_u32 s24, s16, s23
	s_add_i32 s17, s25, s17
	s_mul_hi_u32 s25, s7, s23
	s_add_i32 s17, s17, s22
	s_mul_i32 s22, s7, s23
	s_mul_i32 s27, s16, s17
	s_mul_hi_u32 s26, s16, s17
	s_add_u32 s24, s24, s27
	s_addc_u32 s26, 0, s26
	s_mul_hi_u32 s23, s7, s17
	s_add_u32 s22, s24, s22
	s_mul_i32 s17, s7, s17
	s_addc_u32 s22, s26, s25
	s_addc_u32 s23, s23, 0
	s_add_u32 s17, s22, s17
	s_addc_u32 s22, 0, s23
	s_add_u32 s24, s16, s17
	s_cselect_b32 s16, -1, 0
	s_cmp_lg_u32 s16, 0
	s_addc_u32 s7, s7, s22
	s_ashr_i32 s16, s5, 31
	s_add_u32 s22, s6, s16
	s_mov_b32 s17, s16
	s_addc_u32 s23, s5, s16
	s_xor_b64 s[22:23], s[22:23], s[16:17]
	s_mul_i32 s25, s22, s7
	s_mul_hi_u32 s26, s22, s24
	s_mul_hi_u32 s5, s22, s7
	;; [unrolled: 1-line block ×3, first 2 shown]
	s_mul_i32 s24, s23, s24
	s_add_u32 s25, s26, s25
	s_addc_u32 s5, 0, s5
	s_mul_hi_u32 s27, s23, s7
	s_add_u32 s24, s25, s24
	s_mul_i32 s7, s23, s7
	s_addc_u32 s5, s5, s28
	s_addc_u32 s24, s27, 0
	s_add_u32 s5, s5, s7
	s_addc_u32 s7, 0, s24
	s_mul_hi_u32 s24, s0, s5
	s_mul_i32 s25, s0, s7
	s_mul_i32 s26, s1, s5
	s_add_i32 s24, s24, s25
	s_mul_i32 s25, s0, s5
	s_add_i32 s24, s24, s26
	s_sub_i32 s26, s23, s24
	s_sub_u32 s22, s22, s25
	s_cselect_b32 s25, -1, 0
	s_cmp_lg_u32 s25, 0
	s_subb_u32 s26, s26, s1
	s_sub_u32 s27, s22, s0
	s_cselect_b32 s28, -1, 0
	s_cmp_lg_u32 s28, 0
	s_subb_u32 s26, s26, 0
	s_cmp_ge_u32 s26, s1
	s_cselect_b32 s28, -1, 0
	s_cmp_ge_u32 s27, s0
	s_cselect_b32 s27, -1, 0
	s_cmp_eq_u32 s26, s1
	s_cselect_b32 s26, s27, s28
	s_add_u32 s27, s5, 1
	s_addc_u32 s28, s7, 0
	s_add_u32 s29, s5, 2
	s_addc_u32 s30, s7, 0
	s_cmp_lg_u32 s26, 0
	s_cselect_b32 s26, s29, s27
	s_cselect_b32 s27, s30, s28
	s_cmp_lg_u32 s25, 0
	s_subb_u32 s23, s23, s24
	s_cmp_ge_u32 s23, s1
	s_cselect_b32 s24, -1, 0
	s_cmp_ge_u32 s22, s0
	s_cselect_b32 s0, -1, 0
	s_cmp_eq_u32 s23, s1
	s_cselect_b32 s0, s0, s24
	s_cmp_lg_u32 s0, 0
	s_cselect_b32 s1, s27, s7
	s_cselect_b32 s0, s26, s5
	s_xor_b64 s[16:17], s[16:17], 0
	s_mov_b32 s7, 0
	s_xor_b64 s[0:1], s[0:1], s[16:17]
	s_sub_u32 s0, s0, s16
.LBB55_11:                              ;   in Loop: Header=BB55_9 Depth=1
	s_andn2_b32 vcc_lo, exec_lo, s7
	s_cbranch_vccnz .LBB55_13
; %bb.12:                               ;   in Loop: Header=BB55_9 Depth=1
	v_readfirstlane_b32 s0, v4
	s_mul_i32 s1, s2, s0
	s_mul_hi_u32 s1, s0, s1
	s_add_i32 s0, s0, s1
	s_mul_hi_u32 s0, s6, s0
	s_mul_i32 s1, s0, s9
	s_add_i32 s5, s0, 1
	s_sub_i32 s1, s6, s1
	s_sub_i32 s6, s1, s9
	s_cmp_ge_u32 s1, s9
	s_cselect_b32 s0, s5, s0
	s_cselect_b32 s1, s6, s1
	s_add_i32 s5, s0, 1
	s_cmp_ge_u32 s1, s9
	s_cselect_b32 s0, s5, s0
.LBB55_13:                              ;   in Loop: Header=BB55_9 Depth=1
	s_cmp_lg_u32 s10, s0
	s_mov_b32 s6, -1
                                        ; implicit-def: $sgpr5
                                        ; implicit-def: $vgpr8
                                        ; implicit-def: $vgpr7
                                        ; implicit-def: $vgpr9
                                        ; implicit-def: $sgpr1
                                        ; implicit-def: $sgpr16
	s_cbranch_scc0 .LBB55_18
; %bb.14:                               ;   in Loop: Header=BB55_9 Depth=1
	s_add_i32 s1, s8, s9
	s_mov_b32 s7, s4
	s_lshl_b32 s1, s1, 6
	s_mov_b32 s16, s10
	s_add_i32 s6, s1, s15
	s_mul_hi_u32 s1, s0, s12
	s_lshl_b64 s[6:7], s[6:7], 3
	s_add_u32 s6, s18, s6
	s_addc_u32 s7, s19, s7
	s_add_i32 s1, s1, s0
	s_lshr_b32 s1, s1, s13
	s_mul_i32 s5, s1, s14
	s_cmp_eq_u32 s5, s0
	s_cselect_b32 s5, -1, 0
	s_cmp_lt_u32 s1, s11
	s_cselect_b32 s1, -1, 0
	s_or_b32 s1, s1, s5
	s_mov_b32 s5, -1
	s_and_b32 vcc_lo, exec_lo, s1
	s_mov_b32 s1, s8
	s_cbranch_vccnz .LBB55_16
; %bb.15:                               ;   in Loop: Header=BB55_9 Depth=1
	s_add_i32 s1, s8, -1
	s_mov_b32 s5, 0
	s_mov_b32 s16, s0
.LBB55_16:                              ;   in Loop: Header=BB55_9 Depth=1
	v_lshl_add_u32 v7, s8, 12, v0
	s_load_dwordx2 s[6:7], s[6:7], 0x0
	v_ashrrev_i32_e32 v8, 31, v7
	v_lshlrev_b64 v[7:8], 2, v[7:8]
	v_add_co_u32 v7, vcc_lo, s20, v7
	v_add_co_ci_u32_e64 v8, null, s21, v8, vcc_lo
	s_waitcnt lgkmcnt(0)
	v_max_f32_e64 v9, s6, s6
	global_load_dword v8, v[7:8], off
	v_max_f32_e32 v7, v6, v6
	v_max_f32_e32 v7, v7, v9
	v_sub_f32_e32 v9, s6, v7
	v_sub_f32_e32 v10, v6, v7
	v_mul_f32_e32 v11, 0x3fb8aa3b, v9
	v_mul_f32_e32 v12, 0x3fb8aa3b, v10
	v_cmp_ngt_f32_e32 vcc_lo, 0xc2ce8ed0, v9
	v_fma_f32 v13, 0x3fb8aa3b, v9, -v11
	v_rndne_f32_e32 v14, v11
	v_fma_f32 v15, 0x3fb8aa3b, v10, -v12
	v_rndne_f32_e32 v16, v12
	v_fmac_f32_e32 v13, 0x32a5705f, v9
	v_sub_f32_e32 v11, v11, v14
	v_fmac_f32_e32 v15, 0x32a5705f, v10
	v_sub_f32_e32 v12, v12, v16
	v_add_f32_e32 v11, v11, v13
	v_cvt_i32_f32_e32 v13, v14
	v_add_f32_e32 v12, v12, v15
	v_cvt_i32_f32_e32 v14, v16
	v_exp_f32_e32 v11, v11
	v_exp_f32_e32 v12, v12
	v_ldexp_f32 v11, v11, v13
	v_ldexp_f32 v12, v12, v14
	v_cndmask_b32_e32 v11, 0, v11, vcc_lo
	v_cmp_ngt_f32_e32 vcc_lo, 0xc2ce8ed0, v10
	v_cndmask_b32_e32 v12, 0, v12, vcc_lo
	v_cmp_nlt_f32_e32 vcc_lo, 0x42b17218, v9
	v_cndmask_b32_e32 v11, 0x7f800000, v11, vcc_lo
	v_cmp_nlt_f32_e32 vcc_lo, 0x42b17218, v10
	v_cndmask_b32_e32 v12, 0x7f800000, v12, vcc_lo
	v_cmp_le_f32_e32 vcc_lo, 0xc1a00000, v9
	v_cndmask_b32_e32 v9, 0, v11, vcc_lo
	v_cmp_le_f32_e32 vcc_lo, 0xc1a00000, v10
	v_cndmask_b32_e32 v10, 0, v12, vcc_lo
	s_waitcnt vmcnt(0)
	v_mul_f32_e32 v8, v8, v9
	v_mul_f32_e32 v9, s7, v9
	v_fmac_f32_e32 v8, v3, v10
	v_fmac_f32_e32 v9, v5, v10
	s_cbranch_execz .LBB55_19
.LBB55_17:                              ;   in Loop: Header=BB55_9 Depth=1
	s_andn2_b32 vcc_lo, exec_lo, s5
	s_cbranch_vccnz .LBB55_20
	s_branch .LBB55_23
.LBB55_18:                              ;   in Loop: Header=BB55_9 Depth=1
	s_andn2_b32 vcc_lo, exec_lo, s6
	s_cbranch_vccnz .LBB55_17
.LBB55_19:                              ;   in Loop: Header=BB55_9 Depth=1
	v_mov_b32_e32 v9, v5
	v_mov_b32_e32 v7, v6
	s_waitcnt vmcnt(0)
	v_mov_b32_e32 v8, v3
	s_add_i32 s1, s8, -1
	s_mov_b32 s16, s10
	s_cbranch_execz .LBB55_23
.LBB55_20:                              ;   in Loop: Header=BB55_9 Depth=1
	v_mov_b32_e32 v5, v9
	v_mov_b32_e32 v6, v7
	s_waitcnt vmcnt(0)
	v_mov_b32_e32 v3, v8
	s_mov_b32 s10, s16
	s_mov_b32 s8, s1
	s_branch .LBB55_9
.LBB55_21:
                                        ; implicit-def: $sgpr10_sgpr11
	s_load_dwordx4 s[12:15], s[4:5], 0x44
	s_branch .LBB55_2
.LBB55_22:
                                        ; implicit-def: $sgpr18_sgpr19
	s_branch .LBB55_5
.LBB55_23:
	v_div_scale_f32 v0, null, v9, v9, v8
	s_waitcnt vmcnt(0)
	v_rcp_f32_e32 v3, v0
	v_fma_f32 v4, -v0, v3, 1.0
	v_fmac_f32_e32 v3, v4, v3
	v_div_scale_f32 v4, vcc_lo, v8, v9, v8
	v_mul_f32_e32 v5, v4, v3
	v_fma_f32 v6, -v0, v5, v4
	v_fmac_f32_e32 v5, v6, v3
	v_fma_f32 v0, -v0, v5, v4
	v_div_fmas_f32 v0, v0, v3, v5
	v_div_fixup_f32 v0, v0, v9, v8
	global_store_dword v[1:2], v0, off
.LBB55_24:
	s_endpgm
	.section	.rodata,"a",@progbits
	.p2align	6, 0x0
	.amdhsa_kernel _ZL33flash_attn_stream_k_fixup_generalILi64ELi64ELi1EEvPfPK15HIP_vector_typeIfLj2EEiiiiS1_IjLj3EES5_S5_S5_
		.amdhsa_group_segment_fixed_size 0
		.amdhsa_private_segment_fixed_size 0
		.amdhsa_kernarg_size 336
		.amdhsa_user_sgpr_count 6
		.amdhsa_user_sgpr_private_segment_buffer 1
		.amdhsa_user_sgpr_dispatch_ptr 0
		.amdhsa_user_sgpr_queue_ptr 0
		.amdhsa_user_sgpr_kernarg_segment_ptr 1
		.amdhsa_user_sgpr_dispatch_id 0
		.amdhsa_user_sgpr_flat_scratch_init 0
		.amdhsa_user_sgpr_private_segment_size 0
		.amdhsa_wavefront_size32 1
		.amdhsa_uses_dynamic_stack 0
		.amdhsa_system_sgpr_private_segment_wavefront_offset 0
		.amdhsa_system_sgpr_workgroup_id_x 1
		.amdhsa_system_sgpr_workgroup_id_y 1
		.amdhsa_system_sgpr_workgroup_id_z 1
		.amdhsa_system_sgpr_workgroup_info 0
		.amdhsa_system_vgpr_workitem_id 0
		.amdhsa_next_free_vgpr 17
		.amdhsa_next_free_sgpr 31
		.amdhsa_reserve_vcc 1
		.amdhsa_reserve_flat_scratch 0
		.amdhsa_float_round_mode_32 0
		.amdhsa_float_round_mode_16_64 0
		.amdhsa_float_denorm_mode_32 3
		.amdhsa_float_denorm_mode_16_64 3
		.amdhsa_dx10_clamp 1
		.amdhsa_ieee_mode 1
		.amdhsa_fp16_overflow 0
		.amdhsa_workgroup_processor_mode 1
		.amdhsa_memory_ordered 1
		.amdhsa_forward_progress 1
		.amdhsa_shared_vgpr_count 0
		.amdhsa_exception_fp_ieee_invalid_op 0
		.amdhsa_exception_fp_denorm_src 0
		.amdhsa_exception_fp_ieee_div_zero 0
		.amdhsa_exception_fp_ieee_overflow 0
		.amdhsa_exception_fp_ieee_underflow 0
		.amdhsa_exception_fp_ieee_inexact 0
		.amdhsa_exception_int_div_zero 0
	.end_amdhsa_kernel
	.section	.text._ZL33flash_attn_stream_k_fixup_generalILi64ELi64ELi1EEvPfPK15HIP_vector_typeIfLj2EEiiiiS1_IjLj3EES5_S5_S5_,"axG",@progbits,_ZL33flash_attn_stream_k_fixup_generalILi64ELi64ELi1EEvPfPK15HIP_vector_typeIfLj2EEiiiiS1_IjLj3EES5_S5_S5_,comdat
.Lfunc_end55:
	.size	_ZL33flash_attn_stream_k_fixup_generalILi64ELi64ELi1EEvPfPK15HIP_vector_typeIfLj2EEiiiiS1_IjLj3EES5_S5_S5_, .Lfunc_end55-_ZL33flash_attn_stream_k_fixup_generalILi64ELi64ELi1EEvPfPK15HIP_vector_typeIfLj2EEiiiiS1_IjLj3EES5_S5_S5_
                                        ; -- End function
	.set _ZL33flash_attn_stream_k_fixup_generalILi64ELi64ELi1EEvPfPK15HIP_vector_typeIfLj2EEiiiiS1_IjLj3EES5_S5_S5_.num_vgpr, 17
	.set _ZL33flash_attn_stream_k_fixup_generalILi64ELi64ELi1EEvPfPK15HIP_vector_typeIfLj2EEiiiiS1_IjLj3EES5_S5_S5_.num_agpr, 0
	.set _ZL33flash_attn_stream_k_fixup_generalILi64ELi64ELi1EEvPfPK15HIP_vector_typeIfLj2EEiiiiS1_IjLj3EES5_S5_S5_.numbered_sgpr, 31
	.set _ZL33flash_attn_stream_k_fixup_generalILi64ELi64ELi1EEvPfPK15HIP_vector_typeIfLj2EEiiiiS1_IjLj3EES5_S5_S5_.num_named_barrier, 0
	.set _ZL33flash_attn_stream_k_fixup_generalILi64ELi64ELi1EEvPfPK15HIP_vector_typeIfLj2EEiiiiS1_IjLj3EES5_S5_S5_.private_seg_size, 0
	.set _ZL33flash_attn_stream_k_fixup_generalILi64ELi64ELi1EEvPfPK15HIP_vector_typeIfLj2EEiiiiS1_IjLj3EES5_S5_S5_.uses_vcc, 1
	.set _ZL33flash_attn_stream_k_fixup_generalILi64ELi64ELi1EEvPfPK15HIP_vector_typeIfLj2EEiiiiS1_IjLj3EES5_S5_S5_.uses_flat_scratch, 0
	.set _ZL33flash_attn_stream_k_fixup_generalILi64ELi64ELi1EEvPfPK15HIP_vector_typeIfLj2EEiiiiS1_IjLj3EES5_S5_S5_.has_dyn_sized_stack, 0
	.set _ZL33flash_attn_stream_k_fixup_generalILi64ELi64ELi1EEvPfPK15HIP_vector_typeIfLj2EEiiiiS1_IjLj3EES5_S5_S5_.has_recursion, 0
	.set _ZL33flash_attn_stream_k_fixup_generalILi64ELi64ELi1EEvPfPK15HIP_vector_typeIfLj2EEiiiiS1_IjLj3EES5_S5_S5_.has_indirect_call, 0
	.section	.AMDGPU.csdata,"",@progbits
; Kernel info:
; codeLenInByte = 2936
; TotalNumSgprs: 33
; NumVgprs: 17
; ScratchSize: 0
; MemoryBound: 0
; FloatMode: 240
; IeeeMode: 1
; LDSByteSize: 0 bytes/workgroup (compile time only)
; SGPRBlocks: 0
; VGPRBlocks: 2
; NumSGPRsForWavesPerEU: 33
; NumVGPRsForWavesPerEU: 17
; Occupancy: 16
; WaveLimiterHint : 0
; COMPUTE_PGM_RSRC2:SCRATCH_EN: 0
; COMPUTE_PGM_RSRC2:USER_SGPR: 6
; COMPUTE_PGM_RSRC2:TRAP_HANDLER: 0
; COMPUTE_PGM_RSRC2:TGID_X_EN: 1
; COMPUTE_PGM_RSRC2:TGID_Y_EN: 1
; COMPUTE_PGM_RSRC2:TGID_Z_EN: 1
; COMPUTE_PGM_RSRC2:TIDIG_COMP_CNT: 0
	.section	.text._ZL15flash_attn_tileILi64ELi64ELi32ELi1ELb0EEvPKcS1_S1_S1_S1_PKiPfP15HIP_vector_typeIfLj2EEffffjfiS5_IjLj3EEiiiiiiiiiiiliiliiiiil,"axG",@progbits,_ZL15flash_attn_tileILi64ELi64ELi32ELi1ELb0EEvPKcS1_S1_S1_S1_PKiPfP15HIP_vector_typeIfLj2EEffffjfiS5_IjLj3EEiiiiiiiiiiiliiliiiiil,comdat
	.globl	_ZL15flash_attn_tileILi64ELi64ELi32ELi1ELb0EEvPKcS1_S1_S1_S1_PKiPfP15HIP_vector_typeIfLj2EEffffjfiS5_IjLj3EEiiiiiiiiiiiliiliiiiil ; -- Begin function _ZL15flash_attn_tileILi64ELi64ELi32ELi1ELb0EEvPKcS1_S1_S1_S1_PKiPfP15HIP_vector_typeIfLj2EEffffjfiS5_IjLj3EEiiiiiiiiiiiliiliiiiil
	.p2align	8
	.type	_ZL15flash_attn_tileILi64ELi64ELi32ELi1ELb0EEvPKcS1_S1_S1_S1_PKiPfP15HIP_vector_typeIfLj2EEffffjfiS5_IjLj3EEiiiiiiiiiiiliiliiiiil,@function
_ZL15flash_attn_tileILi64ELi64ELi32ELi1ELb0EEvPKcS1_S1_S1_S1_PKiPfP15HIP_vector_typeIfLj2EEffffjfiS5_IjLj3EEiiiiiiiiiiiliiliiiiil: ; @_ZL15flash_attn_tileILi64ELi64ELi32ELi1ELb0EEvPKcS1_S1_S1_S1_PKiPfP15HIP_vector_typeIfLj2EEffffjfiS5_IjLj3EEiiiiiiiiiiiliiliiiiil
; %bb.0:
	s_add_u32 s6, s6, s11
	s_addc_u32 s7, s7, 0
	s_setreg_b32 hwreg(HW_REG_FLAT_SCR_LO), s6
	s_setreg_b32 hwreg(HW_REG_FLAT_SCR_HI), s7
	s_clause 0x1
	s_load_dwordx4 s[28:31], s[4:5], 0x5c
	s_load_dwordx2 s[48:49], s[4:5], 0x80
	s_add_u32 s0, s0, s11
	s_addc_u32 s1, s1, 0
	s_mov_b32 s34, s9
	s_load_dwordx2 s[50:51], s[4:5], 0xb8
	s_mov_b64 s[46:47], 0
	s_waitcnt lgkmcnt(0)
	v_cvt_f32_u32_e32 v2, s31
	s_sub_i32 s7, 0, s31
	v_rcp_iflag_f32_e32 v2, v2
	v_mul_f32_e32 v2, 0x4f7ffffe, v2
	v_cvt_u32_f32_e32 v2, v2
	v_readfirstlane_b32 s6, v2
	s_mul_i32 s7, s7, s6
	s_mul_hi_u32 s7, s6, s7
	s_add_i32 s6, s6, s7
	s_mul_hi_u32 s6, s10, s6
	s_mul_i32 s7, s6, s31
	s_add_i32 s9, s6, 1
	s_sub_i32 s7, s10, s7
	s_sub_i32 s11, s7, s31
	s_cmp_ge_u32 s7, s31
	s_cselect_b32 s6, s9, s6
	s_cselect_b32 s7, s11, s7
	s_add_i32 s9, s6, 1
	s_cmp_ge_u32 s7, s31
	s_cselect_b32 s33, s9, s6
	s_abs_i32 s6, s49
	s_abs_i32 s12, s31
	v_cvt_f32_u32_e32 v2, s6
	s_sub_i32 s9, 0, s6
	s_mul_i32 s11, s33, s31
	s_sub_i32 s44, s10, s11
	v_rcp_iflag_f32_e32 v2, v2
	v_mul_f32_e32 v2, 0x4f7ffffe, v2
	v_cvt_u32_f32_e32 v2, v2
	v_readfirstlane_b32 s7, v2
	s_mul_i32 s9, s9, s7
	s_mul_hi_u32 s9, s7, s9
	s_add_i32 s7, s7, s9
	s_xor_b32 s9, s31, s49
	s_mul_hi_u32 s7, s12, s7
	s_ashr_i32 s9, s9, 31
	s_mul_i32 s10, s7, s6
	s_add_i32 s11, s7, 1
	s_sub_i32 s10, s12, s10
	s_sub_i32 s12, s10, s6
	s_cmp_ge_u32 s10, s6
	s_cselect_b32 s7, s11, s7
	s_cselect_b32 s10, s12, s10
	s_add_i32 s11, s7, 1
	s_cmp_ge_u32 s10, s6
	s_load_dwordx16 s[12:27], s[4:5], 0x0
	s_cselect_b32 s6, s11, s7
	s_abs_i32 s49, s44
	s_xor_b32 s6, s6, s9
	s_sub_i32 s10, s6, s9
	s_abs_i32 s35, s10
	v_cvt_f32_u32_e32 v2, s35
	s_sub_i32 s7, 0, s35
	v_rcp_iflag_f32_e32 v2, v2
	v_mul_f32_e32 v2, 0x4f7ffffe, v2
	v_cvt_u32_f32_e32 v2, v2
	v_readfirstlane_b32 s6, v2
	s_mul_i32 s7, s7, s6
	s_mul_hi_u32 s7, s6, s7
	s_add_i32 s6, s6, s7
	s_waitcnt lgkmcnt(0)
	s_cmp_eq_u64 s[18:19], 0
	s_cbranch_scc1 .LBB56_2
; %bb.1:
	s_abs_i32 s7, s50
	s_abs_i32 s38, s33
	v_cvt_f32_u32_e32 v2, s7
	s_sub_i32 s11, 0, s7
	s_load_dwordx2 s[36:37], s[4:5], 0xc8
	v_rcp_iflag_f32_e32 v2, v2
	v_mul_f32_e32 v2, 0x4f7ffffe, v2
	v_cvt_u32_f32_e32 v2, v2
	v_readfirstlane_b32 s9, v2
	s_mul_i32 s11, s11, s9
	s_mul_hi_u32 s11, s9, s11
	s_add_i32 s9, s9, s11
	s_ashr_i32 s11, s33, 31
	s_mul_hi_u32 s9, s38, s9
	s_mul_i32 s9, s9, s7
	s_sub_i32 s9, s38, s9
	s_sub_i32 s38, s9, s7
	s_cmp_ge_u32 s9, s7
	s_cselect_b32 s9, s38, s9
	s_sub_i32 s38, s9, s7
	s_cmp_ge_u32 s9, s7
	s_cselect_b32 s7, s38, s9
	s_xor_b32 s7, s7, s11
	s_sub_i32 s7, s7, s11
	s_ashr_i32 s9, s7, 31
	s_waitcnt lgkmcnt(0)
	s_mul_hi_u32 s11, s36, s7
	s_mul_i32 s9, s36, s9
	s_add_i32 s9, s11, s9
	s_mul_i32 s11, s37, s7
	s_mul_i32 s7, s36, s7
	s_add_i32 s9, s9, s11
	s_add_u32 s46, s18, s7
	s_addc_u32 s47, s19, s9
.LBB56_2:
	s_clause 0x1
	s_load_dwordx4 s[36:39], s[4:5], 0x40
	s_load_dword s7, s[4:5], 0x50
	v_mov_b32_e32 v47, 1.0
	s_waitcnt lgkmcnt(0)
	v_cmp_le_f32_e64 s9, s37, 0
	s_mul_hi_u32 s37, s49, s6
	s_and_b32 vcc_lo, exec_lo, s9
	s_cbranch_vccnz .LBB56_4
; %bb.3:
	v_sub_co_u32 v3, vcc_lo, s44, s7
	v_mov_b32_e32 v2, s38
	s_add_i32 s6, s44, 1
	v_lshlrev_b32_e32 v3, 1, v3
	v_cndmask_b32_e32 v2, s39, v2, vcc_lo
	v_or_b32_e32 v3, 1, v3
	v_cndmask_b32_e64 v3, v3, s6, vcc_lo
	v_cmp_neq_f32_e32 vcc_lo, 1.0, v2
	s_mov_b32 s6, 0x3e76c4e1
	v_cvt_f32_i32_e32 v3, v3
	v_cndmask_b32_e32 v4, 1.0, v3, vcc_lo
	v_cmp_neq_f32_e32 vcc_lo, 0, v4
	v_cndmask_b32_e32 v5, 1.0, v2, vcc_lo
	v_frexp_mant_f32_e64 v2, |v5|
	v_cmp_eq_f32_e64 s9, 0, v5
	v_cmp_gt_f32_e32 vcc_lo, 0x3f2aaaab, v2
	v_cndmask_b32_e64 v3, 1.0, 2.0, vcc_lo
	v_mul_f32_e32 v2, v2, v3
	v_add_f32_e32 v3, 1.0, v2
	v_add_f32_e32 v7, -1.0, v2
	v_rcp_f32_e32 v6, v3
	v_add_f32_e32 v9, -1.0, v3
	v_sub_f32_e32 v2, v2, v9
	v_mul_f32_e32 v8, v7, v6
	v_mul_f32_e32 v10, v3, v8
	v_fma_f32 v3, v8, v3, -v10
	v_fmac_f32_e32 v3, v8, v2
	v_add_f32_e32 v2, v10, v3
	v_sub_f32_e32 v9, v7, v2
	v_sub_f32_e32 v10, v2, v10
	;; [unrolled: 1-line block ×5, first 2 shown]
	v_add_f32_e32 v2, v3, v2
	v_add_f32_e32 v2, v9, v2
	v_mul_f32_e32 v2, v6, v2
	v_add_f32_e32 v6, v8, v2
	v_sub_f32_e32 v3, v6, v8
	v_mul_f32_e32 v7, v6, v6
	v_sub_f32_e32 v8, v2, v3
	v_fma_f32 v2, v6, v6, -v7
	v_add_f32_e32 v3, v8, v8
	v_fmac_f32_e32 v2, v6, v3
	v_add_f32_e32 v9, v7, v2
	v_fmaak_f32 v3, s6, v9, 0x3e91f4c4
	v_sub_f32_e32 v7, v9, v7
	v_mul_f32_e32 v14, v6, v9
	v_fmaak_f32 v3, v9, v3, 0x3ecccdef
	v_sub_f32_e32 v7, v2, v7
	v_fma_f32 v15, v9, v6, -v14
	v_mul_f32_e32 v10, v9, v3
	v_fmac_f32_e32 v15, v9, v8
	v_ldexp_f32 v8, v8, 1
	v_fma_f32 v11, v9, v3, -v10
	v_fmac_f32_e32 v15, v7, v6
	v_fmac_f32_e32 v11, v7, v3
	v_cvt_f64_f32_e64 v[2:3], |v5|
	v_add_f32_e32 v12, v10, v11
	v_sub_f32_e32 v10, v12, v10
	v_add_f32_e32 v13, 0x3f2aaaaa, v12
	v_sub_f32_e32 v10, v11, v10
	v_add_f32_e32 v11, 0xbf2aaaaa, v13
	v_add_f32_e32 v10, 0x31739010, v10
	v_sub_f32_e32 v11, v12, v11
	v_frexp_exp_i32_f64_e32 v2, v[2:3]
	v_add_f32_e32 v9, v10, v11
	v_add_f32_e32 v10, v14, v15
	;; [unrolled: 1-line block ×3, first 2 shown]
	v_sub_f32_e32 v12, v10, v14
	v_sub_f32_e32 v3, v13, v7
	v_mul_f32_e32 v11, v10, v7
	v_sub_f32_e32 v12, v15, v12
	v_add_f32_e32 v3, v9, v3
	v_fma_f32 v9, v10, v7, -v11
	v_subrev_co_ci_u32_e64 v2, null, 0, v2, vcc_lo
	v_fmac_f32_e32 v9, v10, v3
	v_ldexp_f32 v3, v6, 1
	v_cvt_f32_i32_e32 v2, v2
	v_fmac_f32_e32 v9, v12, v7
	v_add_f32_e32 v6, v11, v9
	v_add_f32_e32 v7, v3, v6
	v_sub_f32_e32 v10, v6, v11
	v_mul_f32_e32 v11, 0x3f317218, v2
	v_sub_f32_e32 v3, v7, v3
	v_sub_f32_e32 v9, v9, v10
	v_fma_f32 v10, 0x3f317218, v2, -v11
	v_sub_f32_e32 v3, v6, v3
	v_add_f32_e32 v6, v8, v9
	v_fmamk_f32 v2, v2, 0xb102e308, v10
	v_add_f32_e32 v3, v6, v3
	v_add_f32_e32 v6, v11, v2
	;; [unrolled: 1-line block ×3, first 2 shown]
	v_sub_f32_e32 v11, v6, v11
	v_add_f32_e32 v9, v6, v8
	v_sub_f32_e32 v7, v8, v7
	v_sub_f32_e32 v2, v2, v11
	;; [unrolled: 1-line block ×6, first 2 shown]
	v_add_f32_e32 v8, v2, v3
	v_sub_f32_e32 v6, v6, v12
	v_add_f32_e32 v6, v7, v6
	v_sub_f32_e32 v7, v8, v2
	;; [unrolled: 2-line block ×3, first 2 shown]
	v_sub_f32_e32 v3, v3, v7
	v_add_f32_e32 v10, v9, v6
	v_sub_f32_e32 v2, v2, v8
	v_sub_f32_e32 v7, v10, v9
	v_add_f32_e32 v2, v3, v2
	v_sub_f32_e32 v3, v6, v7
	v_add_f32_e32 v2, v2, v3
	v_add_f32_e32 v3, v10, v2
	v_sub_f32_e32 v6, v3, v10
	v_mul_f32_e32 v7, v4, v3
	v_sub_f32_e32 v2, v2, v6
	v_fma_f32 v3, v4, v3, -v7
	v_cmp_class_f32_e64 vcc_lo, v7, 0x204
	v_fmac_f32_e32 v3, v4, v2
	v_add_f32_e32 v2, v7, v3
	v_cndmask_b32_e32 v6, v2, v7, vcc_lo
	v_sub_f32_e32 v2, v2, v7
	v_cmp_eq_f32_e32 vcc_lo, 0x42b17218, v6
	v_sub_f32_e32 v2, v3, v2
	v_cndmask_b32_e64 v8, 0, 0x37000000, vcc_lo
	v_cmp_neq_f32_e64 vcc_lo, 0x7f800000, |v6|
	v_sub_f32_e32 v9, v6, v8
	v_cndmask_b32_e32 v2, 0, v2, vcc_lo
	v_trunc_f32_e32 v6, v4
	v_mul_f32_e32 v10, 0x3fb8aa3b, v9
	v_cmp_ngt_f32_e32 vcc_lo, 0xc2ce8ed0, v9
	v_add_f32_e32 v2, v8, v2
	v_fma_f32 v11, 0x3fb8aa3b, v9, -v10
	v_rndne_f32_e32 v12, v10
	v_fmamk_f32 v11, v9, 0x32a5705f, v11
	v_sub_f32_e32 v10, v10, v12
	v_cvt_i32_f32_e32 v7, v12
	v_add_f32_e32 v10, v10, v11
	v_exp_f32_e32 v10, v10
	v_ldexp_f32 v3, v10, v7
	v_mul_f32_e32 v7, 0.5, v4
	v_cndmask_b32_e32 v3, 0, v3, vcc_lo
	v_cmp_nlt_f32_e32 vcc_lo, 0x42b17218, v9
	v_trunc_f32_e32 v10, v7
	v_cndmask_b32_e32 v3, 0x7f800000, v3, vcc_lo
	v_cmp_eq_f32_e32 vcc_lo, v6, v4
	v_cmp_neq_f32_e64 s6, v10, v7
	v_fma_f32 v2, v3, v2, v3
	v_cmp_class_f32_e64 s7, v3, 0x204
	s_and_b32 s6, vcc_lo, s6
	v_cndmask_b32_e64 v6, 1.0, v5, s6
	v_cndmask_b32_e64 v2, v2, v3, s7
	v_cmp_gt_f32_e64 s7, 0, v4
	v_bfi_b32 v2, 0x7fffffff, v2, v6
	s_xor_b32 s7, s7, s9
	v_cndmask_b32_e64 v6, 0, v5, s6
	v_cndmask_b32_e64 v3, 0x7f800000, 0, s7
	v_cmp_class_f32_e64 s6, v5, 0x204
	v_cndmask_b32_e32 v4, 0x7fc00000, v2, vcc_lo
	v_cmp_gt_f32_e32 vcc_lo, 0, v5
	v_bfi_b32 v3, 0x7fffffff, v3, v6
	v_cndmask_b32_e32 v2, v2, v4, vcc_lo
	s_or_b32 vcc_lo, s9, s6
	v_cndmask_b32_e32 v2, v2, v3, vcc_lo
	v_cmp_o_f32_e32 vcc_lo, v5, v5
	v_cndmask_b32_e32 v47, 0x7fc00000, v2, vcc_lo
.LBB56_4:
	v_lshlrev_b32_e32 v40, 3, v1
	s_lshl_b32 s18, s8, 5
	s_load_dwordx4 s[40:43], s[4:5], 0x70
	s_ashr_i32 s45, s44, 31
	s_ashr_i32 s38, s10, 31
	v_or_b32_e32 v38, 1, v40
	v_add_nc_u32_e32 v42, s18, v40
	v_or_b32_e32 v37, 2, v40
	v_or_b32_e32 v34, 3, v40
	;; [unrolled: 1-line block ×3, first 2 shown]
	v_add_nc_u32_e32 v41, s18, v38
	v_mul_hi_u32 v2, v42, s28
	v_add_nc_u32_e32 v39, s18, v37
	v_add_nc_u32_e32 v36, s18, v34
	;; [unrolled: 1-line block ×3, first 2 shown]
	v_mul_hi_u32 v3, v41, s28
	v_or_b32_e32 v31, 5, v40
	v_mul_hi_u32 v4, v39, s28
	v_mul_hi_u32 v5, v36, s28
	v_add_nc_u32_e32 v2, v42, v2
	v_or_b32_e32 v29, 6, v40
	v_mul_hi_u32 v14, v35, s28
	s_waitcnt lgkmcnt(0)
	s_mul_i32 s6, s33, s42
	v_add_nc_u32_e32 v3, v41, v3
	v_lshrrev_b32_e32 v2, s29, v2
	v_add_nc_u32_e32 v4, v39, v4
	s_mul_i32 s7, s44, s41
	s_ashr_i32 s9, s6, 31
	v_lshrrev_b32_e32 v3, s29, v3
	v_mul_lo_u32 v2, v2, s30
	v_lshrrev_b32_e32 v4, s29, v4
	s_add_u32 s6, s12, s6
	s_addc_u32 s9, s13, s9
	v_mul_lo_u32 v6, v3, s30
	s_ashr_i32 s10, s7, 31
	v_mul_lo_u32 v4, v4, s30
	s_add_u32 s11, s6, s7
	v_sub_nc_u32_e32 v61, v42, v2
	s_addc_u32 s9, s9, s10
	s_ashr_i32 s41, s40, 31
	v_lshlrev_b32_e32 v11, 3, v0
	v_sub_nc_u32_e32 v10, v41, v6
	s_lshr_b64 s[6:7], s[40:41], 2
	v_add_nc_u32_e32 v6, v36, v5
	v_mad_u64_u32 v[2:3], null, s6, v61, 0
	v_sub_nc_u32_e32 v12, v39, v4
	v_mad_u64_u32 v[4:5], null, s6, v10, 0
	v_lshrrev_b32_e32 v13, s29, v6
	s_lshr_b32 s7, s41, 2
	v_mad_u64_u32 v[6:7], null, s6, v12, 0
	v_add_nc_u32_e32 v33, s18, v31
	v_mul_lo_u32 v13, v13, s30
	v_mad_u64_u32 v[8:9], null, s7, v61, v[3:4]
	v_mov_b32_e32 v3, v5
	v_add_nc_u32_e32 v30, s18, v29
	v_add_co_u32 v20, s10, s11, v11
	v_add_nc_u32_e32 v11, v35, v14
	v_mad_u64_u32 v[9:10], null, s7, v10, v[3:4]
	v_or_b32_e32 v27, 7, v40
	v_mov_b32_e32 v3, v8
	v_mad_u64_u32 v[7:8], null, s7, v12, v[7:8]
	v_sub_nc_u32_e32 v10, v36, v13
	v_mul_hi_u32 v12, v33, s28
	v_mul_hi_u32 v13, v30, s28
	v_lshrrev_b32_e32 v11, s29, v11
	v_add_nc_u32_e32 v28, s18, v27
	v_mov_b32_e32 v5, v9
	v_mad_u64_u32 v[8:9], null, s6, v10, 0
	v_mul_lo_u32 v11, v11, s30
	v_add_nc_u32_e32 v12, v33, v12
	v_add_nc_u32_e32 v13, v30, v13
	v_mul_hi_u32 v15, v28, s28
	v_lshlrev_b64 v[2:3], 2, v[2:3]
	v_lshlrev_b64 v[4:5], 2, v[4:5]
	v_lshrrev_b32_e32 v12, s29, v12
	v_lshrrev_b32_e32 v13, s29, v13
	v_sub_nc_u32_e32 v14, v35, v11
	v_mad_u64_u32 v[9:10], null, s7, v10, v[9:10]
	v_add_nc_u32_e32 v15, v28, v15
	v_mul_lo_u32 v12, v12, s30
	v_mul_lo_u32 v13, v13, s30
	v_mad_u64_u32 v[10:11], null, s6, v14, 0
	v_lshrrev_b32_e32 v17, s29, v15
	v_add_co_ci_u32_e64 v21, null, s9, 0, s10
	v_lshlrev_b64 v[6:7], 2, v[6:7]
	v_sub_nc_u32_e32 v16, v33, v12
	v_sub_nc_u32_e32 v19, v30, v13
	v_mul_lo_u32 v17, v17, s30
	v_mad_u64_u32 v[11:12], null, s7, v14, v[11:12]
	v_mad_u64_u32 v[12:13], null, s6, v16, 0
	;; [unrolled: 1-line block ×3, first 2 shown]
	v_add_co_u32 v2, vcc_lo, v20, v2
	v_sub_nc_u32_e32 v22, v28, v17
	v_lshlrev_b64 v[8:9], 2, v[8:9]
	v_add_co_ci_u32_e64 v3, null, v21, v3, vcc_lo
	v_mad_u64_u32 v[16:17], null, s7, v16, v[13:14]
	v_mad_u64_u32 v[17:18], null, s6, v22, 0
	v_add_co_u32 v4, vcc_lo, v20, v4
	v_lshlrev_b64 v[10:11], 2, v[10:11]
	v_add_co_ci_u32_e64 v5, null, v21, v5, vcc_lo
	v_mov_b32_e32 v13, v16
	v_mad_u64_u32 v[15:16], null, s7, v19, v[15:16]
	v_mov_b32_e32 v16, v18
	v_add_co_u32 v6, vcc_lo, v20, v6
	v_lshlrev_b64 v[12:13], 2, v[12:13]
	v_add_co_ci_u32_e64 v7, null, v21, v7, vcc_lo
	v_mad_u64_u32 v[18:19], null, s7, v22, v[16:17]
	v_add_co_u32 v8, vcc_lo, v20, v8
	v_lshlrev_b64 v[14:15], 2, v[14:15]
	v_add_co_ci_u32_e64 v9, null, v21, v9, vcc_lo
	v_add_co_u32 v10, vcc_lo, v20, v10
	v_lshlrev_b64 v[16:17], 2, v[17:18]
	v_add_co_ci_u32_e64 v11, null, v21, v11, vcc_lo
	v_add_co_u32 v12, vcc_lo, v20, v12
	v_add_co_ci_u32_e64 v13, null, v21, v13, vcc_lo
	v_add_co_u32 v14, vcc_lo, v20, v14
	s_clause 0x4
	global_load_dwordx2 v[2:3], v[2:3], off
	global_load_dwordx2 v[4:5], v[4:5], off
	;; [unrolled: 1-line block ×5, first 2 shown]
	v_add_co_ci_u32_e64 v15, null, v21, v15, vcc_lo
	v_add_co_u32 v16, vcc_lo, v20, v16
	v_add_co_ci_u32_e64 v17, null, v21, v17, vcc_lo
	s_clause 0x2
	global_load_dwordx2 v[12:13], v[12:13], off
	global_load_dwordx2 v[14:15], v[14:15], off
	;; [unrolled: 1-line block ×3, first 2 shown]
	v_lshl_or_b32 v18, v0, 2, 0x3400
	v_lshlrev_b32_e32 v44, 10, v1
	v_mov_b32_e32 v66, 0
	s_mov_b32 s7, 0
	s_cmp_eq_u64 s[22:23], 0
	v_lshl_add_u32 v20, v38, 7, v18
	v_add_nc_u32_e32 v19, v18, v44
	v_lshl_add_u32 v21, v37, 7, v18
	v_lshl_add_u32 v22, v34, 7, v18
	;; [unrolled: 1-line block ×6, first 2 shown]
	s_waitcnt vmcnt(7)
	v_fma_mixlo_f16 v3, s36, v3, 0
	v_fma_mixlo_f16 v2, s36, v2, 0
	s_waitcnt vmcnt(6)
	v_fma_mixlo_f16 v5, s36, v5, 0
	s_waitcnt vmcnt(5)
	;; [unrolled: 2-line block ×3, first 2 shown]
	v_fma_mixlo_f16 v9, s36, v9, 0
	v_lshlrev_b32_e32 v3, 16, v3
	s_waitcnt vmcnt(3)
	v_fma_mixlo_f16 v11, s36, v11, 0
	v_fma_mixlo_f16 v4, s36, v4, 0
	;; [unrolled: 1-line block ×4, first 2 shown]
	s_waitcnt vmcnt(2)
	v_fma_mixlo_f16 v13, s36, v13, 0
	s_waitcnt vmcnt(1)
	v_fma_mixlo_f16 v15, s36, v15, 0
	;; [unrolled: 2-line block ×3, first 2 shown]
	v_or_b32_sdwa v2, v3, v2 dst_sel:DWORD dst_unused:UNUSED_PAD src0_sel:DWORD src1_sel:WORD_0
	v_lshlrev_b32_e32 v3, 16, v5
	v_lshlrev_b32_e32 v5, 16, v7
	;; [unrolled: 1-line block ×3, first 2 shown]
	v_fma_mixlo_f16 v10, s36, v10, 0
	v_lshlrev_b32_e32 v9, 16, v11
	v_fma_mixlo_f16 v12, s36, v12, 0
	v_lshlrev_b32_e32 v11, 16, v13
	v_fma_mixlo_f16 v14, s36, v14, 0
	v_fma_mixlo_f16 v16, s36, v16, 0
	v_lshlrev_b32_e32 v13, 16, v15
	v_lshlrev_b32_e32 v15, 16, v17
	ds_write_b32 v19, v2
	v_or_b32_sdwa v2, v3, v4 dst_sel:DWORD dst_unused:UNUSED_PAD src0_sel:DWORD src1_sel:WORD_0
	v_or_b32_sdwa v3, v5, v6 dst_sel:DWORD dst_unused:UNUSED_PAD src0_sel:DWORD src1_sel:WORD_0
	;; [unrolled: 1-line block ×7, first 2 shown]
	ds_write_b32 v20, v2
	ds_write_b32 v21, v3
	;; [unrolled: 1-line block ×7, first 2 shown]
	s_waitcnt lgkmcnt(0)
	s_barrier
	buffer_gl0_inv
	s_cbranch_scc1 .LBB56_6
; %bb.5:
	s_load_dword s6, s[4:5], 0xd0
	s_waitcnt lgkmcnt(0)
	s_mul_i32 s6, s6, s33
	s_add_i32 s6, s6, s8
	s_lshl_b64 s[6:7], s[6:7], 2
	s_add_u32 s6, s22, s6
	s_addc_u32 s7, s23, s7
	s_load_dword s48, s[6:7], 0x0
.LBB56_6:
	s_clause 0x2
	s_load_dwordx2 s[6:7], s[4:5], 0x8c
	s_load_dwordx4 s[8:11], s[4:5], 0x98
	s_load_dwordx2 s[40:41], s[4:5], 0xa8
	s_ashr_i32 s12, s33, 31
	s_ashr_i32 s19, s51, 1
	s_mul_i32 s23, s37, s35
	v_lshrrev_b32_e32 v74, 3, v0
	v_lshlrev_b32_e32 v45, 2, v0
	v_mul_u32_u24_e32 v65, 0x90, v0
	v_or_b32_e32 v62, 1, v42
	v_or_b32_e32 v60, 2, v42
	;; [unrolled: 1-line block ×7, first 2 shown]
	v_add_nc_u32_e32 v48, 0x2400, v44
	v_mbcnt_lo_u32_b32 v43, -1, 0
	s_waitcnt lgkmcnt(0)
	s_ashr_i32 s22, s6, 2
	s_ashr_i32 s13, s10, 2
	s_mul_hi_u32 s6, s8, s33
	s_mul_i32 s10, s8, s12
	s_mul_i32 s9, s9, s33
	s_add_i32 s6, s6, s10
	s_mul_i32 s8, s8, s33
	s_add_i32 s6, s6, s9
	s_add_u32 s8, s14, s8
	s_addc_u32 s6, s15, s6
	s_sub_i32 s10, s49, s23
	s_xor_b32 s9, s45, s38
	s_add_i32 s14, s37, 1
	s_sub_i32 s15, s10, s35
	s_cmp_ge_u32 s10, s35
	s_mul_i32 s12, s40, s12
	s_cselect_b32 s14, s14, s37
	s_cselect_b32 s10, s15, s10
	s_add_i32 s15, s14, 1
	s_cmp_ge_u32 s10, s35
	s_mul_i32 s23, s40, s33
	s_cselect_b32 s10, s15, s14
	s_mul_hi_u32 s14, s40, s33
	s_xor_b32 s10, s10, s9
	s_mul_i32 s15, s41, s33
	s_sub_i32 s10, s10, s9
	s_mul_i32 s7, s10, s7
	s_mul_i32 s10, s10, s11
	s_ashr_i32 s9, s7, 31
	s_add_u32 s8, s8, s7
	s_addc_u32 s9, s6, s9
	s_add_i32 s6, s14, s12
	s_add_i32 s6, s6, s15
	s_add_u32 s7, s16, s23
	s_addc_u32 s6, s17, s6
	s_ashr_i32 s11, s10, 31
	s_add_u32 s14, s7, s10
	s_addc_u32 s15, s6, s11
	s_lshl_b32 s12, s34, 6
	s_sub_i32 s10, s48, 64
	s_cmp_ge_i32 s12, s10
	s_cbranch_scc1 .LBB56_43
; %bb.7:
	v_mul_hi_u32 v3, s28, v62
	v_mul_hi_u32 v5, s28, v60
	v_mul_hi_u32 v6, s28, v58
	v_mul_hi_u32 v15, s28, v56
	v_mul_hi_u32 v18, s28, v53
	v_lshl_add_u32 v11, v1, 2, v74
	v_mul_hi_u32 v17, s28, v55
	v_mul_hi_u32 v19, s28, v52
	v_add_nc_u32_e32 v7, v62, v3
	v_add_nc_u32_e32 v5, v60, v5
	;; [unrolled: 1-line block ×4, first 2 shown]
	v_mul_lo_u32 v2, s22, v11
	v_lshrrev_b32_e32 v7, s29, v7
	v_lshrrev_b32_e32 v12, s29, v5
	;; [unrolled: 1-line block ×4, first 2 shown]
	s_lshl_b32 s6, s22, 4
	v_mul_lo_u32 v14, v7, s30
	v_mul_lo_u32 v12, v12, s30
	;; [unrolled: 1-line block ×4, first 2 shown]
	v_add_nc_u32_e32 v4, s6, v2
	v_add_nc_u32_e32 v17, v55, v17
	s_cmp_lg_u64 s[46:47], 0
	v_and_b32_e32 v16, 28, v45
	v_sub_nc_u32_e32 v14, v62, v14
	v_sub_nc_u32_e32 v12, v60, v12
	v_add_nc_u32_e32 v6, s6, v4
	v_lshrrev_b32_e32 v17, s29, v17
	s_cselect_b32 s11, -1, 0
	v_mul_lo_u32 v80, v14, s19
	v_add_nc_u32_e32 v14, v53, v18
	v_add_nc_u32_e32 v18, v52, v19
	v_sub_nc_u32_e32 v19, v58, v10
	v_mul_lo_u32 v10, s13, v11
	v_mul_lo_u32 v81, v12, s19
	v_lshrrev_b32_e32 v14, s29, v14
	v_sub_nc_u32_e32 v12, v56, v15
	v_add_nc_u32_e32 v8, s6, v6
	s_lshl_b32 s6, s13, 4
	v_lshrrev_b32_e32 v18, s29, v18
	v_mul_lo_u32 v14, v14, s30
	v_mul_lo_u32 v83, v12, s19
	v_add_nc_u32_e32 v12, s6, v10
	v_mul_lo_u32 v17, v17, s30
	v_mul_lo_u32 v18, v18, s30
	v_lshlrev_b32_e32 v13, 2, v16
	v_ashrrev_i32_e32 v3, 31, v2
	v_ashrrev_i32_e32 v5, 31, v4
	v_sub_nc_u32_e32 v14, v53, v14
	v_ashrrev_i32_e32 v7, 31, v6
	v_mad_u32_u24 v75, 0x90, v11, v13
	v_sub_nc_u32_e32 v15, v55, v17
	v_sub_nc_u32_e32 v17, v52, v18
	v_mul_lo_u32 v85, v14, s19
	v_add_nc_u32_e32 v14, s6, v12
	v_ashrrev_i32_e32 v9, 31, v8
	v_mul_lo_u32 v82, v19, s19
	v_mul_lo_u32 v84, v15, s19
	v_lshl_or_b32 v86, v11, 7, v13
	v_add_nc_u32_e32 v25, s6, v14
	v_lshlrev_b32_e32 v19, 4, v0
	v_ashrrev_i32_e32 v11, 31, v10
	v_ashrrev_i32_e32 v13, 31, v12
	;; [unrolled: 1-line block ×4, first 2 shown]
	v_mul_lo_u32 v79, v61, s19
	v_mul_lo_u32 v87, v17, s19
	v_lshlrev_b64 v[2:3], 2, v[2:3]
	v_lshlrev_b64 v[4:5], 2, v[4:5]
	;; [unrolled: 1-line block ×4, first 2 shown]
	v_add_nc_u32_e32 v92, v48, v19
	v_lshlrev_b64 v[19:20], 2, v[10:11]
	v_lshlrev_b64 v[21:22], 2, v[12:13]
	;; [unrolled: 1-line block ×4, first 2 shown]
	v_mov_b32_e32 v49, 0
	v_add_nc_u32_e32 v46, 0x3400, v44
	v_add_nc_u32_e32 v76, 0x900, v75
	;; [unrolled: 1-line block ×7, first 2 shown]
	v_mov_b32_e32 v108, 0xfeffffff
	v_lshlrev_b32_e32 v91, 2, v16
	v_mbcnt_lo_u32_b32 v93, -1, 0
	v_mov_b32_e32 v94, 0x10001
	v_mov_b32_e32 v50, 0
	;; [unrolled: 1-line block ×23, first 2 shown]
	s_add_u32 s6, s4, 0xd0
	s_addc_u32 s7, s5, 0
.LBB56_8:                               ; =>This Inner Loop Header: Depth=1
	s_mul_hi_i32 s17, s12, s22
	s_mul_i32 s16, s12, s22
	v_mov_b32_e32 v73, 0
	s_lshl_b64 s[16:17], s[16:17], 2
	v_mov_b32_e32 v70, 0
	s_add_u32 s16, s8, s16
	s_addc_u32 s17, s9, s17
	v_add_co_u32 v8, vcc_lo, s16, v2
	v_add_co_ci_u32_e64 v9, null, s17, v3, vcc_lo
	v_add_co_u32 v10, vcc_lo, s16, v4
	v_add_co_ci_u32_e64 v11, null, s17, v5, vcc_lo
	;; [unrolled: 2-line block ×8, first 2 shown]
	s_clause 0x3
	global_load_dwordx4 v[8:11], v[8:9], off
	global_load_dwordx4 v[110:113], v[12:13], off
	;; [unrolled: 1-line block ×4, first 2 shown]
	v_mov_b32_e32 v68, 0
	v_mov_b32_e32 v66, 0
	v_mov_b32_e32 v14, 0
	v_mov_b32_e32 v13, 0
	v_mov_b32_e32 v72, 0
	v_mov_b32_e32 v71, 0
	v_mov_b32_e32 v69, 0
	v_mov_b32_e32 v67, 0
	v_mov_b32_e32 v15, 0
	v_mov_b32_e32 v12, 0
	s_andn2_b32 vcc_lo, exec_lo, s11
	s_waitcnt vmcnt(3)
	ds_write_b128 v75, v[8:11]
	s_waitcnt vmcnt(2)
	ds_write_b128 v76, v[110:113]
	;; [unrolled: 2-line block ×4, first 2 shown]
	s_waitcnt lgkmcnt(0)
	s_barrier
	buffer_gl0_inv
	ds_read_b128 v[112:115], v65
	ds_read_b128 v[116:119], v46
	ds_read_b128 v[120:123], v46 offset:128
	ds_read_b128 v[124:127], v46 offset:256
	;; [unrolled: 1-line block ×8, first 2 shown]
	s_waitcnt lgkmcnt(8)
	;;#ASMSTART
	v_dot2_f32_f16 v73, v112, v116, v73
	;;#ASMEND
	;;#ASMSTART
	v_dot2_f32_f16 v73, v113, v117, v73
	;;#ASMEND
	;;#ASMSTART
	v_dot2_f32_f16 v73, v114, v118, v73
	;;#ASMEND
	;;#ASMSTART
	v_dot2_f32_f16 v73, v115, v119, v73
	;;#ASMEND
	s_waitcnt lgkmcnt(7)
	;;#ASMSTART
	v_dot2_f32_f16 v70, v112, v120, v70
	;;#ASMEND
	;;#ASMSTART
	v_dot2_f32_f16 v70, v113, v121, v70
	;;#ASMEND
	;;#ASMSTART
	v_dot2_f32_f16 v70, v114, v122, v70
	;;#ASMEND
	;;#ASMSTART
	v_dot2_f32_f16 v70, v115, v123, v70
	;;#ASMEND
	;; [unrolled: 13-line block ×5, first 2 shown]
	s_waitcnt lgkmcnt(2)
	;;#ASMSTART
	v_dot2_f32_f16 v13, v112, v140, v13
	;;#ASMEND
	;;#ASMSTART
	v_dot2_f32_f16 v13, v113, v141, v13
	;;#ASMEND
	v_mov_b32_e32 v11, 0
	;;#ASMSTART
	v_dot2_f32_f16 v13, v114, v142, v13
	;;#ASMEND
	;;#ASMSTART
	v_dot2_f32_f16 v13, v115, v143, v13
	;;#ASMEND
	s_waitcnt lgkmcnt(1)
	;;#ASMSTART
	v_dot2_f32_f16 v11, v112, v144, v11
	;;#ASMEND
	;;#ASMSTART
	v_dot2_f32_f16 v11, v113, v145, v11
	;;#ASMEND
	v_mov_b32_e32 v10, 0
	;;#ASMSTART
	v_dot2_f32_f16 v11, v114, v146, v11
	;;#ASMEND
	;;#ASMSTART
	v_dot2_f32_f16 v11, v115, v147, v11
	;;#ASMEND
	s_waitcnt lgkmcnt(0)
	;;#ASMSTART
	v_dot2_f32_f16 v10, v112, v148, v10
	;;#ASMEND
	;;#ASMSTART
	v_dot2_f32_f16 v10, v113, v149, v10
	;;#ASMEND
	v_mov_b32_e32 v111, 0
	;;#ASMSTART
	v_dot2_f32_f16 v10, v114, v150, v10
	;;#ASMEND
	;;#ASMSTART
	v_dot2_f32_f16 v10, v115, v151, v10
	;;#ASMEND
	;;#ASMSTART
	v_dot2_f32_f16 v111, v132, v116, v111
	;;#ASMEND
	;;#ASMSTART
	v_dot2_f32_f16 v111, v133, v117, v111
	;;#ASMEND
	v_mov_b32_e32 v110, 0
	;;#ASMSTART
	v_dot2_f32_f16 v111, v134, v118, v111
	;;#ASMEND
	;;#ASMSTART
	v_dot2_f32_f16 v111, v135, v119, v111
	;;#ASMEND
	;; [unrolled: 3-line block ×30, first 2 shown]
	ds_read_b128 v[112:115], v65 offset:16
	ds_read_b128 v[116:119], v46 offset:16
	;; [unrolled: 1-line block ×10, first 2 shown]
	s_waitcnt lgkmcnt(8)
	;;#ASMSTART
	v_dot2_f32_f16 v73, v112, v116, v73
	;;#ASMEND
	;;#ASMSTART
	v_dot2_f32_f16 v73, v113, v117, v73
	;;#ASMEND
	;;#ASMSTART
	v_dot2_f32_f16 v73, v114, v118, v73
	;;#ASMEND
	;;#ASMSTART
	v_dot2_f32_f16 v73, v115, v119, v73
	;;#ASMEND
	s_waitcnt lgkmcnt(7)
	;;#ASMSTART
	v_dot2_f32_f16 v70, v112, v120, v70
	;;#ASMEND
	;;#ASMSTART
	v_dot2_f32_f16 v70, v113, v121, v70
	;;#ASMEND
	;;#ASMSTART
	v_dot2_f32_f16 v70, v114, v122, v70
	;;#ASMEND
	;;#ASMSTART
	v_dot2_f32_f16 v70, v115, v123, v70
	;;#ASMEND
	;; [unrolled: 13-line block ×8, first 2 shown]
	;;#ASMSTART
	v_dot2_f32_f16 v111, v132, v116, v111
	;;#ASMEND
	;;#ASMSTART
	v_dot2_f32_f16 v111, v133, v117, v111
	;;#ASMEND
	;; [unrolled: 3-line block ×32, first 2 shown]
	ds_read_b128 v[112:115], v65 offset:32
	ds_read_b128 v[116:119], v46 offset:32
	;; [unrolled: 1-line block ×10, first 2 shown]
	s_waitcnt lgkmcnt(8)
	;;#ASMSTART
	v_dot2_f32_f16 v73, v112, v116, v73
	;;#ASMEND
	;;#ASMSTART
	v_dot2_f32_f16 v73, v113, v117, v73
	;;#ASMEND
	;;#ASMSTART
	v_dot2_f32_f16 v73, v114, v118, v73
	;;#ASMEND
	;;#ASMSTART
	v_dot2_f32_f16 v73, v115, v119, v73
	;;#ASMEND
	s_waitcnt lgkmcnt(7)
	;;#ASMSTART
	v_dot2_f32_f16 v70, v112, v120, v70
	;;#ASMEND
	;;#ASMSTART
	v_dot2_f32_f16 v70, v113, v121, v70
	;;#ASMEND
	;;#ASMSTART
	v_dot2_f32_f16 v70, v114, v122, v70
	;;#ASMEND
	;;#ASMSTART
	v_dot2_f32_f16 v70, v115, v123, v70
	;;#ASMEND
	;; [unrolled: 13-line block ×8, first 2 shown]
	;;#ASMSTART
	v_dot2_f32_f16 v111, v132, v116, v111
	;;#ASMEND
	;;#ASMSTART
	v_dot2_f32_f16 v111, v133, v117, v111
	;;#ASMEND
	;; [unrolled: 3-line block ×32, first 2 shown]
	ds_read_b128 v[112:115], v65 offset:48
	ds_read_b128 v[116:119], v46 offset:48
	;; [unrolled: 1-line block ×10, first 2 shown]
	s_waitcnt lgkmcnt(8)
	;;#ASMSTART
	v_dot2_f32_f16 v73, v112, v116, v73
	;;#ASMEND
	;;#ASMSTART
	v_dot2_f32_f16 v73, v113, v117, v73
	;;#ASMEND
	;;#ASMSTART
	v_dot2_f32_f16 v73, v114, v118, v73
	;;#ASMEND
	;;#ASMSTART
	v_dot2_f32_f16 v73, v115, v119, v73
	;;#ASMEND
	s_waitcnt lgkmcnt(7)
	;;#ASMSTART
	v_dot2_f32_f16 v70, v112, v120, v70
	;;#ASMEND
	;;#ASMSTART
	v_dot2_f32_f16 v70, v113, v121, v70
	;;#ASMEND
	;;#ASMSTART
	v_dot2_f32_f16 v70, v114, v122, v70
	;;#ASMEND
	;;#ASMSTART
	v_dot2_f32_f16 v70, v115, v123, v70
	;;#ASMEND
	s_waitcnt lgkmcnt(6)
	;;#ASMSTART
	v_dot2_f32_f16 v68, v112, v124, v68
	;;#ASMEND
	;;#ASMSTART
	v_dot2_f32_f16 v68, v113, v125, v68
	;;#ASMEND
	;;#ASMSTART
	v_dot2_f32_f16 v68, v114, v126, v68
	;;#ASMEND
	;;#ASMSTART
	v_dot2_f32_f16 v68, v115, v127, v68
	;;#ASMEND
	s_waitcnt lgkmcnt(5)
	;;#ASMSTART
	v_dot2_f32_f16 v66, v112, v128, v66
	;;#ASMEND
	;;#ASMSTART
	v_dot2_f32_f16 v66, v113, v129, v66
	;;#ASMEND
	;;#ASMSTART
	v_dot2_f32_f16 v66, v114, v130, v66
	;;#ASMEND
	;;#ASMSTART
	v_dot2_f32_f16 v66, v115, v131, v66
	;;#ASMEND
	s_waitcnt lgkmcnt(3)
	;;#ASMSTART
	v_dot2_f32_f16 v14, v112, v136, v14
	;;#ASMEND
	;;#ASMSTART
	v_dot2_f32_f16 v14, v113, v137, v14
	;;#ASMEND
	;;#ASMSTART
	v_dot2_f32_f16 v14, v114, v138, v14
	;;#ASMEND
	;;#ASMSTART
	v_dot2_f32_f16 v14, v115, v139, v14
	;;#ASMEND
	s_waitcnt lgkmcnt(2)
	;;#ASMSTART
	v_dot2_f32_f16 v13, v112, v140, v13
	;;#ASMEND
	;;#ASMSTART
	v_dot2_f32_f16 v13, v113, v141, v13
	;;#ASMEND
	;;#ASMSTART
	v_dot2_f32_f16 v13, v114, v142, v13
	;;#ASMEND
	;;#ASMSTART
	v_dot2_f32_f16 v13, v115, v143, v13
	;;#ASMEND
	s_waitcnt lgkmcnt(1)
	;;#ASMSTART
	v_dot2_f32_f16 v11, v112, v144, v11
	;;#ASMEND
	;;#ASMSTART
	v_dot2_f32_f16 v11, v113, v145, v11
	;;#ASMEND
	;;#ASMSTART
	v_dot2_f32_f16 v11, v114, v146, v11
	;;#ASMEND
	;;#ASMSTART
	v_dot2_f32_f16 v11, v115, v147, v11
	;;#ASMEND
	s_waitcnt lgkmcnt(0)
	;;#ASMSTART
	v_dot2_f32_f16 v10, v112, v148, v10
	;;#ASMEND
	;;#ASMSTART
	v_dot2_f32_f16 v10, v113, v149, v10
	;;#ASMEND
	;;#ASMSTART
	v_dot2_f32_f16 v10, v114, v150, v10
	;;#ASMEND
	;;#ASMSTART
	v_dot2_f32_f16 v10, v115, v151, v10
	;;#ASMEND
	;;#ASMSTART
	v_dot2_f32_f16 v111, v132, v116, v111
	;;#ASMEND
	;;#ASMSTART
	v_dot2_f32_f16 v111, v133, v117, v111
	;;#ASMEND
	;; [unrolled: 3-line block ×32, first 2 shown]
	ds_read_b128 v[112:115], v65 offset:64
	ds_read_b128 v[116:119], v46 offset:64
	;; [unrolled: 1-line block ×10, first 2 shown]
	s_waitcnt lgkmcnt(8)
	;;#ASMSTART
	v_dot2_f32_f16 v73, v112, v116, v73
	;;#ASMEND
	;;#ASMSTART
	v_dot2_f32_f16 v73, v113, v117, v73
	;;#ASMEND
	;;#ASMSTART
	v_dot2_f32_f16 v73, v114, v118, v73
	;;#ASMEND
	;;#ASMSTART
	v_dot2_f32_f16 v73, v115, v119, v73
	;;#ASMEND
	s_waitcnt lgkmcnt(7)
	;;#ASMSTART
	v_dot2_f32_f16 v70, v112, v120, v70
	;;#ASMEND
	;;#ASMSTART
	v_dot2_f32_f16 v70, v113, v121, v70
	;;#ASMEND
	;;#ASMSTART
	v_dot2_f32_f16 v70, v114, v122, v70
	;;#ASMEND
	;;#ASMSTART
	v_dot2_f32_f16 v70, v115, v123, v70
	;;#ASMEND
	;; [unrolled: 13-line block ×8, first 2 shown]
	;;#ASMSTART
	v_dot2_f32_f16 v111, v132, v116, v111
	;;#ASMEND
	;;#ASMSTART
	v_dot2_f32_f16 v111, v133, v117, v111
	;;#ASMEND
	;; [unrolled: 3-line block ×32, first 2 shown]
	ds_read_b128 v[112:115], v65 offset:80
	ds_read_b128 v[116:119], v46 offset:80
	;; [unrolled: 1-line block ×10, first 2 shown]
	s_waitcnt lgkmcnt(8)
	;;#ASMSTART
	v_dot2_f32_f16 v73, v112, v116, v73
	;;#ASMEND
	;;#ASMSTART
	v_dot2_f32_f16 v73, v113, v117, v73
	;;#ASMEND
	;;#ASMSTART
	v_dot2_f32_f16 v73, v114, v118, v73
	;;#ASMEND
	;;#ASMSTART
	v_dot2_f32_f16 v73, v115, v119, v73
	;;#ASMEND
	s_waitcnt lgkmcnt(7)
	;;#ASMSTART
	v_dot2_f32_f16 v70, v112, v120, v70
	;;#ASMEND
	;;#ASMSTART
	v_dot2_f32_f16 v70, v113, v121, v70
	;;#ASMEND
	;;#ASMSTART
	v_dot2_f32_f16 v70, v114, v122, v70
	;;#ASMEND
	;;#ASMSTART
	v_dot2_f32_f16 v70, v115, v123, v70
	;;#ASMEND
	;; [unrolled: 13-line block ×8, first 2 shown]
	;;#ASMSTART
	v_dot2_f32_f16 v111, v132, v116, v111
	;;#ASMEND
	;;#ASMSTART
	v_dot2_f32_f16 v111, v133, v117, v111
	;;#ASMEND
	;; [unrolled: 3-line block ×32, first 2 shown]
	ds_read_b128 v[112:115], v65 offset:96
	ds_read_b128 v[116:119], v46 offset:96
	;; [unrolled: 1-line block ×10, first 2 shown]
	s_waitcnt lgkmcnt(8)
	;;#ASMSTART
	v_dot2_f32_f16 v73, v112, v116, v73
	;;#ASMEND
	;;#ASMSTART
	v_dot2_f32_f16 v73, v113, v117, v73
	;;#ASMEND
	;;#ASMSTART
	v_dot2_f32_f16 v73, v114, v118, v73
	;;#ASMEND
	;;#ASMSTART
	v_dot2_f32_f16 v73, v115, v119, v73
	;;#ASMEND
	s_waitcnt lgkmcnt(7)
	;;#ASMSTART
	v_dot2_f32_f16 v70, v112, v120, v70
	;;#ASMEND
	;;#ASMSTART
	v_dot2_f32_f16 v70, v113, v121, v70
	;;#ASMEND
	;;#ASMSTART
	v_dot2_f32_f16 v70, v114, v122, v70
	;;#ASMEND
	;;#ASMSTART
	v_dot2_f32_f16 v70, v115, v123, v70
	;;#ASMEND
	;; [unrolled: 13-line block ×8, first 2 shown]
	;;#ASMSTART
	v_dot2_f32_f16 v111, v132, v116, v111
	;;#ASMEND
	;;#ASMSTART
	v_dot2_f32_f16 v111, v133, v117, v111
	;;#ASMEND
	;; [unrolled: 3-line block ×32, first 2 shown]
	ds_read_b128 v[113:116], v65 offset:112
	ds_read_b128 v[117:120], v46 offset:112
	;; [unrolled: 1-line block ×10, first 2 shown]
	s_waitcnt lgkmcnt(8)
	;;#ASMSTART
	v_dot2_f32_f16 v73, v113, v117, v73
	;;#ASMEND
	;;#ASMSTART
	v_dot2_f32_f16 v73, v114, v118, v73
	;;#ASMEND
	;;#ASMSTART
	v_dot2_f32_f16 v73, v115, v119, v73
	;;#ASMEND
	;;#ASMSTART
	v_dot2_f32_f16 v73, v116, v120, v73
	;;#ASMEND
	s_waitcnt lgkmcnt(7)
	;;#ASMSTART
	v_dot2_f32_f16 v70, v113, v124, v70
	;;#ASMEND
	;;#ASMSTART
	v_dot2_f32_f16 v70, v114, v125, v70
	;;#ASMEND
	;;#ASMSTART
	v_dot2_f32_f16 v70, v115, v126, v70
	;;#ASMEND
	;;#ASMSTART
	v_dot2_f32_f16 v70, v116, v127, v70
	;;#ASMEND
	s_waitcnt lgkmcnt(6)
	;;#ASMSTART
	v_dot2_f32_f16 v68, v113, v128, v68
	;;#ASMEND
	;;#ASMSTART
	v_dot2_f32_f16 v68, v114, v129, v68
	;;#ASMEND
	;;#ASMSTART
	v_dot2_f32_f16 v68, v115, v130, v68
	;;#ASMEND
	;;#ASMSTART
	v_dot2_f32_f16 v68, v116, v131, v68
	;;#ASMEND
	s_waitcnt lgkmcnt(5)
	;;#ASMSTART
	v_dot2_f32_f16 v66, v113, v132, v66
	;;#ASMEND
	;;#ASMSTART
	v_dot2_f32_f16 v66, v114, v133, v66
	;;#ASMEND
	;;#ASMSTART
	v_dot2_f32_f16 v66, v115, v134, v66
	;;#ASMEND
	;;#ASMSTART
	v_dot2_f32_f16 v66, v116, v135, v66
	;;#ASMEND
	s_waitcnt lgkmcnt(3)
	;;#ASMSTART
	v_dot2_f32_f16 v14, v113, v140, v14
	;;#ASMEND
	;;#ASMSTART
	v_dot2_f32_f16 v14, v114, v141, v14
	;;#ASMEND
	;;#ASMSTART
	v_dot2_f32_f16 v14, v115, v142, v14
	;;#ASMEND
	;;#ASMSTART
	v_dot2_f32_f16 v14, v116, v143, v14
	;;#ASMEND
	s_waitcnt lgkmcnt(2)
	;;#ASMSTART
	v_dot2_f32_f16 v13, v113, v144, v13
	;;#ASMEND
	;;#ASMSTART
	v_dot2_f32_f16 v13, v114, v145, v13
	;;#ASMEND
	;;#ASMSTART
	v_dot2_f32_f16 v13, v115, v146, v13
	;;#ASMEND
	;;#ASMSTART
	v_dot2_f32_f16 v13, v116, v147, v13
	;;#ASMEND
	s_waitcnt lgkmcnt(1)
	;;#ASMSTART
	v_dot2_f32_f16 v11, v113, v148, v11
	;;#ASMEND
	;;#ASMSTART
	v_dot2_f32_f16 v11, v114, v149, v11
	;;#ASMEND
	;;#ASMSTART
	v_dot2_f32_f16 v11, v115, v150, v11
	;;#ASMEND
	;;#ASMSTART
	v_dot2_f32_f16 v11, v116, v151, v11
	;;#ASMEND
	s_waitcnt lgkmcnt(0)
	;;#ASMSTART
	v_dot2_f32_f16 v10, v113, v152, v10
	;;#ASMEND
	;;#ASMSTART
	v_dot2_f32_f16 v10, v114, v153, v10
	;;#ASMEND
	;;#ASMSTART
	v_dot2_f32_f16 v10, v115, v154, v10
	;;#ASMEND
	;;#ASMSTART
	v_dot2_f32_f16 v10, v116, v155, v10
	;;#ASMEND
	;;#ASMSTART
	v_dot2_f32_f16 v111, v136, v117, v111
	;;#ASMEND
	;;#ASMSTART
	v_dot2_f32_f16 v111, v137, v118, v111
	;;#ASMEND
	;; [unrolled: 3-line block ×11, first 2 shown]
	v_add_nc_u32_e32 v123, s12, v0
	;;#ASMSTART
	v_dot2_f32_f16 v72, v139, v131, v72
	;;#ASMEND
	;;#ASMSTART
	v_dot2_f32_f16 v71, v136, v132, v71
	;;#ASMEND
	;; [unrolled: 3-line block ×7, first 2 shown]
	v_add_nc_u32_e32 v8, v123, v79
	;;#ASMSTART
	v_dot2_f32_f16 v69, v138, v142, v69
	;;#ASMEND
	;;#ASMSTART
	v_dot2_f32_f16 v69, v139, v143, v69
	;;#ASMEND
	;; [unrolled: 3-line block ×7, first 2 shown]
	v_mov_b32_e32 v112, 0
	v_ashrrev_i32_e32 v9, 31, v8
	;;#ASMSTART
	v_dot2_f32_f16 v15, v137, v149, v15
	;;#ASMEND
	;;#ASMSTART
	v_dot2_f32_f16 v15, v138, v150, v15
	;;#ASMEND
	;; [unrolled: 3-line block ×7, first 2 shown]
	s_cbranch_vccnz .LBB56_10
; %bb.9:                                ;   in Loop: Header=BB56_8 Depth=1
	v_lshlrev_b64 v[112:113], 1, v[8:9]
	v_add_co_u32 v112, vcc_lo, s46, v112
	v_add_co_ci_u32_e64 v113, null, s47, v113, vcc_lo
	global_load_ushort v112, v[112:113], off
	s_waitcnt vmcnt(0)
	v_cvt_f32_f16_e32 v112, v112
	v_mul_f32_e32 v112, v47, v112
.LBB56_10:                              ;   in Loop: Header=BB56_8 Depth=1
	v_mov_b32_e32 v116, 0
	v_mov_b32_e32 v113, 0
	s_andn2_b32 vcc_lo, exec_lo, s11
	s_cbranch_vccnz .LBB56_12
; %bb.11:                               ;   in Loop: Header=BB56_8 Depth=1
	v_lshlrev_b64 v[8:9], 1, v[8:9]
	v_add_co_u32 v8, vcc_lo, s46, v8
	v_add_co_ci_u32_e64 v9, null, s47, v9, vcc_lo
	global_load_ushort v8, v[8:9], off offset:64
	s_waitcnt vmcnt(0)
	v_cvt_f32_f16_e32 v8, v8
	v_mul_f32_e32 v113, v47, v8
.LBB56_12:                              ;   in Loop: Header=BB56_8 Depth=1
	v_xor_b32_e32 v8, 16, v93
	v_add_f32_e32 v112, v73, v112
	v_add_f32_e32 v113, v111, v113
	v_cmp_gt_i32_e32 vcc_lo, 32, v8
	v_add_f32_e32 v9, 0x40051340, v112
	v_add_f32_e32 v73, 0x40051340, v113
	v_cndmask_b32_e32 v8, v93, v8, vcc_lo
	v_lshlrev_b32_e32 v124, 2, v8
	v_max3_f32 v8, v108, v9, v73
	v_xor_b32_e32 v73, 8, v93
	ds_bpermute_b32 v9, v124, v8
	v_cmp_gt_i32_e32 vcc_lo, 32, v73
	v_cndmask_b32_e32 v73, v93, v73, vcc_lo
	v_lshlrev_b32_e32 v115, 2, v73
	v_xor_b32_e32 v73, 4, v93
	v_cmp_gt_i32_e32 vcc_lo, 32, v73
	s_waitcnt lgkmcnt(0)
	v_max_f32_e32 v9, v9, v9
	v_cndmask_b32_e32 v73, v93, v73, vcc_lo
	v_max_f32_e32 v8, v8, v9
	v_lshlrev_b32_e32 v114, 2, v73
	v_xor_b32_e32 v73, 2, v93
	ds_bpermute_b32 v9, v115, v8
	v_cmp_gt_i32_e32 vcc_lo, 32, v73
	v_cndmask_b32_e32 v73, v93, v73, vcc_lo
	v_lshlrev_b32_e32 v111, 2, v73
	v_xor_b32_e32 v73, 1, v93
	v_cmp_gt_i32_e32 vcc_lo, 32, v73
	s_waitcnt lgkmcnt(0)
	v_max_f32_e32 v9, v9, v9
	v_cndmask_b32_e32 v73, v93, v73, vcc_lo
	v_max_f32_e32 v8, v8, v9
	s_andn2_b32 vcc_lo, exec_lo, s11
	v_lshlrev_b32_e32 v73, 2, v73
	ds_bpermute_b32 v9, v114, v8
	s_waitcnt lgkmcnt(0)
	v_max_f32_e32 v9, v9, v9
	v_max_f32_e32 v8, v8, v9
	ds_bpermute_b32 v9, v111, v8
	s_waitcnt lgkmcnt(0)
	v_max_f32_e32 v9, v9, v9
	v_max_f32_e32 v125, v8, v9
	v_add_nc_u32_e32 v8, v123, v80
	ds_bpermute_b32 v126, v73, v125
	v_ashrrev_i32_e32 v9, 31, v8
	s_cbranch_vccnz .LBB56_14
; %bb.13:                               ;   in Loop: Header=BB56_8 Depth=1
	v_lshlrev_b64 v[116:117], 1, v[8:9]
	v_add_co_u32 v116, vcc_lo, s46, v116
	v_add_co_ci_u32_e64 v117, null, s47, v117, vcc_lo
	global_load_ushort v116, v[116:117], off
	s_waitcnt vmcnt(0)
	v_cvt_f32_f16_e32 v116, v116
	v_mul_f32_e32 v116, v47, v116
.LBB56_14:                              ;   in Loop: Header=BB56_8 Depth=1
	v_mov_b32_e32 v117, 0
	v_mov_b32_e32 v119, 0
	s_andn2_b32 vcc_lo, exec_lo, s11
	s_cbranch_vccnz .LBB56_16
; %bb.15:                               ;   in Loop: Header=BB56_8 Depth=1
	v_lshlrev_b64 v[8:9], 1, v[8:9]
	v_add_co_u32 v8, vcc_lo, s46, v8
	v_add_co_ci_u32_e64 v9, null, s47, v9, vcc_lo
	global_load_ushort v8, v[8:9], off offset:64
	s_waitcnt vmcnt(0)
	v_cvt_f32_f16_e32 v8, v8
	v_mul_f32_e32 v119, v47, v8
.LBB56_16:                              ;   in Loop: Header=BB56_8 Depth=1
	v_add_f32_e32 v118, v70, v116
	v_add_f32_e32 v119, v110, v119
	s_andn2_b32 vcc_lo, exec_lo, s11
	v_add_f32_e32 v8, 0x40051340, v118
	v_add_f32_e32 v9, 0x40051340, v119
	v_max3_f32 v8, v109, v8, v9
	ds_bpermute_b32 v9, v124, v8
	s_waitcnt lgkmcnt(0)
	v_max_f32_e32 v9, v9, v9
	v_max_f32_e32 v8, v8, v9
	ds_bpermute_b32 v9, v115, v8
	s_waitcnt lgkmcnt(0)
	v_max_f32_e32 v9, v9, v9
	v_max_f32_e32 v8, v8, v9
	ds_bpermute_b32 v9, v114, v8
	s_waitcnt lgkmcnt(0)
	v_max_f32_e32 v9, v9, v9
	v_max_f32_e32 v8, v8, v9
	ds_bpermute_b32 v9, v111, v8
	s_waitcnt lgkmcnt(0)
	v_max_f32_e32 v9, v9, v9
	v_max_f32_e32 v127, v8, v9
	v_add_nc_u32_e32 v8, v123, v81
	ds_bpermute_b32 v128, v73, v127
	v_ashrrev_i32_e32 v9, 31, v8
	s_cbranch_vccnz .LBB56_18
; %bb.17:                               ;   in Loop: Header=BB56_8 Depth=1
	v_lshlrev_b64 v[116:117], 1, v[8:9]
	v_add_co_u32 v116, vcc_lo, s46, v116
	v_add_co_ci_u32_e64 v117, null, s47, v117, vcc_lo
	global_load_ushort v70, v[116:117], off
	s_waitcnt vmcnt(0)
	v_cvt_f32_f16_e32 v70, v70
	v_mul_f32_e32 v117, v47, v70
.LBB56_18:                              ;   in Loop: Header=BB56_8 Depth=1
	v_mov_b32_e32 v110, 0
	v_mov_b32_e32 v116, 0
	s_andn2_b32 vcc_lo, exec_lo, s11
	s_cbranch_vccnz .LBB56_20
; %bb.19:                               ;   in Loop: Header=BB56_8 Depth=1
	v_lshlrev_b64 v[8:9], 1, v[8:9]
	v_add_co_u32 v8, vcc_lo, s46, v8
	v_add_co_ci_u32_e64 v9, null, s47, v9, vcc_lo
	global_load_ushort v8, v[8:9], off offset:64
	s_waitcnt vmcnt(0)
	v_cvt_f32_f16_e32 v8, v8
	v_mul_f32_e32 v116, v47, v8
.LBB56_20:                              ;   in Loop: Header=BB56_8 Depth=1
	v_add_f32_e32 v70, v68, v117
	v_add_f32_e32 v68, v72, v116
	s_andn2_b32 vcc_lo, exec_lo, s11
	v_add_f32_e32 v8, 0x40051340, v70
	v_add_f32_e32 v9, 0x40051340, v68
	v_max3_f32 v8, v106, v8, v9
	ds_bpermute_b32 v9, v124, v8
	s_waitcnt lgkmcnt(0)
	v_max_f32_e32 v9, v9, v9
	v_max_f32_e32 v8, v8, v9
	ds_bpermute_b32 v9, v115, v8
	s_waitcnt lgkmcnt(0)
	v_max_f32_e32 v9, v9, v9
	v_max_f32_e32 v8, v8, v9
	;; [unrolled: 48-line block ×6, first 2 shown]
	ds_bpermute_b32 v9, v114, v8
	s_waitcnt lgkmcnt(0)
	v_max_f32_e32 v9, v9, v9
	v_max_f32_e32 v8, v8, v9
	ds_bpermute_b32 v9, v111, v8
	s_waitcnt lgkmcnt(0)
	v_max_f32_e32 v9, v9, v9
	v_max_f32_e32 v11, v8, v9
	v_add_nc_u32_e32 v8, v123, v87
	ds_bpermute_b32 v15, v73, v11
	v_ashrrev_i32_e32 v9, 31, v8
	s_cbranch_vccnz .LBB56_38
; %bb.37:                               ;   in Loop: Header=BB56_8 Depth=1
	v_lshlrev_b64 v[132:133], 1, v[8:9]
	v_add_co_u32 v132, vcc_lo, s46, v132
	v_add_co_ci_u32_e64 v133, null, s47, v133, vcc_lo
	global_load_ushort v123, v[132:133], off
	s_waitcnt vmcnt(0)
	v_cvt_f32_f16_e32 v123, v123
	v_mul_f32_e32 v132, v47, v123
.LBB56_38:                              ;   in Loop: Header=BB56_8 Depth=1
	s_andn2_b32 vcc_lo, exec_lo, s11
	s_cbranch_vccnz .LBB56_40
; %bb.39:                               ;   in Loop: Header=BB56_8 Depth=1
	v_lshlrev_b64 v[8:9], 1, v[8:9]
	v_add_co_u32 v8, vcc_lo, s46, v8
	v_add_co_ci_u32_e64 v9, null, s47, v9, vcc_lo
	global_load_ushort v8, v[8:9], off offset:64
	s_waitcnt vmcnt(0)
	v_cvt_f32_f16_e32 v8, v8
	v_mul_f32_e32 v9, v47, v8
	s_branch .LBB56_41
.LBB56_40:                              ;   in Loop: Header=BB56_8 Depth=1
	v_mov_b32_e32 v9, 0
.LBB56_41:                              ;   in Loop: Header=BB56_8 Depth=1
	v_add_f32_e32 v8, v10, v132
	v_add_f32_e32 v123, v12, v9
	v_max_f32_e32 v126, v126, v126
	v_max_f32_e32 v125, v125, v125
	s_mul_hi_i32 s17, s12, s13
	v_add_f32_e32 v9, 0x40051340, v8
	v_add_f32_e32 v10, 0x40051340, v123
	s_mul_i32 s16, s12, s13
	s_waitcnt lgkmcnt(0)
	v_max_f32_e32 v12, v15, v15
	v_max_f32_e32 v11, v11, v11
	;; [unrolled: 1-line block ×3, first 2 shown]
	v_max3_f32 v132, v98, v9, v10
	v_max_f32_e32 v9, v67, v67
	v_max_f32_e32 v10, v13, v13
	;; [unrolled: 1-line block ×4, first 2 shown]
	ds_bpermute_b32 v124, v124, v132
	v_max_f32_e32 v71, v71, v71
	v_max_f32_e32 v14, v10, v9
	;; [unrolled: 1-line block ×4, first 2 shown]
	s_lshl_b64 s[16:17], s[16:17], 2
	v_max_f32_e32 v129, v129, v129
	v_max_f32_e32 v72, v72, v72
	v_sub_f32_e32 v137, v112, v9
	s_add_u32 s16, s14, s16
	v_max_f32_e32 v15, v11, v12
	v_max_f32_e32 v12, v71, v130
	s_addc_u32 s17, s15, s17
	v_add_co_u32 v71, vcc_lo, s16, v19
	v_max_f32_e32 v128, v128, v128
	v_max_f32_e32 v127, v127, v127
	;; [unrolled: 1-line block ×3, first 2 shown]
	v_add_co_ci_u32_e64 v72, null, s17, v20, vcc_lo
	s_waitcnt lgkmcnt(0)
	v_max_f32_e32 v67, v124, v124
	v_add_co_u32 v124, vcc_lo, s16, v21
	v_add_co_ci_u32_e64 v125, null, s17, v22, vcc_lo
	v_max_f32_e32 v67, v132, v67
	v_add_co_u32 v126, vcc_lo, s16, v23
	v_max_f32_e32 v10, v127, v128
	v_add_co_ci_u32_e64 v127, null, s17, v24, vcc_lo
	ds_bpermute_b32 v115, v115, v67
	v_add_co_u32 v128, vcc_lo, s16, v25
	v_add_co_ci_u32_e64 v129, null, s17, v26, vcc_lo
	v_add_co_u32 v71, vcc_lo, v71, v91
	v_sub_f32_e32 v136, v108, v9
	v_add_co_ci_u32_e64 v72, null, 0, v72, vcc_lo
	v_add_co_u32 v108, vcc_lo, v124, v91
	v_sub_f32_e32 v139, v109, v10
	v_sub_f32_e32 v140, v118, v10
	v_add_co_ci_u32_e64 v109, null, 0, v125, vcc_lo
	v_add_co_u32 v118, vcc_lo, v126, v91
	v_sub_f32_e32 v138, v113, v9
	v_mul_f32_e32 v143, 0x3fb8aa3b, v137
	s_waitcnt lgkmcnt(0)
	v_max_f32_e32 v112, v115, v115
	v_sub_f32_e32 v141, v119, v10
	v_add_co_ci_u32_e64 v119, null, 0, v127, vcc_lo
	v_add_co_u32 v132, vcc_lo, v128, v91
	v_max_f32_e32 v67, v67, v112
	v_add_co_ci_u32_e64 v133, null, 0, v129, vcc_lo
	s_barrier
	ds_bpermute_b32 v142, v114, v67
	s_waitcnt lgkmcnt(0)
	buffer_gl0_inv
	v_mul_f32_e32 v144, 0x3fb8aa3b, v138
	s_clause 0x3
	global_load_dwordx4 v[112:115], v[71:72], off
	global_load_dwordx4 v[124:127], v[108:109], off
	;; [unrolled: 1-line block ×4, first 2 shown]
	v_fma_f32 v71, 0x3fb8aa3b, v137, -v143
	v_rndne_f32_e32 v72, v143
	v_mul_f32_e32 v145, 0x3fb8aa3b, v136
	v_fma_f32 v108, 0x3fb8aa3b, v138, -v144
	v_rndne_f32_e32 v109, v144
	v_fmac_f32_e32 v71, 0x32a5705f, v137
	v_sub_f32_e32 v143, v143, v72
	v_fma_f32 v118, 0x3fb8aa3b, v136, -v145
	v_rndne_f32_e32 v119, v145
	v_fmac_f32_e32 v108, 0x32a5705f, v138
	v_sub_f32_e32 v144, v144, v109
	v_add_f32_e32 v71, v143, v71
	v_fmac_f32_e32 v118, 0x32a5705f, v136
	v_sub_f32_e32 v145, v145, v119
	v_cvt_i32_f32_e32 v72, v72
	v_add_f32_e32 v108, v144, v108
	v_max_f32_e32 v142, v142, v142
	v_exp_f32_e32 v71, v71
	v_add_f32_e32 v118, v145, v118
	v_cvt_i32_f32_e32 v109, v109
	v_exp_f32_e32 v108, v108
	v_max_f32_e32 v67, v67, v142
	v_cmp_ngt_f32_e32 vcc_lo, 0xc2ce8ed0, v137
	v_exp_f32_e32 v118, v118
	v_mul_f32_e32 v146, 0x3fb8aa3b, v140
	v_cvt_i32_f32_e32 v119, v119
	ds_bpermute_b32 v111, v111, v67
	v_ldexp_f32 v71, v71, v72
	v_mul_f32_e32 v147, 0x3fb8aa3b, v141
	v_fma_f32 v149, 0x3fb8aa3b, v140, -v146
	v_ldexp_f32 v72, v108, v109
	v_rndne_f32_e32 v150, v146
	v_cndmask_b32_e32 v71, 0, v71, vcc_lo
	v_cmp_ngt_f32_e32 vcc_lo, 0xc2ce8ed0, v138
	v_ldexp_f32 v108, v118, v119
	v_fmac_f32_e32 v149, 0x32a5705f, v140
	v_sub_f32_e32 v146, v146, v150
	v_fma_f32 v151, 0x3fb8aa3b, v141, -v147
	v_cndmask_b32_e32 v72, 0, v72, vcc_lo
	v_cmp_ngt_f32_e32 vcc_lo, 0xc2ce8ed0, v136
	v_rndne_f32_e32 v152, v147
	v_add_f32_e32 v144, v146, v149
	v_mul_f32_e32 v148, 0x3fb8aa3b, v139
	v_fmac_f32_e32 v151, 0x32a5705f, v141
	v_cndmask_b32_e32 v108, 0, v108, vcc_lo
	v_cmp_nlt_f32_e32 vcc_lo, 0x42b17218, v137
	s_waitcnt lgkmcnt(0)
	v_max_f32_e32 v111, v111, v111
	v_sub_f32_e32 v147, v147, v152
	v_exp_f32_e32 v144, v144
	v_fma_f32 v142, 0x3fb8aa3b, v139, -v148
	v_cndmask_b32_e32 v71, 0x7f800000, v71, vcc_lo
	v_max_f32_e32 v67, v67, v111
	v_cmp_nlt_f32_e32 vcc_lo, 0x42b17218, v138
	v_rndne_f32_e32 v153, v148
	v_cvt_i32_f32_e32 v145, v150
	v_add_f32_e32 v111, v147, v151
	ds_bpermute_b32 v73, v73, v67
	v_cndmask_b32_e32 v118, 0x7f800000, v72, vcc_lo
	v_cmp_nlt_f32_e32 vcc_lo, 0x42b17218, v136
	v_fmac_f32_e32 v142, 0x32a5705f, v139
	v_sub_f32_e32 v143, v148, v153
	v_ldexp_f32 v109, v144, v145
	v_exp_f32_e32 v111, v111
	v_cndmask_b32_e32 v108, 0x7f800000, v108, vcc_lo
	v_cmp_ngt_f32_e32 vcc_lo, 0xc2ce8ed0, v140
	v_add_f32_e32 v72, v71, v118
	v_cvt_i32_f32_e32 v146, v152
	v_add_f32_e32 v142, v143, v142
	v_cvt_f16_f32_e32 v119, v108
	v_cndmask_b32_e32 v109, 0, v109, vcc_lo
	v_cvt_f16_f32_e32 v136, v71
	v_fmac_f32_e32 v72, v16, v108
	v_cmp_nlt_f32_e32 vcc_lo, 0x42b17218, v140
	v_mul_u32_u24_sdwa v71, v119, v94 dst_sel:DWORD dst_unused:UNUSED_PAD src0_sel:WORD_0 src1_sel:DWORD
	v_sub_f32_e32 v68, v68, v11
	v_sub_f32_e32 v106, v106, v11
	s_waitcnt lgkmcnt(0)
	v_max_f32_e32 v73, v73, v73
	v_sub_f32_e32 v66, v66, v12
	v_pk_mul_f16 v119, v64, v71
	v_ldexp_f32 v64, v111, v146
	v_exp_f32_e32 v71, v142
	v_max_f32_e32 v16, v67, v73
	v_sub_f32_e32 v67, v70, v11
	v_cndmask_b32_e32 v70, 0x7f800000, v109, vcc_lo
	v_cmp_ngt_f32_e32 vcc_lo, 0xc2ce8ed0, v141
	v_cvt_i32_f32_e32 v109, v153
	v_mul_f32_e32 v138, 0x3fb8aa3b, v68
	v_mul_f32_e32 v73, 0x3fb8aa3b, v67
	v_cvt_f16_f32_e32 v108, v70
	v_cndmask_b32_e32 v64, 0, v64, vcc_lo
	v_cmp_nlt_f32_e32 vcc_lo, 0x42b17218, v141
	v_ldexp_f32 v109, v71, v109
	v_fma_f32 v111, 0x3fb8aa3b, v67, -v73
	v_rndne_f32_e32 v137, v73
	v_sub_f32_e32 v104, v104, v12
	v_cndmask_b32_e32 v64, 0x7f800000, v64, vcc_lo
	v_cmp_ngt_f32_e32 vcc_lo, 0xc2ce8ed0, v139
	v_fmac_f32_e32 v111, 0x32a5705f, v67
	v_sub_f32_e32 v73, v73, v137
	v_cvt_i32_f32_e32 v137, v137
	v_add_f32_e32 v71, v70, v64
	v_cndmask_b32_e32 v70, 0, v109, vcc_lo
	v_fma_f32 v109, 0x3fb8aa3b, v68, -v138
	v_add_f32_e32 v73, v73, v111
	v_rndne_f32_e32 v111, v138
	v_cmp_nlt_f32_e32 vcc_lo, 0x42b17218, v139
	v_sub_f32_e32 v69, v69, v13
	v_fmac_f32_e32 v109, 0x32a5705f, v68
	v_exp_f32_e32 v73, v73
	v_sub_f32_e32 v138, v138, v111
	v_cndmask_b32_e32 v70, 0x7f800000, v70, vcc_lo
	v_cmp_ngt_f32_e32 vcc_lo, 0xc2ce8ed0, v67
	v_cvt_i32_f32_e32 v111, v111
	v_sub_f32_e32 v103, v103, v13
	v_add_f32_e32 v109, v138, v109
	v_mul_f32_e32 v138, 0x3fb8aa3b, v106
	v_cvt_f16_f32_e32 v139, v70
	v_fmac_f32_e32 v71, v107, v70
	v_ldexp_f32 v73, v73, v137
	v_exp_f32_e32 v107, v109
	v_fma_f32 v109, 0x3fb8aa3b, v106, -v138
	v_rndne_f32_e32 v137, v138
	v_mul_u32_u24_sdwa v70, v139, v94 dst_sel:DWORD dst_unused:UNUSED_PAD src0_sel:WORD_0 src1_sel:DWORD
	v_cndmask_b32_e32 v73, 0, v73, vcc_lo
	v_cmp_nlt_f32_e32 vcc_lo, 0x42b17218, v67
	v_fmac_f32_e32 v109, 0x32a5705f, v106
	v_sub_f32_e32 v138, v138, v137
	v_pk_mul_f16 v139, v63, v70
	v_sub_f32_e32 v8, v8, v16
	v_cndmask_b32_e32 v67, 0x7f800000, v73, vcc_lo
	v_ldexp_f32 v63, v107, v111
	v_add_f32_e32 v70, v138, v109
	v_sub_f32_e32 v73, v110, v12
	v_cmp_ngt_f32_e32 vcc_lo, 0xc2ce8ed0, v68
	v_mul_f32_e32 v138, 0x3fb8aa3b, v66
	v_cvt_f16_f32_e32 v107, v67
	v_exp_f32_e32 v109, v70
	v_mul_f32_e32 v110, 0x3fb8aa3b, v73
	v_cndmask_b32_e32 v63, 0, v63, vcc_lo
	v_cmp_nlt_f32_e32 vcc_lo, 0x42b17218, v68
	v_cvt_i32_f32_e32 v68, v137
	v_cvt_f16_f32_e32 v118, v118
	v_fma_f32 v111, 0x3fb8aa3b, v73, -v110
	v_rndne_f32_e32 v137, v110
	v_cndmask_b32_e32 v63, 0x7f800000, v63, vcc_lo
	v_cmp_ngt_f32_e32 vcc_lo, 0xc2ce8ed0, v106
	v_cvt_f16_f32_e32 v64, v64
	v_fmac_f32_e32 v111, 0x32a5705f, v73
	v_add_f32_e32 v70, v67, v63
	v_ldexp_f32 v67, v109, v68
	v_sub_f32_e32 v68, v110, v137
	v_fma_f32 v109, 0x3fb8aa3b, v66, -v138
	v_rndne_f32_e32 v110, v138
	v_cvt_f16_f32_e32 v63, v63
	v_cndmask_b32_e32 v67, 0, v67, vcc_lo
	v_add_f32_e32 v68, v68, v111
	v_fmac_f32_e32 v109, 0x32a5705f, v66
	v_sub_f32_e32 v138, v138, v110
	v_cmp_nlt_f32_e32 vcc_lo, 0x42b17218, v106
	v_cvt_i32_f32_e32 v110, v110
	v_exp_f32_e32 v68, v68
	v_add_f32_e32 v106, v138, v109
	v_cndmask_b32_e32 v67, 0x7f800000, v67, vcc_lo
	v_mul_f32_e32 v109, 0x3fb8aa3b, v104
	v_cmp_ngt_f32_e32 vcc_lo, 0xc2ce8ed0, v73
	v_fmac_f32_e32 v70, v105, v67
	v_cvt_f16_f32_e32 v67, v67
	v_exp_f32_e32 v105, v106
	v_cvt_i32_f32_e32 v106, v137
	v_fma_f32 v111, 0x3fb8aa3b, v104, -v109
	v_rndne_f32_e32 v137, v109
	v_mul_u32_u24_sdwa v67, v67, v94 dst_sel:DWORD dst_unused:UNUSED_PAD src0_sel:WORD_0 src1_sel:DWORD
	v_ldexp_f32 v68, v68, v106
	v_fmac_f32_e32 v111, 0x32a5705f, v104
	v_sub_f32_e32 v106, v109, v137
	v_pk_mul_f16 v59, v59, v67
	v_ldexp_f32 v67, v105, v110
	v_cndmask_b32_e32 v68, 0, v68, vcc_lo
	v_cmp_ngt_f32_e32 vcc_lo, 0xc2ce8ed0, v66
	v_add_f32_e32 v105, v106, v111
	v_sub_f32_e32 v106, v117, v13
	v_cvt_i32_f32_e32 v110, v137
	v_cndmask_b32_e32 v67, 0, v67, vcc_lo
	v_cmp_nlt_f32_e32 vcc_lo, 0x42b17218, v73
	v_exp_f32_e32 v73, v105
	v_mul_f32_e32 v105, 0x3fb8aa3b, v106
	v_cndmask_b32_e32 v68, 0x7f800000, v68, vcc_lo
	v_cmp_nlt_f32_e32 vcc_lo, 0x42b17218, v66
	v_fma_f32 v111, 0x3fb8aa3b, v106, -v105
	v_rndne_f32_e32 v117, v105
	v_cvt_f16_f32_e32 v109, v68
	v_cndmask_b32_e32 v66, 0x7f800000, v67, vcc_lo
	v_fmac_f32_e32 v111, 0x32a5705f, v106
	v_cmp_ngt_f32_e32 vcc_lo, 0xc2ce8ed0, v104
	v_add_f32_e32 v67, v68, v66
	v_ldexp_f32 v68, v73, v110
	v_sub_f32_e32 v73, v105, v117
	v_mul_f32_e32 v105, 0x3fb8aa3b, v69
	v_mul_f32_e32 v110, 0x3fb8aa3b, v103
	v_cvt_i32_f32_e32 v117, v117
	v_cndmask_b32_e32 v68, 0, v68, vcc_lo
	v_add_f32_e32 v73, v73, v111
	v_cmp_nlt_f32_e32 vcc_lo, 0x42b17218, v104
	v_fma_f32 v104, 0x3fb8aa3b, v69, -v105
	v_rndne_f32_e32 v111, v105
	v_fma_f32 v137, 0x3fb8aa3b, v103, -v110
	v_exp_f32_e32 v73, v73
	v_cndmask_b32_e32 v68, 0x7f800000, v68, vcc_lo
	v_rndne_f32_e32 v138, v110
	v_fmac_f32_e32 v104, 0x32a5705f, v69
	v_sub_f32_e32 v105, v105, v111
	v_fmac_f32_e32 v137, 0x32a5705f, v103
	v_cvt_f16_f32_e32 v140, v68
	v_sub_f32_e32 v110, v110, v138
	v_fmac_f32_e32 v67, v102, v68
	v_cmp_ngt_f32_e32 vcc_lo, 0xc2ce8ed0, v106
	v_ldexp_f32 v68, v73, v117
	v_add_f32_e32 v73, v105, v104
	v_add_f32_e32 v102, v110, v137
	v_sub_f32_e32 v105, v120, v14
	v_cvt_i32_f32_e32 v110, v138
	v_cndmask_b32_e32 v68, 0, v68, vcc_lo
	v_exp_f32_e32 v73, v73
	v_exp_f32_e32 v102, v102
	v_cmp_nlt_f32_e32 vcc_lo, 0x42b17218, v106
	v_cvt_i32_f32_e32 v106, v111
	v_mul_f32_e32 v111, 0x3fb8aa3b, v105
	v_mul_u32_u24_sdwa v104, v140, v94 dst_sel:DWORD dst_unused:UNUSED_PAD src0_sel:WORD_0 src1_sel:DWORD
	v_sub_f32_e32 v117, v122, v15
	v_cndmask_b32_e32 v68, 0x7f800000, v68, vcc_lo
	v_cmp_ngt_f32_e32 vcc_lo, 0xc2ce8ed0, v69
	v_sub_f32_e32 v140, v98, v16
	v_ldexp_f32 v73, v73, v106
	v_ldexp_f32 v102, v102, v110
	v_fma_f32 v106, 0x3fb8aa3b, v105, -v111
	v_rndne_f32_e32 v110, v111
	v_pk_mul_f16 v57, v57, v104
	v_cndmask_b32_e32 v73, 0, v73, vcc_lo
	v_cmp_ngt_f32_e32 vcc_lo, 0xc2ce8ed0, v103
	v_fmac_f32_e32 v106, 0x32a5705f, v105
	v_sub_f32_e32 v111, v111, v110
	v_cvt_f16_f32_e32 v104, v68
	v_cvt_f16_f32_e32 v66, v66
	v_cndmask_b32_e32 v102, 0, v102, vcc_lo
	v_cmp_nlt_f32_e32 vcc_lo, 0x42b17218, v69
	v_cndmask_b32_e32 v69, 0x7f800000, v73, vcc_lo
	v_cmp_nlt_f32_e32 vcc_lo, 0x42b17218, v103
	v_sub_f32_e32 v103, v116, v14
	v_add_f32_e32 v68, v68, v69
	v_cndmask_b32_e32 v73, 0x7f800000, v102, vcc_lo
	v_add_f32_e32 v102, v111, v106
	v_cvt_f16_f32_e32 v106, v69
	v_mul_f32_e32 v111, 0x3fb8aa3b, v103
	v_cmp_ngt_f32_e32 vcc_lo, 0xc2ce8ed0, v105
	v_cvt_f16_f32_e32 v69, v73
	v_exp_f32_e32 v102, v102
	v_fmac_f32_e32 v68, v101, v73
	v_sub_f32_e32 v73, v100, v14
	v_cvt_i32_f32_e32 v100, v110
	v_mul_u32_u24_sdwa v69, v69, v94 dst_sel:DWORD dst_unused:UNUSED_PAD src0_sel:WORD_0 src1_sel:DWORD
	v_fma_f32 v101, 0x3fb8aa3b, v103, -v111
	v_rndne_f32_e32 v110, v111
	v_mul_f32_e32 v116, 0x3fb8aa3b, v73
	v_pk_mul_f16 v54, v54, v69
	v_ldexp_f32 v69, v102, v100
	v_fmac_f32_e32 v101, 0x32a5705f, v103
	v_sub_f32_e32 v100, v111, v110
	v_fma_f32 v102, 0x3fb8aa3b, v73, -v116
	v_rndne_f32_e32 v111, v116
	v_cndmask_b32_e32 v69, 0, v69, vcc_lo
	v_cmp_nlt_f32_e32 vcc_lo, 0x42b17218, v105
	v_add_f32_e32 v100, v100, v101
	v_fmac_f32_e32 v102, 0x32a5705f, v73
	v_sub_f32_e32 v101, v116, v111
	v_sub_f32_e32 v116, v121, v15
	v_mul_f32_e32 v105, 0x3fb8aa3b, v117
	v_exp_f32_e32 v100, v100
	v_cvt_i32_f32_e32 v110, v110
	v_add_f32_e32 v101, v101, v102
	v_mul_f32_e32 v102, 0x3fb8aa3b, v116
	v_cndmask_b32_e32 v69, 0x7f800000, v69, vcc_lo
	v_fma_f32 v122, 0x3fb8aa3b, v117, -v105
	v_rndne_f32_e32 v137, v105
	v_exp_f32_e32 v101, v101
	v_fma_f32 v120, 0x3fb8aa3b, v116, -v102
	v_rndne_f32_e32 v121, v102
	v_cvt_i32_f32_e32 v111, v111
	v_ldexp_f32 v100, v100, v110
	v_cmp_ngt_f32_e32 vcc_lo, 0xc2ce8ed0, v103
	v_fmac_f32_e32 v120, 0x32a5705f, v116
	v_sub_f32_e32 v102, v102, v121
	v_fmac_f32_e32 v122, 0x32a5705f, v117
	v_sub_f32_e32 v105, v105, v137
	v_ldexp_f32 v101, v101, v111
	v_cndmask_b32_e32 v100, 0, v100, vcc_lo
	v_add_f32_e32 v102, v102, v120
	v_cmp_ngt_f32_e32 vcc_lo, 0xc2ce8ed0, v73
	v_add_f32_e32 v105, v105, v122
	v_cvt_i32_f32_e32 v110, v137
	v_cvt_f16_f32_e32 v138, v69
	v_exp_f32_e32 v102, v102
	v_cndmask_b32_e32 v101, 0, v101, vcc_lo
	v_cmp_nlt_f32_e32 vcc_lo, 0x42b17218, v103
	v_exp_f32_e32 v105, v105
	v_cvt_i32_f32_e32 v103, v121
	v_cndmask_b32_e32 v100, 0x7f800000, v100, vcc_lo
	v_cmp_nlt_f32_e32 vcc_lo, 0x42b17218, v73
	v_add_f32_e32 v69, v69, v100
	v_cndmask_b32_e32 v73, 0x7f800000, v101, vcc_lo
	v_ldexp_f32 v101, v102, v103
	v_cmp_ngt_f32_e32 vcc_lo, 0xc2ce8ed0, v116
	v_cvt_f16_f32_e32 v102, v100
	v_ldexp_f32 v100, v105, v110
	v_cvt_f16_f32_e32 v110, v73
	v_fmac_f32_e32 v69, v97, v73
	v_cndmask_b32_e32 v101, 0, v101, vcc_lo
	v_cmp_ngt_f32_e32 vcc_lo, 0xc2ce8ed0, v117
	v_mul_u32_u24_sdwa v97, v110, v94 dst_sel:DWORD dst_unused:UNUSED_PAD src0_sel:WORD_0 src1_sel:DWORD
	v_cndmask_b32_e32 v100, 0, v100, vcc_lo
	v_cmp_nlt_f32_e32 vcc_lo, 0x42b17218, v116
	v_cndmask_b32_e32 v111, 0x7f800000, v101, vcc_lo
	v_cmp_nlt_f32_e32 vcc_lo, 0x42b17218, v117
	v_sub_f32_e32 v101, v123, v16
	v_sub_f32_e32 v117, v99, v15
	v_cvt_f16_f32_e32 v103, v111
	v_cndmask_b32_e32 v116, 0x7f800000, v100, vcc_lo
	v_mul_f32_e32 v100, 0x3fb8aa3b, v8
	v_mul_f32_e32 v99, 0x3fb8aa3b, v101
	;; [unrolled: 1-line block ×3, first 2 shown]
	v_cmp_ngt_f32_e32 vcc_lo, 0xc2ce8ed0, v8
	v_cvt_f16_f32_e32 v105, v116
	v_fma_f32 v120, 0x3fb8aa3b, v8, -v100
	v_rndne_f32_e32 v121, v100
	v_fma_f32 v122, 0x3fb8aa3b, v101, -v99
	v_rndne_f32_e32 v123, v99
	v_fma_f32 v98, 0x3fb8aa3b, v117, -v137
	v_fmac_f32_e32 v120, 0x32a5705f, v8
	v_sub_f32_e32 v100, v100, v121
	v_fmac_f32_e32 v122, 0x32a5705f, v101
	v_sub_f32_e32 v99, v99, v123
	v_rndne_f32_e32 v141, v137
	v_fmac_f32_e32 v98, 0x32a5705f, v117
	v_add_f32_e32 v100, v100, v120
	v_cvt_i32_f32_e32 v121, v121
	v_add_f32_e32 v99, v99, v122
	v_sub_f32_e32 v122, v137, v141
	v_mul_f32_e32 v120, 0x3fb8aa3b, v140
	v_exp_f32_e32 v100, v100
	v_add_f32_e32 v73, v111, v116
	v_exp_f32_e32 v99, v99
	v_add_f32_e32 v98, v122, v98
	v_cvt_i32_f32_e32 v122, v123
	v_fma_f32 v137, 0x3fb8aa3b, v140, -v120
	v_rndne_f32_e32 v142, v120
	v_exp_f32_e32 v98, v98
	v_ldexp_f32 v100, v100, v121
	v_fmac_f32_e32 v137, 0x32a5705f, v140
	v_ldexp_f32 v99, v99, v122
	v_sub_f32_e32 v120, v120, v142
	v_cvt_i32_f32_e32 v121, v141
	v_cndmask_b32_e32 v100, 0, v100, vcc_lo
	v_cmp_ngt_f32_e32 vcc_lo, 0xc2ce8ed0, v101
	v_add_f32_e32 v120, v120, v137
	v_ldexp_f32 v98, v98, v121
	v_cndmask_b32_e32 v99, 0, v99, vcc_lo
	v_cmp_nlt_f32_e32 vcc_lo, 0x42b17218, v8
	v_exp_f32_e32 v120, v120
	v_cndmask_b32_e32 v8, 0x7f800000, v100, vcc_lo
	v_cmp_nlt_f32_e32 vcc_lo, 0x42b17218, v101
	v_cvt_f16_f32_e32 v100, v8
	v_cndmask_b32_e32 v121, 0x7f800000, v99, vcc_lo
	v_cmp_ngt_f32_e32 vcc_lo, 0xc2ce8ed0, v117
	v_cvt_i32_f32_e32 v99, v142
	v_pack_b32_f16 v101, v103, v100
	v_cvt_f16_f32_e32 v123, v121
	v_cndmask_b32_e32 v122, 0, v98, vcc_lo
	v_cmp_nlt_f32_e32 vcc_lo, 0x42b17218, v117
	v_ldexp_f32 v120, v120, v99
	v_pack_b32_f16 v100, v104, v138
	v_pack_b32_f16 v99, v107, v109
	;; [unrolled: 1-line block ×4, first 2 shown]
	v_cndmask_b32_e32 v106, 0x7f800000, v122, vcc_lo
	v_cmp_ngt_f32_e32 vcc_lo, 0xc2ce8ed0, v140
	v_pack_b32_f16 v105, v105, v123
	v_pack_b32_f16 v103, v63, v66
	;; [unrolled: 1-line block ×3, first 2 shown]
	ds_write_b128 v92, v[98:101]
	ds_write_b128 v92, v[102:105] offset:512
	s_waitcnt vmcnt(3)
	ds_write_b128 v86, v[112:115]
	s_waitcnt vmcnt(2)
	ds_write_b128 v88, v[124:127]
	;; [unrolled: 2-line block ×4, first 2 shown]
	v_cndmask_b32_e32 v63, 0, v120, vcc_lo
	s_waitcnt lgkmcnt(0)
	s_barrier
	buffer_gl0_inv
	ds_read_b128 v[98:101], v48
	v_cmp_nlt_f32_e32 vcc_lo, 0x42b17218, v140
	v_cvt_f16_f32_e32 v66, v106
	v_fmac_f32_e32 v73, v95, v106
	v_cndmask_b32_e32 v102, 0x7f800000, v63, vcc_lo
	ds_read2_b32 v[63:64], v45 offset1:32
	v_mul_u32_u24_sdwa v104, v66, v94 dst_sel:DWORD dst_unused:UNUSED_PAD src0_sel:WORD_0 src1_sel:DWORD
	v_add_f32_e32 v66, v8, v121
	v_pk_mul_f16 v8, v51, v97
	v_cvt_f16_f32_e32 v103, v102
	v_pk_mul_f16 v50, v50, v104
	v_fmac_f32_e32 v66, v96, v102
	v_mul_u32_u24_sdwa v51, v103, v94 dst_sel:DWORD dst_unused:UNUSED_PAD src0_sel:WORD_0 src1_sel:DWORD
	ds_read_b128 v[102:105], v48 offset:16
	ds_read_b128 v[106:109], v48 offset:32
	;; [unrolled: 1-line block ×3, first 2 shown]
	s_waitcnt lgkmcnt(4)
	v_mul_u32_u24_sdwa v95, v98, v94 dst_sel:DWORD dst_unused:UNUSED_PAD src0_sel:WORD_1 src1_sel:DWORD
	v_pk_mul_f16 v49, v49, v51
	v_mul_u32_u24_sdwa v51, v98, v94 dst_sel:DWORD dst_unused:UNUSED_PAD src0_sel:WORD_0 src1_sel:DWORD
	v_mul_u32_u24_sdwa v96, v99, v94 dst_sel:DWORD dst_unused:UNUSED_PAD src0_sel:WORD_0 src1_sel:DWORD
	v_mul_u32_u24_sdwa v97, v99, v94 dst_sel:DWORD dst_unused:UNUSED_PAD src0_sel:WORD_1 src1_sel:DWORD
	v_mul_u32_u24_sdwa v98, v100, v94 dst_sel:DWORD dst_unused:UNUSED_PAD src0_sel:WORD_0 src1_sel:DWORD
	v_mul_u32_u24_sdwa v99, v100, v94 dst_sel:DWORD dst_unused:UNUSED_PAD src0_sel:WORD_1 src1_sel:DWORD
	;; [unrolled: 2-line block ×3, first 2 shown]
	s_waitcnt lgkmcnt(3)
	v_pk_fma_f16 v51, v63, v51, v119
	v_pk_fma_f16 v95, v63, v95, v139
	;; [unrolled: 1-line block ×8, first 2 shown]
	ds_read2_b32 v[49:50], v45 offset0:64 offset1:96
	s_waitcnt lgkmcnt(3)
	v_mul_u32_u24_sdwa v97, v102, v94 dst_sel:DWORD dst_unused:UNUSED_PAD src0_sel:WORD_0 src1_sel:DWORD
	v_mul_u32_u24_sdwa v98, v102, v94 dst_sel:DWORD dst_unused:UNUSED_PAD src0_sel:WORD_1 src1_sel:DWORD
	v_mul_u32_u24_sdwa v99, v103, v94 dst_sel:DWORD dst_unused:UNUSED_PAD src0_sel:WORD_0 src1_sel:DWORD
	v_mul_u32_u24_sdwa v100, v103, v94 dst_sel:DWORD dst_unused:UNUSED_PAD src0_sel:WORD_1 src1_sel:DWORD
	;; [unrolled: 2-line block ×4, first 2 shown]
	v_pk_fma_f16 v51, v64, v97, v51
	v_pk_fma_f16 v95, v64, v98, v95
	;; [unrolled: 1-line block ×8, first 2 shown]
	s_waitcnt lgkmcnt(2)
	v_mul_u32_u24_sdwa v64, v106, v94 dst_sel:DWORD dst_unused:UNUSED_PAD src0_sel:WORD_0 src1_sel:DWORD
	v_mul_u32_u24_sdwa v97, v106, v94 dst_sel:DWORD dst_unused:UNUSED_PAD src0_sel:WORD_1 src1_sel:DWORD
	v_mul_u32_u24_sdwa v98, v107, v94 dst_sel:DWORD dst_unused:UNUSED_PAD src0_sel:WORD_0 src1_sel:DWORD
	v_mul_u32_u24_sdwa v99, v107, v94 dst_sel:DWORD dst_unused:UNUSED_PAD src0_sel:WORD_1 src1_sel:DWORD
	;; [unrolled: 2-line block ×4, first 2 shown]
	s_waitcnt lgkmcnt(0)
	v_pk_fma_f16 v51, v49, v64, v51
	v_pk_fma_f16 v104, v49, v97, v95
	;; [unrolled: 1-line block ×7, first 2 shown]
	ds_read_b128 v[95:98], v48 offset:64
	v_mul_u32_u24_sdwa v99, v110, v94 dst_sel:DWORD dst_unused:UNUSED_PAD src0_sel:WORD_0 src1_sel:DWORD
	v_mul_u32_u24_sdwa v100, v110, v94 dst_sel:DWORD dst_unused:UNUSED_PAD src0_sel:WORD_1 src1_sel:DWORD
	v_mul_u32_u24_sdwa v101, v111, v94 dst_sel:DWORD dst_unused:UNUSED_PAD src0_sel:WORD_0 src1_sel:DWORD
	v_mul_u32_u24_sdwa v102, v111, v94 dst_sel:DWORD dst_unused:UNUSED_PAD src0_sel:WORD_1 src1_sel:DWORD
	v_pk_fma_f16 v49, v49, v103, v63
	ds_read2_b32 v[63:64], v45 offset0:128 offset1:160
	v_pk_fma_f16 v51, v50, v99, v51
	v_pk_fma_f16 v104, v50, v100, v104
	;; [unrolled: 1-line block ×4, first 2 shown]
	ds_read_b128 v[99:102], v48 offset:80
	v_mul_u32_u24_sdwa v103, v112, v94 dst_sel:DWORD dst_unused:UNUSED_PAD src0_sel:WORD_0 src1_sel:DWORD
	v_mul_u32_u24_sdwa v106, v112, v94 dst_sel:DWORD dst_unused:UNUSED_PAD src0_sel:WORD_1 src1_sel:DWORD
	v_mul_u32_u24_sdwa v107, v113, v94 dst_sel:DWORD dst_unused:UNUSED_PAD src0_sel:WORD_0 src1_sel:DWORD
	v_mul_u32_u24_sdwa v108, v113, v94 dst_sel:DWORD dst_unused:UNUSED_PAD src0_sel:WORD_1 src1_sel:DWORD
	v_pk_fma_f16 v54, v50, v103, v54
	v_pk_fma_f16 v8, v50, v106, v8
	;; [unrolled: 1-line block ×4, first 2 shown]
	s_waitcnt lgkmcnt(2)
	v_mul_u32_u24_sdwa v50, v95, v94 dst_sel:DWORD dst_unused:UNUSED_PAD src0_sel:WORD_0 src1_sel:DWORD
	v_mul_u32_u24_sdwa v95, v95, v94 dst_sel:DWORD dst_unused:UNUSED_PAD src0_sel:WORD_1 src1_sel:DWORD
	v_mul_u32_u24_sdwa v105, v96, v94 dst_sel:DWORD dst_unused:UNUSED_PAD src0_sel:WORD_0 src1_sel:DWORD
	v_mul_u32_u24_sdwa v96, v96, v94 dst_sel:DWORD dst_unused:UNUSED_PAD src0_sel:WORD_1 src1_sel:DWORD
	;; [unrolled: 2-line block ×4, first 2 shown]
	s_waitcnt lgkmcnt(1)
	v_pk_fma_f16 v104, v63, v95, v104
	v_pk_fma_f16 v59, v63, v105, v59
	;; [unrolled: 1-line block ×6, first 2 shown]
	ds_read_b128 v[95:98], v48 offset:96
	s_waitcnt lgkmcnt(1)
	v_mul_u32_u24_sdwa v105, v99, v94 dst_sel:DWORD dst_unused:UNUSED_PAD src0_sel:WORD_0 src1_sel:DWORD
	v_mul_u32_u24_sdwa v99, v99, v94 dst_sel:DWORD dst_unused:UNUSED_PAD src0_sel:WORD_1 src1_sel:DWORD
	v_mul_u32_u24_sdwa v106, v100, v94 dst_sel:DWORD dst_unused:UNUSED_PAD src0_sel:WORD_0 src1_sel:DWORD
	v_mul_u32_u24_sdwa v100, v100, v94 dst_sel:DWORD dst_unused:UNUSED_PAD src0_sel:WORD_1 src1_sel:DWORD
	;; [unrolled: 2-line block ×3, first 2 shown]
	v_pk_fma_f16 v51, v63, v50, v51
	v_pk_fma_f16 v63, v63, v108, v49
	ds_read2_b32 v[49:50], v45 offset0:192 offset1:224
	v_mul_u32_u24_sdwa v108, v102, v94 dst_sel:DWORD dst_unused:UNUSED_PAD src0_sel:WORD_0 src1_sel:DWORD
	v_mul_u32_u24_sdwa v109, v102, v94 dst_sel:DWORD dst_unused:UNUSED_PAD src0_sel:WORD_1 src1_sel:DWORD
	v_pk_fma_f16 v104, v64, v99, v104
	v_pk_fma_f16 v57, v64, v100, v57
	;; [unrolled: 1-line block ×3, first 2 shown]
	ds_read_b128 v[99:102], v48 offset:112
	v_pk_fma_f16 v51, v64, v105, v51
	v_pk_fma_f16 v59, v64, v106, v59
	;; [unrolled: 1-line block ×5, first 2 shown]
	s_waitcnt lgkmcnt(2)
	v_mul_u32_u24_sdwa v64, v95, v94 dst_sel:DWORD dst_unused:UNUSED_PAD src0_sel:WORD_0 src1_sel:DWORD
	v_mul_u32_u24_sdwa v95, v95, v94 dst_sel:DWORD dst_unused:UNUSED_PAD src0_sel:WORD_1 src1_sel:DWORD
	v_mul_u32_u24_sdwa v105, v96, v94 dst_sel:DWORD dst_unused:UNUSED_PAD src0_sel:WORD_0 src1_sel:DWORD
	v_mul_u32_u24_sdwa v96, v96, v94 dst_sel:DWORD dst_unused:UNUSED_PAD src0_sel:WORD_1 src1_sel:DWORD
	v_mul_u32_u24_sdwa v106, v97, v94 dst_sel:DWORD dst_unused:UNUSED_PAD src0_sel:WORD_0 src1_sel:DWORD
	v_mul_u32_u24_sdwa v97, v97, v94 dst_sel:DWORD dst_unused:UNUSED_PAD src0_sel:WORD_1 src1_sel:DWORD
	v_mul_u32_u24_sdwa v107, v98, v94 dst_sel:DWORD dst_unused:UNUSED_PAD src0_sel:WORD_0 src1_sel:DWORD
	v_mul_u32_u24_sdwa v98, v98, v94 dst_sel:DWORD dst_unused:UNUSED_PAD src0_sel:WORD_1 src1_sel:DWORD
	s_waitcnt lgkmcnt(1)
	v_pk_fma_f16 v51, v49, v64, v51
	v_pk_fma_f16 v104, v49, v95, v104
	;; [unrolled: 1-line block ×8, first 2 shown]
	ds_read_b128 v[95:98], v48 offset:128
	s_waitcnt lgkmcnt(1)
	v_mul_u32_u24_sdwa v105, v99, v94 dst_sel:DWORD dst_unused:UNUSED_PAD src0_sel:WORD_0 src1_sel:DWORD
	v_mul_u32_u24_sdwa v99, v99, v94 dst_sel:DWORD dst_unused:UNUSED_PAD src0_sel:WORD_1 src1_sel:DWORD
	v_add_nc_u32_e32 v106, 0x400, v45
	v_mul_u32_u24_sdwa v107, v100, v94 dst_sel:DWORD dst_unused:UNUSED_PAD src0_sel:WORD_0 src1_sel:DWORD
	v_mul_u32_u24_sdwa v100, v100, v94 dst_sel:DWORD dst_unused:UNUSED_PAD src0_sel:WORD_1 src1_sel:DWORD
	v_mul_u32_u24_sdwa v108, v101, v94 dst_sel:DWORD dst_unused:UNUSED_PAD src0_sel:WORD_0 src1_sel:DWORD
	v_mul_u32_u24_sdwa v101, v101, v94 dst_sel:DWORD dst_unused:UNUSED_PAD src0_sel:WORD_1 src1_sel:DWORD
	ds_read2_b32 v[63:64], v106 offset1:32
	v_mul_u32_u24_sdwa v109, v102, v94 dst_sel:DWORD dst_unused:UNUSED_PAD src0_sel:WORD_0 src1_sel:DWORD
	v_mul_u32_u24_sdwa v110, v102, v94 dst_sel:DWORD dst_unused:UNUSED_PAD src0_sel:WORD_1 src1_sel:DWORD
	v_pk_fma_f16 v104, v50, v99, v104
	v_pk_fma_f16 v57, v50, v100, v57
	v_pk_fma_f16 v8, v50, v101, v8
	ds_read_b128 v[99:102], v48 offset:144
	v_pk_fma_f16 v51, v50, v105, v51
	v_pk_fma_f16 v59, v50, v107, v59
	v_pk_fma_f16 v54, v50, v108, v54
	v_pk_fma_f16 v103, v50, v109, v103
	v_pk_fma_f16 v49, v50, v110, v49
	s_waitcnt lgkmcnt(2)
	v_mul_u32_u24_sdwa v50, v95, v94 dst_sel:DWORD dst_unused:UNUSED_PAD src0_sel:WORD_0 src1_sel:DWORD
	v_mul_u32_u24_sdwa v95, v95, v94 dst_sel:DWORD dst_unused:UNUSED_PAD src0_sel:WORD_1 src1_sel:DWORD
	v_mul_u32_u24_sdwa v105, v96, v94 dst_sel:DWORD dst_unused:UNUSED_PAD src0_sel:WORD_0 src1_sel:DWORD
	v_mul_u32_u24_sdwa v96, v96, v94 dst_sel:DWORD dst_unused:UNUSED_PAD src0_sel:WORD_1 src1_sel:DWORD
	v_mul_u32_u24_sdwa v107, v97, v94 dst_sel:DWORD dst_unused:UNUSED_PAD src0_sel:WORD_0 src1_sel:DWORD
	v_mul_u32_u24_sdwa v97, v97, v94 dst_sel:DWORD dst_unused:UNUSED_PAD src0_sel:WORD_1 src1_sel:DWORD
	v_mul_u32_u24_sdwa v108, v98, v94 dst_sel:DWORD dst_unused:UNUSED_PAD src0_sel:WORD_0 src1_sel:DWORD
	v_mul_u32_u24_sdwa v109, v98, v94 dst_sel:DWORD dst_unused:UNUSED_PAD src0_sel:WORD_1 src1_sel:DWORD
	s_waitcnt lgkmcnt(1)
	v_pk_fma_f16 v104, v63, v95, v104
	v_pk_fma_f16 v59, v63, v105, v59
	v_pk_fma_f16 v57, v63, v96, v57
	v_pk_fma_f16 v54, v63, v107, v54
	v_pk_fma_f16 v8, v63, v97, v8
	v_pk_fma_f16 v103, v63, v108, v103
	ds_read_b128 v[95:98], v48 offset:160
	s_waitcnt lgkmcnt(1)
	v_mul_u32_u24_sdwa v105, v99, v94 dst_sel:DWORD dst_unused:UNUSED_PAD src0_sel:WORD_0 src1_sel:DWORD
	v_mul_u32_u24_sdwa v99, v99, v94 dst_sel:DWORD dst_unused:UNUSED_PAD src0_sel:WORD_1 src1_sel:DWORD
	v_mul_u32_u24_sdwa v107, v100, v94 dst_sel:DWORD dst_unused:UNUSED_PAD src0_sel:WORD_0 src1_sel:DWORD
	v_mul_u32_u24_sdwa v100, v100, v94 dst_sel:DWORD dst_unused:UNUSED_PAD src0_sel:WORD_1 src1_sel:DWORD
	v_mul_u32_u24_sdwa v108, v101, v94 dst_sel:DWORD dst_unused:UNUSED_PAD src0_sel:WORD_0 src1_sel:DWORD
	v_mul_u32_u24_sdwa v101, v101, v94 dst_sel:DWORD dst_unused:UNUSED_PAD src0_sel:WORD_1 src1_sel:DWORD
	v_pk_fma_f16 v51, v63, v50, v51
	v_pk_fma_f16 v63, v63, v109, v49
	ds_read2_b32 v[49:50], v106 offset0:64 offset1:96
	v_mul_u32_u24_sdwa v109, v102, v94 dst_sel:DWORD dst_unused:UNUSED_PAD src0_sel:WORD_0 src1_sel:DWORD
	v_mul_u32_u24_sdwa v110, v102, v94 dst_sel:DWORD dst_unused:UNUSED_PAD src0_sel:WORD_1 src1_sel:DWORD
	v_pk_fma_f16 v104, v64, v99, v104
	v_pk_fma_f16 v57, v64, v100, v57
	v_pk_fma_f16 v8, v64, v101, v8
	ds_read_b128 v[99:102], v48 offset:176
	v_pk_fma_f16 v51, v64, v105, v51
	v_pk_fma_f16 v59, v64, v107, v59
	v_pk_fma_f16 v54, v64, v108, v54
	v_pk_fma_f16 v103, v64, v109, v103
	v_pk_fma_f16 v63, v64, v110, v63
	s_waitcnt lgkmcnt(2)
	v_mul_u32_u24_sdwa v64, v95, v94 dst_sel:DWORD dst_unused:UNUSED_PAD src0_sel:WORD_0 src1_sel:DWORD
	v_mul_u32_u24_sdwa v95, v95, v94 dst_sel:DWORD dst_unused:UNUSED_PAD src0_sel:WORD_1 src1_sel:DWORD
	v_mul_u32_u24_sdwa v105, v96, v94 dst_sel:DWORD dst_unused:UNUSED_PAD src0_sel:WORD_0 src1_sel:DWORD
	v_mul_u32_u24_sdwa v96, v96, v94 dst_sel:DWORD dst_unused:UNUSED_PAD src0_sel:WORD_1 src1_sel:DWORD
	v_mul_u32_u24_sdwa v107, v97, v94 dst_sel:DWORD dst_unused:UNUSED_PAD src0_sel:WORD_0 src1_sel:DWORD
	v_mul_u32_u24_sdwa v97, v97, v94 dst_sel:DWORD dst_unused:UNUSED_PAD src0_sel:WORD_1 src1_sel:DWORD
	v_mul_u32_u24_sdwa v108, v98, v94 dst_sel:DWORD dst_unused:UNUSED_PAD src0_sel:WORD_0 src1_sel:DWORD
	v_mul_u32_u24_sdwa v109, v98, v94 dst_sel:DWORD dst_unused:UNUSED_PAD src0_sel:WORD_1 src1_sel:DWORD
	s_waitcnt lgkmcnt(1)
	v_pk_fma_f16 v104, v49, v95, v104
	v_pk_fma_f16 v59, v49, v105, v59
	v_pk_fma_f16 v57, v49, v96, v57
	v_pk_fma_f16 v54, v49, v107, v54
	v_pk_fma_f16 v8, v49, v97, v8
	v_pk_fma_f16 v103, v49, v108, v103
	ds_read_b128 v[95:98], v48 offset:192
	s_waitcnt lgkmcnt(1)
	v_mul_u32_u24_sdwa v105, v99, v94 dst_sel:DWORD dst_unused:UNUSED_PAD src0_sel:WORD_0 src1_sel:DWORD
	v_mul_u32_u24_sdwa v99, v99, v94 dst_sel:DWORD dst_unused:UNUSED_PAD src0_sel:WORD_1 src1_sel:DWORD
	v_mul_u32_u24_sdwa v107, v100, v94 dst_sel:DWORD dst_unused:UNUSED_PAD src0_sel:WORD_0 src1_sel:DWORD
	v_mul_u32_u24_sdwa v100, v100, v94 dst_sel:DWORD dst_unused:UNUSED_PAD src0_sel:WORD_1 src1_sel:DWORD
	v_mul_u32_u24_sdwa v108, v101, v94 dst_sel:DWORD dst_unused:UNUSED_PAD src0_sel:WORD_0 src1_sel:DWORD
	v_mul_u32_u24_sdwa v101, v101, v94 dst_sel:DWORD dst_unused:UNUSED_PAD src0_sel:WORD_1 src1_sel:DWORD
	v_pk_fma_f16 v51, v49, v64, v51
	v_pk_fma_f16 v49, v49, v109, v63
	ds_read2_b32 v[63:64], v106 offset0:128 offset1:160
	;; [unrolled: 38-line block ×3, first 2 shown]
	v_mul_u32_u24_sdwa v106, v102, v94 dst_sel:DWORD dst_unused:UNUSED_PAD src0_sel:WORD_0 src1_sel:DWORD
	v_mul_u32_u24_sdwa v109, v102, v94 dst_sel:DWORD dst_unused:UNUSED_PAD src0_sel:WORD_1 src1_sel:DWORD
	v_pk_fma_f16 v104, v64, v99, v104
	v_pk_fma_f16 v57, v64, v100, v57
	;; [unrolled: 1-line block ×3, first 2 shown]
	ds_read_b128 v[99:102], v48 offset:240
	v_pk_fma_f16 v51, v64, v105, v51
	v_pk_fma_f16 v59, v64, v107, v59
	;; [unrolled: 1-line block ×5, first 2 shown]
	s_waitcnt lgkmcnt(2)
	v_mul_u32_u24_sdwa v64, v95, v94 dst_sel:DWORD dst_unused:UNUSED_PAD src0_sel:WORD_0 src1_sel:DWORD
	v_mul_u32_u24_sdwa v95, v95, v94 dst_sel:DWORD dst_unused:UNUSED_PAD src0_sel:WORD_1 src1_sel:DWORD
	v_mul_u32_u24_sdwa v105, v96, v94 dst_sel:DWORD dst_unused:UNUSED_PAD src0_sel:WORD_0 src1_sel:DWORD
	v_mul_u32_u24_sdwa v96, v96, v94 dst_sel:DWORD dst_unused:UNUSED_PAD src0_sel:WORD_1 src1_sel:DWORD
	;; [unrolled: 2-line block ×4, first 2 shown]
	s_waitcnt lgkmcnt(1)
	v_pk_fma_f16 v51, v49, v64, v51
	v_pk_fma_f16 v104, v49, v95, v104
	;; [unrolled: 1-line block ×8, first 2 shown]
	ds_read_b128 v[95:98], v48 offset:256
	s_waitcnt lgkmcnt(1)
	v_mul_u32_u24_sdwa v105, v99, v94 dst_sel:DWORD dst_unused:UNUSED_PAD src0_sel:WORD_0 src1_sel:DWORD
	v_mul_u32_u24_sdwa v99, v99, v94 dst_sel:DWORD dst_unused:UNUSED_PAD src0_sel:WORD_1 src1_sel:DWORD
	v_add_nc_u32_e32 v106, 0x800, v45
	v_mul_u32_u24_sdwa v107, v100, v94 dst_sel:DWORD dst_unused:UNUSED_PAD src0_sel:WORD_0 src1_sel:DWORD
	v_mul_u32_u24_sdwa v100, v100, v94 dst_sel:DWORD dst_unused:UNUSED_PAD src0_sel:WORD_1 src1_sel:DWORD
	v_mul_u32_u24_sdwa v108, v101, v94 dst_sel:DWORD dst_unused:UNUSED_PAD src0_sel:WORD_0 src1_sel:DWORD
	v_mul_u32_u24_sdwa v101, v101, v94 dst_sel:DWORD dst_unused:UNUSED_PAD src0_sel:WORD_1 src1_sel:DWORD
	ds_read2_b32 v[63:64], v106 offset1:32
	v_mul_u32_u24_sdwa v109, v102, v94 dst_sel:DWORD dst_unused:UNUSED_PAD src0_sel:WORD_0 src1_sel:DWORD
	v_mul_u32_u24_sdwa v110, v102, v94 dst_sel:DWORD dst_unused:UNUSED_PAD src0_sel:WORD_1 src1_sel:DWORD
	v_pk_fma_f16 v104, v50, v99, v104
	v_pk_fma_f16 v57, v50, v100, v57
	v_pk_fma_f16 v8, v50, v101, v8
	ds_read_b128 v[99:102], v48 offset:272
	v_pk_fma_f16 v51, v50, v105, v51
	v_pk_fma_f16 v59, v50, v107, v59
	v_pk_fma_f16 v54, v50, v108, v54
	v_pk_fma_f16 v103, v50, v109, v103
	v_pk_fma_f16 v49, v50, v110, v49
	s_waitcnt lgkmcnt(2)
	v_mul_u32_u24_sdwa v50, v95, v94 dst_sel:DWORD dst_unused:UNUSED_PAD src0_sel:WORD_0 src1_sel:DWORD
	v_mul_u32_u24_sdwa v95, v95, v94 dst_sel:DWORD dst_unused:UNUSED_PAD src0_sel:WORD_1 src1_sel:DWORD
	v_mul_u32_u24_sdwa v105, v96, v94 dst_sel:DWORD dst_unused:UNUSED_PAD src0_sel:WORD_0 src1_sel:DWORD
	v_mul_u32_u24_sdwa v96, v96, v94 dst_sel:DWORD dst_unused:UNUSED_PAD src0_sel:WORD_1 src1_sel:DWORD
	v_mul_u32_u24_sdwa v107, v97, v94 dst_sel:DWORD dst_unused:UNUSED_PAD src0_sel:WORD_0 src1_sel:DWORD
	v_mul_u32_u24_sdwa v97, v97, v94 dst_sel:DWORD dst_unused:UNUSED_PAD src0_sel:WORD_1 src1_sel:DWORD
	v_mul_u32_u24_sdwa v108, v98, v94 dst_sel:DWORD dst_unused:UNUSED_PAD src0_sel:WORD_0 src1_sel:DWORD
	v_mul_u32_u24_sdwa v109, v98, v94 dst_sel:DWORD dst_unused:UNUSED_PAD src0_sel:WORD_1 src1_sel:DWORD
	s_waitcnt lgkmcnt(1)
	v_pk_fma_f16 v104, v63, v95, v104
	v_pk_fma_f16 v59, v63, v105, v59
	v_pk_fma_f16 v57, v63, v96, v57
	v_pk_fma_f16 v54, v63, v107, v54
	v_pk_fma_f16 v8, v63, v97, v8
	v_pk_fma_f16 v103, v63, v108, v103
	ds_read_b128 v[95:98], v48 offset:288
	s_waitcnt lgkmcnt(1)
	v_mul_u32_u24_sdwa v105, v99, v94 dst_sel:DWORD dst_unused:UNUSED_PAD src0_sel:WORD_0 src1_sel:DWORD
	v_mul_u32_u24_sdwa v99, v99, v94 dst_sel:DWORD dst_unused:UNUSED_PAD src0_sel:WORD_1 src1_sel:DWORD
	v_mul_u32_u24_sdwa v107, v100, v94 dst_sel:DWORD dst_unused:UNUSED_PAD src0_sel:WORD_0 src1_sel:DWORD
	v_mul_u32_u24_sdwa v100, v100, v94 dst_sel:DWORD dst_unused:UNUSED_PAD src0_sel:WORD_1 src1_sel:DWORD
	v_mul_u32_u24_sdwa v108, v101, v94 dst_sel:DWORD dst_unused:UNUSED_PAD src0_sel:WORD_0 src1_sel:DWORD
	v_mul_u32_u24_sdwa v101, v101, v94 dst_sel:DWORD dst_unused:UNUSED_PAD src0_sel:WORD_1 src1_sel:DWORD
	v_pk_fma_f16 v51, v63, v50, v51
	v_pk_fma_f16 v63, v63, v109, v49
	ds_read2_b32 v[49:50], v106 offset0:64 offset1:96
	v_mul_u32_u24_sdwa v109, v102, v94 dst_sel:DWORD dst_unused:UNUSED_PAD src0_sel:WORD_0 src1_sel:DWORD
	v_mul_u32_u24_sdwa v110, v102, v94 dst_sel:DWORD dst_unused:UNUSED_PAD src0_sel:WORD_1 src1_sel:DWORD
	v_pk_fma_f16 v104, v64, v99, v104
	v_pk_fma_f16 v57, v64, v100, v57
	v_pk_fma_f16 v8, v64, v101, v8
	ds_read_b128 v[99:102], v48 offset:304
	v_pk_fma_f16 v51, v64, v105, v51
	v_pk_fma_f16 v59, v64, v107, v59
	v_pk_fma_f16 v54, v64, v108, v54
	v_pk_fma_f16 v103, v64, v109, v103
	v_pk_fma_f16 v63, v64, v110, v63
	s_waitcnt lgkmcnt(2)
	v_mul_u32_u24_sdwa v64, v95, v94 dst_sel:DWORD dst_unused:UNUSED_PAD src0_sel:WORD_0 src1_sel:DWORD
	v_mul_u32_u24_sdwa v95, v95, v94 dst_sel:DWORD dst_unused:UNUSED_PAD src0_sel:WORD_1 src1_sel:DWORD
	v_mul_u32_u24_sdwa v105, v96, v94 dst_sel:DWORD dst_unused:UNUSED_PAD src0_sel:WORD_0 src1_sel:DWORD
	v_mul_u32_u24_sdwa v96, v96, v94 dst_sel:DWORD dst_unused:UNUSED_PAD src0_sel:WORD_1 src1_sel:DWORD
	v_mul_u32_u24_sdwa v107, v97, v94 dst_sel:DWORD dst_unused:UNUSED_PAD src0_sel:WORD_0 src1_sel:DWORD
	v_mul_u32_u24_sdwa v97, v97, v94 dst_sel:DWORD dst_unused:UNUSED_PAD src0_sel:WORD_1 src1_sel:DWORD
	v_mul_u32_u24_sdwa v108, v98, v94 dst_sel:DWORD dst_unused:UNUSED_PAD src0_sel:WORD_0 src1_sel:DWORD
	v_mul_u32_u24_sdwa v109, v98, v94 dst_sel:DWORD dst_unused:UNUSED_PAD src0_sel:WORD_1 src1_sel:DWORD
	s_waitcnt lgkmcnt(1)
	v_pk_fma_f16 v104, v49, v95, v104
	v_pk_fma_f16 v59, v49, v105, v59
	v_pk_fma_f16 v57, v49, v96, v57
	v_pk_fma_f16 v54, v49, v107, v54
	v_pk_fma_f16 v8, v49, v97, v8
	v_pk_fma_f16 v103, v49, v108, v103
	ds_read_b128 v[95:98], v48 offset:320
	s_waitcnt lgkmcnt(1)
	v_mul_u32_u24_sdwa v105, v99, v94 dst_sel:DWORD dst_unused:UNUSED_PAD src0_sel:WORD_0 src1_sel:DWORD
	v_mul_u32_u24_sdwa v99, v99, v94 dst_sel:DWORD dst_unused:UNUSED_PAD src0_sel:WORD_1 src1_sel:DWORD
	v_mul_u32_u24_sdwa v107, v100, v94 dst_sel:DWORD dst_unused:UNUSED_PAD src0_sel:WORD_0 src1_sel:DWORD
	v_mul_u32_u24_sdwa v100, v100, v94 dst_sel:DWORD dst_unused:UNUSED_PAD src0_sel:WORD_1 src1_sel:DWORD
	v_mul_u32_u24_sdwa v108, v101, v94 dst_sel:DWORD dst_unused:UNUSED_PAD src0_sel:WORD_0 src1_sel:DWORD
	v_mul_u32_u24_sdwa v101, v101, v94 dst_sel:DWORD dst_unused:UNUSED_PAD src0_sel:WORD_1 src1_sel:DWORD
	v_pk_fma_f16 v51, v49, v64, v51
	v_pk_fma_f16 v49, v49, v109, v63
	ds_read2_b32 v[63:64], v106 offset0:128 offset1:160
	;; [unrolled: 38-line block ×3, first 2 shown]
	v_mul_u32_u24_sdwa v106, v102, v94 dst_sel:DWORD dst_unused:UNUSED_PAD src0_sel:WORD_0 src1_sel:DWORD
	v_mul_u32_u24_sdwa v109, v102, v94 dst_sel:DWORD dst_unused:UNUSED_PAD src0_sel:WORD_1 src1_sel:DWORD
	v_pk_fma_f16 v104, v64, v99, v104
	v_pk_fma_f16 v57, v64, v100, v57
	;; [unrolled: 1-line block ×3, first 2 shown]
	ds_read_b128 v[99:102], v48 offset:368
	v_pk_fma_f16 v51, v64, v105, v51
	v_pk_fma_f16 v59, v64, v107, v59
	;; [unrolled: 1-line block ×5, first 2 shown]
	s_waitcnt lgkmcnt(2)
	v_mul_u32_u24_sdwa v64, v95, v94 dst_sel:DWORD dst_unused:UNUSED_PAD src0_sel:WORD_0 src1_sel:DWORD
	v_mul_u32_u24_sdwa v95, v95, v94 dst_sel:DWORD dst_unused:UNUSED_PAD src0_sel:WORD_1 src1_sel:DWORD
	v_mul_u32_u24_sdwa v105, v96, v94 dst_sel:DWORD dst_unused:UNUSED_PAD src0_sel:WORD_0 src1_sel:DWORD
	v_mul_u32_u24_sdwa v96, v96, v94 dst_sel:DWORD dst_unused:UNUSED_PAD src0_sel:WORD_1 src1_sel:DWORD
	;; [unrolled: 2-line block ×4, first 2 shown]
	s_waitcnt lgkmcnt(1)
	v_pk_fma_f16 v51, v49, v64, v51
	v_pk_fma_f16 v104, v49, v95, v104
	;; [unrolled: 1-line block ×8, first 2 shown]
	ds_read_b128 v[95:98], v48 offset:384
	s_waitcnt lgkmcnt(1)
	v_mul_u32_u24_sdwa v105, v99, v94 dst_sel:DWORD dst_unused:UNUSED_PAD src0_sel:WORD_0 src1_sel:DWORD
	v_mul_u32_u24_sdwa v99, v99, v94 dst_sel:DWORD dst_unused:UNUSED_PAD src0_sel:WORD_1 src1_sel:DWORD
	v_add_nc_u32_e32 v106, 0xc00, v45
	v_mul_u32_u24_sdwa v107, v100, v94 dst_sel:DWORD dst_unused:UNUSED_PAD src0_sel:WORD_0 src1_sel:DWORD
	v_mul_u32_u24_sdwa v100, v100, v94 dst_sel:DWORD dst_unused:UNUSED_PAD src0_sel:WORD_1 src1_sel:DWORD
	v_mul_u32_u24_sdwa v108, v101, v94 dst_sel:DWORD dst_unused:UNUSED_PAD src0_sel:WORD_0 src1_sel:DWORD
	v_mul_u32_u24_sdwa v101, v101, v94 dst_sel:DWORD dst_unused:UNUSED_PAD src0_sel:WORD_1 src1_sel:DWORD
	ds_read2_b32 v[63:64], v106 offset1:32
	v_mul_u32_u24_sdwa v109, v102, v94 dst_sel:DWORD dst_unused:UNUSED_PAD src0_sel:WORD_0 src1_sel:DWORD
	v_mul_u32_u24_sdwa v110, v102, v94 dst_sel:DWORD dst_unused:UNUSED_PAD src0_sel:WORD_1 src1_sel:DWORD
	v_pk_fma_f16 v104, v50, v99, v104
	v_pk_fma_f16 v57, v50, v100, v57
	v_pk_fma_f16 v8, v50, v101, v8
	ds_read_b128 v[99:102], v48 offset:400
	v_pk_fma_f16 v51, v50, v105, v51
	v_pk_fma_f16 v59, v50, v107, v59
	v_pk_fma_f16 v54, v50, v108, v54
	v_pk_fma_f16 v103, v50, v109, v103
	v_pk_fma_f16 v49, v50, v110, v49
	s_waitcnt lgkmcnt(2)
	v_mul_u32_u24_sdwa v50, v95, v94 dst_sel:DWORD dst_unused:UNUSED_PAD src0_sel:WORD_0 src1_sel:DWORD
	v_mul_u32_u24_sdwa v95, v95, v94 dst_sel:DWORD dst_unused:UNUSED_PAD src0_sel:WORD_1 src1_sel:DWORD
	v_mul_u32_u24_sdwa v105, v96, v94 dst_sel:DWORD dst_unused:UNUSED_PAD src0_sel:WORD_0 src1_sel:DWORD
	v_mul_u32_u24_sdwa v96, v96, v94 dst_sel:DWORD dst_unused:UNUSED_PAD src0_sel:WORD_1 src1_sel:DWORD
	v_mul_u32_u24_sdwa v107, v97, v94 dst_sel:DWORD dst_unused:UNUSED_PAD src0_sel:WORD_0 src1_sel:DWORD
	v_mul_u32_u24_sdwa v97, v97, v94 dst_sel:DWORD dst_unused:UNUSED_PAD src0_sel:WORD_1 src1_sel:DWORD
	v_mul_u32_u24_sdwa v108, v98, v94 dst_sel:DWORD dst_unused:UNUSED_PAD src0_sel:WORD_0 src1_sel:DWORD
	v_mul_u32_u24_sdwa v109, v98, v94 dst_sel:DWORD dst_unused:UNUSED_PAD src0_sel:WORD_1 src1_sel:DWORD
	s_waitcnt lgkmcnt(1)
	v_pk_fma_f16 v104, v63, v95, v104
	v_pk_fma_f16 v59, v63, v105, v59
	v_pk_fma_f16 v57, v63, v96, v57
	v_pk_fma_f16 v54, v63, v107, v54
	v_pk_fma_f16 v8, v63, v97, v8
	v_pk_fma_f16 v103, v63, v108, v103
	ds_read_b128 v[95:98], v48 offset:416
	s_waitcnt lgkmcnt(1)
	v_mul_u32_u24_sdwa v105, v99, v94 dst_sel:DWORD dst_unused:UNUSED_PAD src0_sel:WORD_0 src1_sel:DWORD
	v_mul_u32_u24_sdwa v99, v99, v94 dst_sel:DWORD dst_unused:UNUSED_PAD src0_sel:WORD_1 src1_sel:DWORD
	v_mul_u32_u24_sdwa v107, v100, v94 dst_sel:DWORD dst_unused:UNUSED_PAD src0_sel:WORD_0 src1_sel:DWORD
	v_mul_u32_u24_sdwa v100, v100, v94 dst_sel:DWORD dst_unused:UNUSED_PAD src0_sel:WORD_1 src1_sel:DWORD
	v_mul_u32_u24_sdwa v108, v101, v94 dst_sel:DWORD dst_unused:UNUSED_PAD src0_sel:WORD_0 src1_sel:DWORD
	v_mul_u32_u24_sdwa v101, v101, v94 dst_sel:DWORD dst_unused:UNUSED_PAD src0_sel:WORD_1 src1_sel:DWORD
	v_pk_fma_f16 v51, v63, v50, v51
	v_pk_fma_f16 v63, v63, v109, v49
	ds_read2_b32 v[49:50], v106 offset0:64 offset1:96
	v_mul_u32_u24_sdwa v109, v102, v94 dst_sel:DWORD dst_unused:UNUSED_PAD src0_sel:WORD_0 src1_sel:DWORD
	v_mul_u32_u24_sdwa v110, v102, v94 dst_sel:DWORD dst_unused:UNUSED_PAD src0_sel:WORD_1 src1_sel:DWORD
	v_pk_fma_f16 v104, v64, v99, v104
	v_pk_fma_f16 v57, v64, v100, v57
	v_pk_fma_f16 v8, v64, v101, v8
	ds_read_b128 v[99:102], v48 offset:432
	v_pk_fma_f16 v51, v64, v105, v51
	v_pk_fma_f16 v59, v64, v107, v59
	v_pk_fma_f16 v54, v64, v108, v54
	v_pk_fma_f16 v103, v64, v109, v103
	v_pk_fma_f16 v63, v64, v110, v63
	s_waitcnt lgkmcnt(2)
	v_mul_u32_u24_sdwa v64, v95, v94 dst_sel:DWORD dst_unused:UNUSED_PAD src0_sel:WORD_0 src1_sel:DWORD
	v_mul_u32_u24_sdwa v95, v95, v94 dst_sel:DWORD dst_unused:UNUSED_PAD src0_sel:WORD_1 src1_sel:DWORD
	v_mul_u32_u24_sdwa v105, v96, v94 dst_sel:DWORD dst_unused:UNUSED_PAD src0_sel:WORD_0 src1_sel:DWORD
	v_mul_u32_u24_sdwa v96, v96, v94 dst_sel:DWORD dst_unused:UNUSED_PAD src0_sel:WORD_1 src1_sel:DWORD
	v_mul_u32_u24_sdwa v107, v97, v94 dst_sel:DWORD dst_unused:UNUSED_PAD src0_sel:WORD_0 src1_sel:DWORD
	v_mul_u32_u24_sdwa v97, v97, v94 dst_sel:DWORD dst_unused:UNUSED_PAD src0_sel:WORD_1 src1_sel:DWORD
	v_mul_u32_u24_sdwa v108, v98, v94 dst_sel:DWORD dst_unused:UNUSED_PAD src0_sel:WORD_0 src1_sel:DWORD
	v_mul_u32_u24_sdwa v109, v98, v94 dst_sel:DWORD dst_unused:UNUSED_PAD src0_sel:WORD_1 src1_sel:DWORD
	s_waitcnt lgkmcnt(1)
	v_pk_fma_f16 v104, v49, v95, v104
	v_pk_fma_f16 v59, v49, v105, v59
	v_pk_fma_f16 v57, v49, v96, v57
	v_pk_fma_f16 v54, v49, v107, v54
	v_pk_fma_f16 v8, v49, v97, v8
	v_pk_fma_f16 v103, v49, v108, v103
	ds_read_b128 v[95:98], v48 offset:448
	s_waitcnt lgkmcnt(1)
	v_mul_u32_u24_sdwa v105, v99, v94 dst_sel:DWORD dst_unused:UNUSED_PAD src0_sel:WORD_0 src1_sel:DWORD
	v_mul_u32_u24_sdwa v99, v99, v94 dst_sel:DWORD dst_unused:UNUSED_PAD src0_sel:WORD_1 src1_sel:DWORD
	v_mul_u32_u24_sdwa v107, v100, v94 dst_sel:DWORD dst_unused:UNUSED_PAD src0_sel:WORD_0 src1_sel:DWORD
	v_mul_u32_u24_sdwa v100, v100, v94 dst_sel:DWORD dst_unused:UNUSED_PAD src0_sel:WORD_1 src1_sel:DWORD
	v_mul_u32_u24_sdwa v108, v101, v94 dst_sel:DWORD dst_unused:UNUSED_PAD src0_sel:WORD_0 src1_sel:DWORD
	v_mul_u32_u24_sdwa v101, v101, v94 dst_sel:DWORD dst_unused:UNUSED_PAD src0_sel:WORD_1 src1_sel:DWORD
	v_pk_fma_f16 v51, v49, v64, v51
	v_pk_fma_f16 v49, v49, v109, v63
	ds_read2_b32 v[63:64], v106 offset0:128 offset1:160
	;; [unrolled: 38-line block ×3, first 2 shown]
	v_mul_u32_u24_sdwa v106, v102, v94 dst_sel:DWORD dst_unused:UNUSED_PAD src0_sel:WORD_0 src1_sel:DWORD
	v_mul_u32_u24_sdwa v109, v102, v94 dst_sel:DWORD dst_unused:UNUSED_PAD src0_sel:WORD_1 src1_sel:DWORD
	v_pk_fma_f16 v104, v64, v99, v104
	v_pk_fma_f16 v57, v64, v100, v57
	v_pk_fma_f16 v8, v64, v101, v8
	ds_read_b128 v[99:102], v48 offset:496
	v_pk_fma_f16 v51, v64, v105, v51
	v_pk_fma_f16 v59, v64, v107, v59
	;; [unrolled: 1-line block ×5, first 2 shown]
	s_waitcnt lgkmcnt(2)
	v_mul_u32_u24_sdwa v64, v95, v94 dst_sel:DWORD dst_unused:UNUSED_PAD src0_sel:WORD_0 src1_sel:DWORD
	v_mul_u32_u24_sdwa v95, v95, v94 dst_sel:DWORD dst_unused:UNUSED_PAD src0_sel:WORD_1 src1_sel:DWORD
	v_mul_u32_u24_sdwa v105, v96, v94 dst_sel:DWORD dst_unused:UNUSED_PAD src0_sel:WORD_0 src1_sel:DWORD
	v_mul_u32_u24_sdwa v96, v96, v94 dst_sel:DWORD dst_unused:UNUSED_PAD src0_sel:WORD_1 src1_sel:DWORD
	;; [unrolled: 2-line block ×4, first 2 shown]
	s_waitcnt lgkmcnt(1)
	v_pk_fma_f16 v51, v49, v64, v51
	v_pk_fma_f16 v104, v49, v95, v104
	;; [unrolled: 1-line block ×8, first 2 shown]
	ds_read_b128 v[95:98], v48 offset:512
	s_waitcnt lgkmcnt(1)
	v_mul_u32_u24_sdwa v105, v99, v94 dst_sel:DWORD dst_unused:UNUSED_PAD src0_sel:WORD_0 src1_sel:DWORD
	v_mul_u32_u24_sdwa v99, v99, v94 dst_sel:DWORD dst_unused:UNUSED_PAD src0_sel:WORD_1 src1_sel:DWORD
	v_add_nc_u32_e32 v106, 0x1000, v45
	v_mul_u32_u24_sdwa v107, v100, v94 dst_sel:DWORD dst_unused:UNUSED_PAD src0_sel:WORD_0 src1_sel:DWORD
	v_mul_u32_u24_sdwa v100, v100, v94 dst_sel:DWORD dst_unused:UNUSED_PAD src0_sel:WORD_1 src1_sel:DWORD
	v_mul_u32_u24_sdwa v108, v101, v94 dst_sel:DWORD dst_unused:UNUSED_PAD src0_sel:WORD_0 src1_sel:DWORD
	v_mul_u32_u24_sdwa v101, v101, v94 dst_sel:DWORD dst_unused:UNUSED_PAD src0_sel:WORD_1 src1_sel:DWORD
	ds_read2_b32 v[63:64], v106 offset1:32
	v_mul_u32_u24_sdwa v109, v102, v94 dst_sel:DWORD dst_unused:UNUSED_PAD src0_sel:WORD_0 src1_sel:DWORD
	v_mul_u32_u24_sdwa v110, v102, v94 dst_sel:DWORD dst_unused:UNUSED_PAD src0_sel:WORD_1 src1_sel:DWORD
	v_pk_fma_f16 v104, v50, v99, v104
	v_pk_fma_f16 v57, v50, v100, v57
	v_pk_fma_f16 v8, v50, v101, v8
	ds_read_b128 v[99:102], v48 offset:528
	v_pk_fma_f16 v51, v50, v105, v51
	v_pk_fma_f16 v59, v50, v107, v59
	v_pk_fma_f16 v54, v50, v108, v54
	v_pk_fma_f16 v103, v50, v109, v103
	v_pk_fma_f16 v49, v50, v110, v49
	s_waitcnt lgkmcnt(2)
	v_mul_u32_u24_sdwa v50, v95, v94 dst_sel:DWORD dst_unused:UNUSED_PAD src0_sel:WORD_0 src1_sel:DWORD
	v_mul_u32_u24_sdwa v95, v95, v94 dst_sel:DWORD dst_unused:UNUSED_PAD src0_sel:WORD_1 src1_sel:DWORD
	v_mul_u32_u24_sdwa v105, v96, v94 dst_sel:DWORD dst_unused:UNUSED_PAD src0_sel:WORD_0 src1_sel:DWORD
	v_mul_u32_u24_sdwa v96, v96, v94 dst_sel:DWORD dst_unused:UNUSED_PAD src0_sel:WORD_1 src1_sel:DWORD
	v_mul_u32_u24_sdwa v107, v97, v94 dst_sel:DWORD dst_unused:UNUSED_PAD src0_sel:WORD_0 src1_sel:DWORD
	v_mul_u32_u24_sdwa v97, v97, v94 dst_sel:DWORD dst_unused:UNUSED_PAD src0_sel:WORD_1 src1_sel:DWORD
	v_mul_u32_u24_sdwa v108, v98, v94 dst_sel:DWORD dst_unused:UNUSED_PAD src0_sel:WORD_0 src1_sel:DWORD
	v_mul_u32_u24_sdwa v109, v98, v94 dst_sel:DWORD dst_unused:UNUSED_PAD src0_sel:WORD_1 src1_sel:DWORD
	s_waitcnt lgkmcnt(1)
	v_pk_fma_f16 v104, v63, v95, v104
	v_pk_fma_f16 v59, v63, v105, v59
	v_pk_fma_f16 v57, v63, v96, v57
	v_pk_fma_f16 v54, v63, v107, v54
	v_pk_fma_f16 v8, v63, v97, v8
	v_pk_fma_f16 v103, v63, v108, v103
	ds_read_b128 v[95:98], v48 offset:544
	s_waitcnt lgkmcnt(1)
	v_mul_u32_u24_sdwa v105, v99, v94 dst_sel:DWORD dst_unused:UNUSED_PAD src0_sel:WORD_0 src1_sel:DWORD
	v_mul_u32_u24_sdwa v99, v99, v94 dst_sel:DWORD dst_unused:UNUSED_PAD src0_sel:WORD_1 src1_sel:DWORD
	v_mul_u32_u24_sdwa v107, v100, v94 dst_sel:DWORD dst_unused:UNUSED_PAD src0_sel:WORD_0 src1_sel:DWORD
	v_mul_u32_u24_sdwa v100, v100, v94 dst_sel:DWORD dst_unused:UNUSED_PAD src0_sel:WORD_1 src1_sel:DWORD
	v_mul_u32_u24_sdwa v108, v101, v94 dst_sel:DWORD dst_unused:UNUSED_PAD src0_sel:WORD_0 src1_sel:DWORD
	v_mul_u32_u24_sdwa v101, v101, v94 dst_sel:DWORD dst_unused:UNUSED_PAD src0_sel:WORD_1 src1_sel:DWORD
	v_pk_fma_f16 v51, v63, v50, v51
	v_pk_fma_f16 v63, v63, v109, v49
	ds_read2_b32 v[49:50], v106 offset0:64 offset1:96
	v_mul_u32_u24_sdwa v109, v102, v94 dst_sel:DWORD dst_unused:UNUSED_PAD src0_sel:WORD_0 src1_sel:DWORD
	v_mul_u32_u24_sdwa v110, v102, v94 dst_sel:DWORD dst_unused:UNUSED_PAD src0_sel:WORD_1 src1_sel:DWORD
	v_pk_fma_f16 v104, v64, v99, v104
	v_pk_fma_f16 v57, v64, v100, v57
	v_pk_fma_f16 v8, v64, v101, v8
	ds_read_b128 v[99:102], v48 offset:560
	v_pk_fma_f16 v51, v64, v105, v51
	v_pk_fma_f16 v59, v64, v107, v59
	v_pk_fma_f16 v54, v64, v108, v54
	v_pk_fma_f16 v103, v64, v109, v103
	v_pk_fma_f16 v63, v64, v110, v63
	s_waitcnt lgkmcnt(2)
	v_mul_u32_u24_sdwa v64, v95, v94 dst_sel:DWORD dst_unused:UNUSED_PAD src0_sel:WORD_0 src1_sel:DWORD
	v_mul_u32_u24_sdwa v95, v95, v94 dst_sel:DWORD dst_unused:UNUSED_PAD src0_sel:WORD_1 src1_sel:DWORD
	v_mul_u32_u24_sdwa v105, v96, v94 dst_sel:DWORD dst_unused:UNUSED_PAD src0_sel:WORD_0 src1_sel:DWORD
	v_mul_u32_u24_sdwa v96, v96, v94 dst_sel:DWORD dst_unused:UNUSED_PAD src0_sel:WORD_1 src1_sel:DWORD
	v_mul_u32_u24_sdwa v107, v97, v94 dst_sel:DWORD dst_unused:UNUSED_PAD src0_sel:WORD_0 src1_sel:DWORD
	v_mul_u32_u24_sdwa v97, v97, v94 dst_sel:DWORD dst_unused:UNUSED_PAD src0_sel:WORD_1 src1_sel:DWORD
	v_mul_u32_u24_sdwa v108, v98, v94 dst_sel:DWORD dst_unused:UNUSED_PAD src0_sel:WORD_0 src1_sel:DWORD
	v_mul_u32_u24_sdwa v109, v98, v94 dst_sel:DWORD dst_unused:UNUSED_PAD src0_sel:WORD_1 src1_sel:DWORD
	s_waitcnt lgkmcnt(1)
	v_pk_fma_f16 v104, v49, v95, v104
	v_pk_fma_f16 v59, v49, v105, v59
	v_pk_fma_f16 v57, v49, v96, v57
	v_pk_fma_f16 v54, v49, v107, v54
	v_pk_fma_f16 v8, v49, v97, v8
	v_pk_fma_f16 v103, v49, v108, v103
	ds_read_b128 v[95:98], v48 offset:576
	s_waitcnt lgkmcnt(1)
	v_mul_u32_u24_sdwa v105, v99, v94 dst_sel:DWORD dst_unused:UNUSED_PAD src0_sel:WORD_0 src1_sel:DWORD
	v_mul_u32_u24_sdwa v99, v99, v94 dst_sel:DWORD dst_unused:UNUSED_PAD src0_sel:WORD_1 src1_sel:DWORD
	v_mul_u32_u24_sdwa v107, v100, v94 dst_sel:DWORD dst_unused:UNUSED_PAD src0_sel:WORD_0 src1_sel:DWORD
	v_mul_u32_u24_sdwa v100, v100, v94 dst_sel:DWORD dst_unused:UNUSED_PAD src0_sel:WORD_1 src1_sel:DWORD
	v_mul_u32_u24_sdwa v108, v101, v94 dst_sel:DWORD dst_unused:UNUSED_PAD src0_sel:WORD_0 src1_sel:DWORD
	v_mul_u32_u24_sdwa v101, v101, v94 dst_sel:DWORD dst_unused:UNUSED_PAD src0_sel:WORD_1 src1_sel:DWORD
	v_pk_fma_f16 v51, v49, v64, v51
	v_pk_fma_f16 v49, v49, v109, v63
	ds_read2_b32 v[63:64], v106 offset0:128 offset1:160
	;; [unrolled: 38-line block ×3, first 2 shown]
	v_mul_u32_u24_sdwa v106, v102, v94 dst_sel:DWORD dst_unused:UNUSED_PAD src0_sel:WORD_0 src1_sel:DWORD
	v_mul_u32_u24_sdwa v109, v102, v94 dst_sel:DWORD dst_unused:UNUSED_PAD src0_sel:WORD_1 src1_sel:DWORD
	v_pk_fma_f16 v104, v64, v99, v104
	v_pk_fma_f16 v57, v64, v100, v57
	;; [unrolled: 1-line block ×3, first 2 shown]
	ds_read_b128 v[99:102], v48 offset:624
	v_pk_fma_f16 v51, v64, v105, v51
	v_pk_fma_f16 v59, v64, v107, v59
	;; [unrolled: 1-line block ×5, first 2 shown]
	s_waitcnt lgkmcnt(2)
	v_mul_u32_u24_sdwa v64, v95, v94 dst_sel:DWORD dst_unused:UNUSED_PAD src0_sel:WORD_0 src1_sel:DWORD
	v_mul_u32_u24_sdwa v95, v95, v94 dst_sel:DWORD dst_unused:UNUSED_PAD src0_sel:WORD_1 src1_sel:DWORD
	v_mul_u32_u24_sdwa v105, v96, v94 dst_sel:DWORD dst_unused:UNUSED_PAD src0_sel:WORD_0 src1_sel:DWORD
	v_mul_u32_u24_sdwa v96, v96, v94 dst_sel:DWORD dst_unused:UNUSED_PAD src0_sel:WORD_1 src1_sel:DWORD
	;; [unrolled: 2-line block ×4, first 2 shown]
	s_waitcnt lgkmcnt(1)
	v_pk_fma_f16 v51, v49, v64, v51
	v_pk_fma_f16 v104, v49, v95, v104
	v_pk_fma_f16 v59, v49, v105, v59
	v_pk_fma_f16 v57, v49, v96, v57
	v_pk_fma_f16 v54, v49, v106, v54
	v_pk_fma_f16 v8, v49, v97, v8
	v_pk_fma_f16 v103, v49, v107, v103
	v_pk_fma_f16 v49, v49, v98, v63
	ds_read_b128 v[95:98], v48 offset:640
	s_waitcnt lgkmcnt(1)
	v_mul_u32_u24_sdwa v105, v99, v94 dst_sel:DWORD dst_unused:UNUSED_PAD src0_sel:WORD_0 src1_sel:DWORD
	v_mul_u32_u24_sdwa v99, v99, v94 dst_sel:DWORD dst_unused:UNUSED_PAD src0_sel:WORD_1 src1_sel:DWORD
	v_add_nc_u32_e32 v106, 0x1400, v45
	v_mul_u32_u24_sdwa v107, v100, v94 dst_sel:DWORD dst_unused:UNUSED_PAD src0_sel:WORD_0 src1_sel:DWORD
	v_mul_u32_u24_sdwa v100, v100, v94 dst_sel:DWORD dst_unused:UNUSED_PAD src0_sel:WORD_1 src1_sel:DWORD
	v_mul_u32_u24_sdwa v108, v101, v94 dst_sel:DWORD dst_unused:UNUSED_PAD src0_sel:WORD_0 src1_sel:DWORD
	v_mul_u32_u24_sdwa v101, v101, v94 dst_sel:DWORD dst_unused:UNUSED_PAD src0_sel:WORD_1 src1_sel:DWORD
	ds_read2_b32 v[63:64], v106 offset1:32
	v_mul_u32_u24_sdwa v109, v102, v94 dst_sel:DWORD dst_unused:UNUSED_PAD src0_sel:WORD_0 src1_sel:DWORD
	v_mul_u32_u24_sdwa v110, v102, v94 dst_sel:DWORD dst_unused:UNUSED_PAD src0_sel:WORD_1 src1_sel:DWORD
	v_pk_fma_f16 v104, v50, v99, v104
	v_pk_fma_f16 v57, v50, v100, v57
	v_pk_fma_f16 v8, v50, v101, v8
	ds_read_b128 v[99:102], v48 offset:656
	v_pk_fma_f16 v51, v50, v105, v51
	v_pk_fma_f16 v59, v50, v107, v59
	v_pk_fma_f16 v54, v50, v108, v54
	v_pk_fma_f16 v103, v50, v109, v103
	v_pk_fma_f16 v49, v50, v110, v49
	s_waitcnt lgkmcnt(2)
	v_mul_u32_u24_sdwa v50, v95, v94 dst_sel:DWORD dst_unused:UNUSED_PAD src0_sel:WORD_0 src1_sel:DWORD
	v_mul_u32_u24_sdwa v95, v95, v94 dst_sel:DWORD dst_unused:UNUSED_PAD src0_sel:WORD_1 src1_sel:DWORD
	v_mul_u32_u24_sdwa v105, v96, v94 dst_sel:DWORD dst_unused:UNUSED_PAD src0_sel:WORD_0 src1_sel:DWORD
	v_mul_u32_u24_sdwa v96, v96, v94 dst_sel:DWORD dst_unused:UNUSED_PAD src0_sel:WORD_1 src1_sel:DWORD
	v_mul_u32_u24_sdwa v107, v97, v94 dst_sel:DWORD dst_unused:UNUSED_PAD src0_sel:WORD_0 src1_sel:DWORD
	v_mul_u32_u24_sdwa v97, v97, v94 dst_sel:DWORD dst_unused:UNUSED_PAD src0_sel:WORD_1 src1_sel:DWORD
	v_mul_u32_u24_sdwa v108, v98, v94 dst_sel:DWORD dst_unused:UNUSED_PAD src0_sel:WORD_0 src1_sel:DWORD
	v_mul_u32_u24_sdwa v109, v98, v94 dst_sel:DWORD dst_unused:UNUSED_PAD src0_sel:WORD_1 src1_sel:DWORD
	s_waitcnt lgkmcnt(1)
	v_pk_fma_f16 v104, v63, v95, v104
	v_pk_fma_f16 v59, v63, v105, v59
	v_pk_fma_f16 v57, v63, v96, v57
	v_pk_fma_f16 v54, v63, v107, v54
	v_pk_fma_f16 v8, v63, v97, v8
	v_pk_fma_f16 v103, v63, v108, v103
	ds_read_b128 v[95:98], v48 offset:672
	s_waitcnt lgkmcnt(1)
	v_mul_u32_u24_sdwa v105, v99, v94 dst_sel:DWORD dst_unused:UNUSED_PAD src0_sel:WORD_0 src1_sel:DWORD
	v_mul_u32_u24_sdwa v99, v99, v94 dst_sel:DWORD dst_unused:UNUSED_PAD src0_sel:WORD_1 src1_sel:DWORD
	v_mul_u32_u24_sdwa v107, v100, v94 dst_sel:DWORD dst_unused:UNUSED_PAD src0_sel:WORD_0 src1_sel:DWORD
	v_mul_u32_u24_sdwa v100, v100, v94 dst_sel:DWORD dst_unused:UNUSED_PAD src0_sel:WORD_1 src1_sel:DWORD
	v_mul_u32_u24_sdwa v108, v101, v94 dst_sel:DWORD dst_unused:UNUSED_PAD src0_sel:WORD_0 src1_sel:DWORD
	v_mul_u32_u24_sdwa v101, v101, v94 dst_sel:DWORD dst_unused:UNUSED_PAD src0_sel:WORD_1 src1_sel:DWORD
	v_pk_fma_f16 v51, v63, v50, v51
	v_pk_fma_f16 v63, v63, v109, v49
	ds_read2_b32 v[49:50], v106 offset0:64 offset1:96
	v_mul_u32_u24_sdwa v109, v102, v94 dst_sel:DWORD dst_unused:UNUSED_PAD src0_sel:WORD_0 src1_sel:DWORD
	v_mul_u32_u24_sdwa v110, v102, v94 dst_sel:DWORD dst_unused:UNUSED_PAD src0_sel:WORD_1 src1_sel:DWORD
	v_pk_fma_f16 v104, v64, v99, v104
	v_pk_fma_f16 v57, v64, v100, v57
	v_pk_fma_f16 v8, v64, v101, v8
	ds_read_b128 v[99:102], v48 offset:688
	v_pk_fma_f16 v51, v64, v105, v51
	v_pk_fma_f16 v59, v64, v107, v59
	v_pk_fma_f16 v54, v64, v108, v54
	v_pk_fma_f16 v103, v64, v109, v103
	v_pk_fma_f16 v63, v64, v110, v63
	s_waitcnt lgkmcnt(2)
	v_mul_u32_u24_sdwa v64, v95, v94 dst_sel:DWORD dst_unused:UNUSED_PAD src0_sel:WORD_0 src1_sel:DWORD
	v_mul_u32_u24_sdwa v95, v95, v94 dst_sel:DWORD dst_unused:UNUSED_PAD src0_sel:WORD_1 src1_sel:DWORD
	v_mul_u32_u24_sdwa v105, v96, v94 dst_sel:DWORD dst_unused:UNUSED_PAD src0_sel:WORD_0 src1_sel:DWORD
	v_mul_u32_u24_sdwa v96, v96, v94 dst_sel:DWORD dst_unused:UNUSED_PAD src0_sel:WORD_1 src1_sel:DWORD
	v_mul_u32_u24_sdwa v107, v97, v94 dst_sel:DWORD dst_unused:UNUSED_PAD src0_sel:WORD_0 src1_sel:DWORD
	v_mul_u32_u24_sdwa v97, v97, v94 dst_sel:DWORD dst_unused:UNUSED_PAD src0_sel:WORD_1 src1_sel:DWORD
	v_mul_u32_u24_sdwa v108, v98, v94 dst_sel:DWORD dst_unused:UNUSED_PAD src0_sel:WORD_0 src1_sel:DWORD
	v_mul_u32_u24_sdwa v109, v98, v94 dst_sel:DWORD dst_unused:UNUSED_PAD src0_sel:WORD_1 src1_sel:DWORD
	s_waitcnt lgkmcnt(1)
	v_pk_fma_f16 v104, v49, v95, v104
	v_pk_fma_f16 v59, v49, v105, v59
	v_pk_fma_f16 v57, v49, v96, v57
	v_pk_fma_f16 v54, v49, v107, v54
	v_pk_fma_f16 v8, v49, v97, v8
	v_pk_fma_f16 v103, v49, v108, v103
	ds_read_b128 v[95:98], v48 offset:704
	s_waitcnt lgkmcnt(1)
	v_mul_u32_u24_sdwa v105, v99, v94 dst_sel:DWORD dst_unused:UNUSED_PAD src0_sel:WORD_0 src1_sel:DWORD
	v_mul_u32_u24_sdwa v99, v99, v94 dst_sel:DWORD dst_unused:UNUSED_PAD src0_sel:WORD_1 src1_sel:DWORD
	v_mul_u32_u24_sdwa v107, v100, v94 dst_sel:DWORD dst_unused:UNUSED_PAD src0_sel:WORD_0 src1_sel:DWORD
	v_mul_u32_u24_sdwa v100, v100, v94 dst_sel:DWORD dst_unused:UNUSED_PAD src0_sel:WORD_1 src1_sel:DWORD
	v_mul_u32_u24_sdwa v108, v101, v94 dst_sel:DWORD dst_unused:UNUSED_PAD src0_sel:WORD_0 src1_sel:DWORD
	v_mul_u32_u24_sdwa v101, v101, v94 dst_sel:DWORD dst_unused:UNUSED_PAD src0_sel:WORD_1 src1_sel:DWORD
	v_pk_fma_f16 v51, v49, v64, v51
	v_pk_fma_f16 v49, v49, v109, v63
	ds_read2_b32 v[63:64], v106 offset0:128 offset1:160
	;; [unrolled: 38-line block ×3, first 2 shown]
	v_mul_u32_u24_sdwa v106, v102, v94 dst_sel:DWORD dst_unused:UNUSED_PAD src0_sel:WORD_0 src1_sel:DWORD
	v_mul_u32_u24_sdwa v109, v102, v94 dst_sel:DWORD dst_unused:UNUSED_PAD src0_sel:WORD_1 src1_sel:DWORD
	v_pk_fma_f16 v104, v64, v99, v104
	v_pk_fma_f16 v57, v64, v100, v57
	;; [unrolled: 1-line block ×3, first 2 shown]
	ds_read_b128 v[99:102], v48 offset:752
	v_pk_fma_f16 v51, v64, v105, v51
	v_pk_fma_f16 v59, v64, v107, v59
	v_pk_fma_f16 v54, v64, v108, v54
	v_pk_fma_f16 v103, v64, v106, v103
	v_pk_fma_f16 v63, v64, v109, v63
	s_waitcnt lgkmcnt(2)
	v_mul_u32_u24_sdwa v64, v95, v94 dst_sel:DWORD dst_unused:UNUSED_PAD src0_sel:WORD_0 src1_sel:DWORD
	v_mul_u32_u24_sdwa v95, v95, v94 dst_sel:DWORD dst_unused:UNUSED_PAD src0_sel:WORD_1 src1_sel:DWORD
	v_mul_u32_u24_sdwa v105, v96, v94 dst_sel:DWORD dst_unused:UNUSED_PAD src0_sel:WORD_0 src1_sel:DWORD
	v_mul_u32_u24_sdwa v96, v96, v94 dst_sel:DWORD dst_unused:UNUSED_PAD src0_sel:WORD_1 src1_sel:DWORD
	;; [unrolled: 2-line block ×4, first 2 shown]
	s_waitcnt lgkmcnt(1)
	v_pk_fma_f16 v51, v49, v64, v51
	v_pk_fma_f16 v104, v49, v95, v104
	;; [unrolled: 1-line block ×8, first 2 shown]
	ds_read_b128 v[95:98], v48 offset:768
	s_waitcnt lgkmcnt(1)
	v_mul_u32_u24_sdwa v105, v99, v94 dst_sel:DWORD dst_unused:UNUSED_PAD src0_sel:WORD_0 src1_sel:DWORD
	v_mul_u32_u24_sdwa v99, v99, v94 dst_sel:DWORD dst_unused:UNUSED_PAD src0_sel:WORD_1 src1_sel:DWORD
	v_add_nc_u32_e32 v106, 0x1800, v45
	v_mul_u32_u24_sdwa v107, v100, v94 dst_sel:DWORD dst_unused:UNUSED_PAD src0_sel:WORD_0 src1_sel:DWORD
	v_mul_u32_u24_sdwa v100, v100, v94 dst_sel:DWORD dst_unused:UNUSED_PAD src0_sel:WORD_1 src1_sel:DWORD
	v_mul_u32_u24_sdwa v108, v101, v94 dst_sel:DWORD dst_unused:UNUSED_PAD src0_sel:WORD_0 src1_sel:DWORD
	v_mul_u32_u24_sdwa v101, v101, v94 dst_sel:DWORD dst_unused:UNUSED_PAD src0_sel:WORD_1 src1_sel:DWORD
	ds_read2_b32 v[63:64], v106 offset1:32
	v_mul_u32_u24_sdwa v109, v102, v94 dst_sel:DWORD dst_unused:UNUSED_PAD src0_sel:WORD_0 src1_sel:DWORD
	v_mul_u32_u24_sdwa v110, v102, v94 dst_sel:DWORD dst_unused:UNUSED_PAD src0_sel:WORD_1 src1_sel:DWORD
	v_pk_fma_f16 v104, v50, v99, v104
	v_pk_fma_f16 v57, v50, v100, v57
	v_pk_fma_f16 v8, v50, v101, v8
	ds_read_b128 v[99:102], v48 offset:784
	v_pk_fma_f16 v51, v50, v105, v51
	v_pk_fma_f16 v59, v50, v107, v59
	v_pk_fma_f16 v54, v50, v108, v54
	v_pk_fma_f16 v103, v50, v109, v103
	v_pk_fma_f16 v49, v50, v110, v49
	s_waitcnt lgkmcnt(2)
	v_mul_u32_u24_sdwa v50, v95, v94 dst_sel:DWORD dst_unused:UNUSED_PAD src0_sel:WORD_0 src1_sel:DWORD
	v_mul_u32_u24_sdwa v95, v95, v94 dst_sel:DWORD dst_unused:UNUSED_PAD src0_sel:WORD_1 src1_sel:DWORD
	v_mul_u32_u24_sdwa v105, v96, v94 dst_sel:DWORD dst_unused:UNUSED_PAD src0_sel:WORD_0 src1_sel:DWORD
	v_mul_u32_u24_sdwa v96, v96, v94 dst_sel:DWORD dst_unused:UNUSED_PAD src0_sel:WORD_1 src1_sel:DWORD
	v_mul_u32_u24_sdwa v107, v97, v94 dst_sel:DWORD dst_unused:UNUSED_PAD src0_sel:WORD_0 src1_sel:DWORD
	v_mul_u32_u24_sdwa v97, v97, v94 dst_sel:DWORD dst_unused:UNUSED_PAD src0_sel:WORD_1 src1_sel:DWORD
	v_mul_u32_u24_sdwa v108, v98, v94 dst_sel:DWORD dst_unused:UNUSED_PAD src0_sel:WORD_0 src1_sel:DWORD
	v_mul_u32_u24_sdwa v109, v98, v94 dst_sel:DWORD dst_unused:UNUSED_PAD src0_sel:WORD_1 src1_sel:DWORD
	s_waitcnt lgkmcnt(1)
	v_pk_fma_f16 v104, v63, v95, v104
	v_pk_fma_f16 v59, v63, v105, v59
	v_pk_fma_f16 v57, v63, v96, v57
	v_pk_fma_f16 v54, v63, v107, v54
	v_pk_fma_f16 v8, v63, v97, v8
	v_pk_fma_f16 v103, v63, v108, v103
	ds_read_b128 v[95:98], v48 offset:800
	s_waitcnt lgkmcnt(1)
	v_mul_u32_u24_sdwa v105, v99, v94 dst_sel:DWORD dst_unused:UNUSED_PAD src0_sel:WORD_0 src1_sel:DWORD
	v_mul_u32_u24_sdwa v99, v99, v94 dst_sel:DWORD dst_unused:UNUSED_PAD src0_sel:WORD_1 src1_sel:DWORD
	v_mul_u32_u24_sdwa v107, v100, v94 dst_sel:DWORD dst_unused:UNUSED_PAD src0_sel:WORD_0 src1_sel:DWORD
	v_mul_u32_u24_sdwa v100, v100, v94 dst_sel:DWORD dst_unused:UNUSED_PAD src0_sel:WORD_1 src1_sel:DWORD
	v_mul_u32_u24_sdwa v108, v101, v94 dst_sel:DWORD dst_unused:UNUSED_PAD src0_sel:WORD_0 src1_sel:DWORD
	v_mul_u32_u24_sdwa v101, v101, v94 dst_sel:DWORD dst_unused:UNUSED_PAD src0_sel:WORD_1 src1_sel:DWORD
	v_pk_fma_f16 v51, v63, v50, v51
	v_pk_fma_f16 v63, v63, v109, v49
	ds_read2_b32 v[49:50], v106 offset0:64 offset1:96
	v_mul_u32_u24_sdwa v109, v102, v94 dst_sel:DWORD dst_unused:UNUSED_PAD src0_sel:WORD_0 src1_sel:DWORD
	v_mul_u32_u24_sdwa v110, v102, v94 dst_sel:DWORD dst_unused:UNUSED_PAD src0_sel:WORD_1 src1_sel:DWORD
	v_pk_fma_f16 v104, v64, v99, v104
	v_pk_fma_f16 v57, v64, v100, v57
	v_pk_fma_f16 v8, v64, v101, v8
	ds_read_b128 v[99:102], v48 offset:816
	v_pk_fma_f16 v51, v64, v105, v51
	v_pk_fma_f16 v59, v64, v107, v59
	v_pk_fma_f16 v54, v64, v108, v54
	v_pk_fma_f16 v103, v64, v109, v103
	v_pk_fma_f16 v63, v64, v110, v63
	s_waitcnt lgkmcnt(2)
	v_mul_u32_u24_sdwa v64, v95, v94 dst_sel:DWORD dst_unused:UNUSED_PAD src0_sel:WORD_0 src1_sel:DWORD
	v_mul_u32_u24_sdwa v95, v95, v94 dst_sel:DWORD dst_unused:UNUSED_PAD src0_sel:WORD_1 src1_sel:DWORD
	v_mul_u32_u24_sdwa v105, v96, v94 dst_sel:DWORD dst_unused:UNUSED_PAD src0_sel:WORD_0 src1_sel:DWORD
	v_mul_u32_u24_sdwa v96, v96, v94 dst_sel:DWORD dst_unused:UNUSED_PAD src0_sel:WORD_1 src1_sel:DWORD
	v_mul_u32_u24_sdwa v107, v97, v94 dst_sel:DWORD dst_unused:UNUSED_PAD src0_sel:WORD_0 src1_sel:DWORD
	v_mul_u32_u24_sdwa v97, v97, v94 dst_sel:DWORD dst_unused:UNUSED_PAD src0_sel:WORD_1 src1_sel:DWORD
	v_mul_u32_u24_sdwa v108, v98, v94 dst_sel:DWORD dst_unused:UNUSED_PAD src0_sel:WORD_0 src1_sel:DWORD
	v_mul_u32_u24_sdwa v109, v98, v94 dst_sel:DWORD dst_unused:UNUSED_PAD src0_sel:WORD_1 src1_sel:DWORD
	s_waitcnt lgkmcnt(1)
	v_pk_fma_f16 v104, v49, v95, v104
	v_pk_fma_f16 v59, v49, v105, v59
	v_pk_fma_f16 v57, v49, v96, v57
	v_pk_fma_f16 v54, v49, v107, v54
	v_pk_fma_f16 v8, v49, v97, v8
	v_pk_fma_f16 v103, v49, v108, v103
	ds_read_b128 v[95:98], v48 offset:832
	s_waitcnt lgkmcnt(1)
	v_mul_u32_u24_sdwa v105, v99, v94 dst_sel:DWORD dst_unused:UNUSED_PAD src0_sel:WORD_0 src1_sel:DWORD
	v_mul_u32_u24_sdwa v99, v99, v94 dst_sel:DWORD dst_unused:UNUSED_PAD src0_sel:WORD_1 src1_sel:DWORD
	v_mul_u32_u24_sdwa v107, v100, v94 dst_sel:DWORD dst_unused:UNUSED_PAD src0_sel:WORD_0 src1_sel:DWORD
	v_mul_u32_u24_sdwa v100, v100, v94 dst_sel:DWORD dst_unused:UNUSED_PAD src0_sel:WORD_1 src1_sel:DWORD
	v_mul_u32_u24_sdwa v108, v101, v94 dst_sel:DWORD dst_unused:UNUSED_PAD src0_sel:WORD_0 src1_sel:DWORD
	v_mul_u32_u24_sdwa v101, v101, v94 dst_sel:DWORD dst_unused:UNUSED_PAD src0_sel:WORD_1 src1_sel:DWORD
	v_pk_fma_f16 v51, v49, v64, v51
	v_pk_fma_f16 v49, v49, v109, v63
	ds_read2_b32 v[63:64], v106 offset0:128 offset1:160
	;; [unrolled: 38-line block ×3, first 2 shown]
	v_mul_u32_u24_sdwa v106, v102, v94 dst_sel:DWORD dst_unused:UNUSED_PAD src0_sel:WORD_0 src1_sel:DWORD
	v_mul_u32_u24_sdwa v109, v102, v94 dst_sel:DWORD dst_unused:UNUSED_PAD src0_sel:WORD_1 src1_sel:DWORD
	v_pk_fma_f16 v104, v64, v99, v104
	v_pk_fma_f16 v57, v64, v100, v57
	;; [unrolled: 1-line block ×3, first 2 shown]
	ds_read_b128 v[99:102], v48 offset:880
	v_pk_fma_f16 v51, v64, v105, v51
	v_pk_fma_f16 v59, v64, v107, v59
	;; [unrolled: 1-line block ×5, first 2 shown]
	s_waitcnt lgkmcnt(2)
	v_mul_u32_u24_sdwa v64, v95, v94 dst_sel:DWORD dst_unused:UNUSED_PAD src0_sel:WORD_0 src1_sel:DWORD
	v_mul_u32_u24_sdwa v95, v95, v94 dst_sel:DWORD dst_unused:UNUSED_PAD src0_sel:WORD_1 src1_sel:DWORD
	v_mul_u32_u24_sdwa v105, v96, v94 dst_sel:DWORD dst_unused:UNUSED_PAD src0_sel:WORD_0 src1_sel:DWORD
	v_mul_u32_u24_sdwa v96, v96, v94 dst_sel:DWORD dst_unused:UNUSED_PAD src0_sel:WORD_1 src1_sel:DWORD
	;; [unrolled: 2-line block ×4, first 2 shown]
	s_waitcnt lgkmcnt(1)
	v_pk_fma_f16 v51, v49, v64, v51
	v_pk_fma_f16 v104, v49, v95, v104
	;; [unrolled: 1-line block ×8, first 2 shown]
	ds_read_b128 v[95:98], v48 offset:896
	s_waitcnt lgkmcnt(1)
	v_mul_u32_u24_sdwa v105, v99, v94 dst_sel:DWORD dst_unused:UNUSED_PAD src0_sel:WORD_0 src1_sel:DWORD
	v_mul_u32_u24_sdwa v99, v99, v94 dst_sel:DWORD dst_unused:UNUSED_PAD src0_sel:WORD_1 src1_sel:DWORD
	v_add_nc_u32_e32 v106, 0x1c00, v45
	v_mul_u32_u24_sdwa v107, v100, v94 dst_sel:DWORD dst_unused:UNUSED_PAD src0_sel:WORD_0 src1_sel:DWORD
	v_mul_u32_u24_sdwa v100, v100, v94 dst_sel:DWORD dst_unused:UNUSED_PAD src0_sel:WORD_1 src1_sel:DWORD
	v_mul_u32_u24_sdwa v108, v101, v94 dst_sel:DWORD dst_unused:UNUSED_PAD src0_sel:WORD_0 src1_sel:DWORD
	v_mul_u32_u24_sdwa v101, v101, v94 dst_sel:DWORD dst_unused:UNUSED_PAD src0_sel:WORD_1 src1_sel:DWORD
	ds_read2_b32 v[63:64], v106 offset1:32
	v_mul_u32_u24_sdwa v109, v102, v94 dst_sel:DWORD dst_unused:UNUSED_PAD src0_sel:WORD_0 src1_sel:DWORD
	v_mul_u32_u24_sdwa v110, v102, v94 dst_sel:DWORD dst_unused:UNUSED_PAD src0_sel:WORD_1 src1_sel:DWORD
	v_pk_fma_f16 v104, v50, v99, v104
	v_pk_fma_f16 v57, v50, v100, v57
	;; [unrolled: 1-line block ×3, first 2 shown]
	ds_read_b128 v[99:102], v48 offset:912
	v_pk_fma_f16 v51, v50, v105, v51
	v_pk_fma_f16 v59, v50, v107, v59
	;; [unrolled: 1-line block ×5, first 2 shown]
	s_waitcnt lgkmcnt(2)
	v_mul_u32_u24_sdwa v50, v95, v94 dst_sel:DWORD dst_unused:UNUSED_PAD src0_sel:WORD_0 src1_sel:DWORD
	v_mul_u32_u24_sdwa v95, v95, v94 dst_sel:DWORD dst_unused:UNUSED_PAD src0_sel:WORD_1 src1_sel:DWORD
	v_mul_u32_u24_sdwa v105, v96, v94 dst_sel:DWORD dst_unused:UNUSED_PAD src0_sel:WORD_0 src1_sel:DWORD
	v_mul_u32_u24_sdwa v96, v96, v94 dst_sel:DWORD dst_unused:UNUSED_PAD src0_sel:WORD_1 src1_sel:DWORD
	;; [unrolled: 2-line block ×4, first 2 shown]
	s_waitcnt lgkmcnt(1)
	v_pk_fma_f16 v104, v63, v95, v104
	v_pk_fma_f16 v59, v63, v105, v59
	;; [unrolled: 1-line block ×6, first 2 shown]
	ds_read_b128 v[95:98], v48 offset:928
	s_waitcnt lgkmcnt(1)
	v_mul_u32_u24_sdwa v105, v99, v94 dst_sel:DWORD dst_unused:UNUSED_PAD src0_sel:WORD_0 src1_sel:DWORD
	v_mul_u32_u24_sdwa v99, v99, v94 dst_sel:DWORD dst_unused:UNUSED_PAD src0_sel:WORD_1 src1_sel:DWORD
	v_mul_u32_u24_sdwa v107, v100, v94 dst_sel:DWORD dst_unused:UNUSED_PAD src0_sel:WORD_0 src1_sel:DWORD
	v_mul_u32_u24_sdwa v100, v100, v94 dst_sel:DWORD dst_unused:UNUSED_PAD src0_sel:WORD_1 src1_sel:DWORD
	;; [unrolled: 2-line block ×3, first 2 shown]
	v_pk_fma_f16 v51, v63, v50, v51
	v_pk_fma_f16 v63, v63, v109, v49
	ds_read2_b32 v[49:50], v106 offset0:64 offset1:96
	v_mul_u32_u24_sdwa v109, v102, v94 dst_sel:DWORD dst_unused:UNUSED_PAD src0_sel:WORD_0 src1_sel:DWORD
	v_mul_u32_u24_sdwa v110, v102, v94 dst_sel:DWORD dst_unused:UNUSED_PAD src0_sel:WORD_1 src1_sel:DWORD
	v_pk_fma_f16 v104, v64, v99, v104
	v_pk_fma_f16 v57, v64, v100, v57
	;; [unrolled: 1-line block ×3, first 2 shown]
	ds_read_b128 v[99:102], v48 offset:944
	v_pk_fma_f16 v51, v64, v105, v51
	v_pk_fma_f16 v59, v64, v107, v59
	;; [unrolled: 1-line block ×5, first 2 shown]
	s_waitcnt lgkmcnt(2)
	v_mul_u32_u24_sdwa v64, v95, v94 dst_sel:DWORD dst_unused:UNUSED_PAD src0_sel:WORD_0 src1_sel:DWORD
	v_mul_u32_u24_sdwa v95, v95, v94 dst_sel:DWORD dst_unused:UNUSED_PAD src0_sel:WORD_1 src1_sel:DWORD
	v_mul_u32_u24_sdwa v105, v96, v94 dst_sel:DWORD dst_unused:UNUSED_PAD src0_sel:WORD_0 src1_sel:DWORD
	v_mul_u32_u24_sdwa v96, v96, v94 dst_sel:DWORD dst_unused:UNUSED_PAD src0_sel:WORD_1 src1_sel:DWORD
	;; [unrolled: 2-line block ×4, first 2 shown]
	s_waitcnt lgkmcnt(1)
	v_pk_fma_f16 v104, v49, v95, v104
	v_pk_fma_f16 v59, v49, v105, v59
	;; [unrolled: 1-line block ×6, first 2 shown]
	ds_read_b128 v[95:98], v48 offset:960
	s_waitcnt lgkmcnt(1)
	v_mul_u32_u24_sdwa v105, v99, v94 dst_sel:DWORD dst_unused:UNUSED_PAD src0_sel:WORD_0 src1_sel:DWORD
	v_mul_u32_u24_sdwa v99, v99, v94 dst_sel:DWORD dst_unused:UNUSED_PAD src0_sel:WORD_1 src1_sel:DWORD
	v_mul_u32_u24_sdwa v107, v100, v94 dst_sel:DWORD dst_unused:UNUSED_PAD src0_sel:WORD_0 src1_sel:DWORD
	v_mul_u32_u24_sdwa v100, v100, v94 dst_sel:DWORD dst_unused:UNUSED_PAD src0_sel:WORD_1 src1_sel:DWORD
	;; [unrolled: 2-line block ×3, first 2 shown]
	v_pk_fma_f16 v51, v49, v64, v51
	v_pk_fma_f16 v49, v49, v109, v63
	ds_read2_b32 v[63:64], v106 offset0:128 offset1:160
	v_mul_u32_u24_sdwa v109, v102, v94 dst_sel:DWORD dst_unused:UNUSED_PAD src0_sel:WORD_0 src1_sel:DWORD
	v_mul_u32_u24_sdwa v110, v102, v94 dst_sel:DWORD dst_unused:UNUSED_PAD src0_sel:WORD_1 src1_sel:DWORD
	v_pk_fma_f16 v104, v50, v99, v104
	v_pk_fma_f16 v57, v50, v100, v57
	;; [unrolled: 1-line block ×3, first 2 shown]
	ds_read_b128 v[99:102], v48 offset:976
	v_pk_fma_f16 v51, v50, v105, v51
	v_pk_fma_f16 v59, v50, v107, v59
	;; [unrolled: 1-line block ×5, first 2 shown]
	s_waitcnt lgkmcnt(2)
	v_mul_u32_u24_sdwa v50, v95, v94 dst_sel:DWORD dst_unused:UNUSED_PAD src0_sel:WORD_0 src1_sel:DWORD
	v_mul_u32_u24_sdwa v95, v95, v94 dst_sel:DWORD dst_unused:UNUSED_PAD src0_sel:WORD_1 src1_sel:DWORD
	v_mul_u32_u24_sdwa v105, v96, v94 dst_sel:DWORD dst_unused:UNUSED_PAD src0_sel:WORD_0 src1_sel:DWORD
	v_mul_u32_u24_sdwa v96, v96, v94 dst_sel:DWORD dst_unused:UNUSED_PAD src0_sel:WORD_1 src1_sel:DWORD
	;; [unrolled: 2-line block ×4, first 2 shown]
	s_waitcnt lgkmcnt(1)
	v_pk_fma_f16 v50, v63, v50, v51
	v_pk_fma_f16 v51, v63, v95, v104
	;; [unrolled: 1-line block ×7, first 2 shown]
	ds_read_b128 v[95:98], v48 offset:992
	v_pk_fma_f16 v49, v63, v109, v49
	s_waitcnt lgkmcnt(1)
	v_mul_u32_u24_sdwa v63, v99, v94 dst_sel:DWORD dst_unused:UNUSED_PAD src0_sel:WORD_0 src1_sel:DWORD
	v_mul_u32_u24_sdwa v99, v99, v94 dst_sel:DWORD dst_unused:UNUSED_PAD src0_sel:WORD_1 src1_sel:DWORD
	v_mul_u32_u24_sdwa v107, v100, v94 dst_sel:DWORD dst_unused:UNUSED_PAD src0_sel:WORD_0 src1_sel:DWORD
	v_mul_u32_u24_sdwa v100, v100, v94 dst_sel:DWORD dst_unused:UNUSED_PAD src0_sel:WORD_1 src1_sel:DWORD
	;; [unrolled: 2-line block ×3, first 2 shown]
	ds_read2_b32 v[103:104], v106 offset0:192 offset1:224
	v_mul_u32_u24_sdwa v106, v102, v94 dst_sel:DWORD dst_unused:UNUSED_PAD src0_sel:WORD_0 src1_sel:DWORD
	v_mul_u32_u24_sdwa v102, v102, v94 dst_sel:DWORD dst_unused:UNUSED_PAD src0_sel:WORD_1 src1_sel:DWORD
	v_pk_fma_f16 v51, v64, v99, v51
	v_pk_fma_f16 v57, v64, v100, v57
	;; [unrolled: 1-line block ×5, first 2 shown]
	ds_read_b128 v[99:102], v48 offset:1008
	s_waitcnt lgkmcnt(0)
	s_barrier
	buffer_gl0_inv
	s_load_dword s16, s[6:7], 0x4
	v_pk_fma_f16 v59, v64, v107, v59
	v_pk_fma_f16 v54, v64, v108, v54
	;; [unrolled: 1-line block ×3, first 2 shown]
	v_mul_u32_u24_sdwa v64, v95, v94 dst_sel:DWORD dst_unused:UNUSED_PAD src0_sel:WORD_0 src1_sel:DWORD
	v_mul_u32_u24_sdwa v95, v95, v94 dst_sel:DWORD dst_unused:UNUSED_PAD src0_sel:WORD_1 src1_sel:DWORD
	v_mul_u32_u24_sdwa v105, v96, v94 dst_sel:DWORD dst_unused:UNUSED_PAD src0_sel:WORD_0 src1_sel:DWORD
	v_mul_u32_u24_sdwa v96, v96, v94 dst_sel:DWORD dst_unused:UNUSED_PAD src0_sel:WORD_1 src1_sel:DWORD
	;; [unrolled: 2-line block ×4, first 2 shown]
	v_pk_fma_f16 v50, v103, v64, v50
	v_pk_fma_f16 v51, v103, v95, v51
	;; [unrolled: 1-line block ×8, first 2 shown]
	v_mul_u32_u24_sdwa v63, v99, v94 dst_sel:DWORD dst_unused:UNUSED_PAD src0_sel:WORD_0 src1_sel:DWORD
	v_mul_u32_u24_sdwa v96, v99, v94 dst_sel:DWORD dst_unused:UNUSED_PAD src0_sel:WORD_1 src1_sel:DWORD
	v_mul_u32_u24_sdwa v97, v100, v94 dst_sel:DWORD dst_unused:UNUSED_PAD src0_sel:WORD_0 src1_sel:DWORD
	v_mul_u32_u24_sdwa v98, v100, v94 dst_sel:DWORD dst_unused:UNUSED_PAD src0_sel:WORD_1 src1_sel:DWORD
	;; [unrolled: 2-line block ×4, first 2 shown]
	s_waitcnt lgkmcnt(0)
	s_lshl_b32 s16, s16, 6
	v_pk_fma_f16 v64, v104, v63, v50
	v_pk_fma_f16 v63, v104, v96, v51
	;; [unrolled: 1-line block ×8, first 2 shown]
	s_add_i32 s12, s16, s12
	s_cmp_lt_i32 s12, s10
	s_cbranch_scc0 .LBB56_44
; %bb.42:                               ;   in Loop: Header=BB56_8 Depth=1
	v_mov_b32_e32 v108, v9
	v_mov_b32_e32 v109, v10
	;; [unrolled: 1-line block ×16, first 2 shown]
	s_branch .LBB56_8
.LBB56_43:
	v_mov_b32_e32 v9, 0xfeffffff
	v_mov_b32_e32 v64, 0
	;; [unrolled: 1-line block ×23, first 2 shown]
.LBB56_44:
	v_lshlrev_b32_e32 v46, 1, v0
	s_cmp_gt_i32 s48, s12
	s_cbranch_scc1 .LBB56_47
; %bb.45:
	v_mbcnt_lo_u32_b32 v2, -1, 0
	v_mov_b32_e32 v21, 32
	v_xor_b32_e32 v24, 16, v2
	v_xor_b32_e32 v23, 8, v2
	;; [unrolled: 1-line block ×5, first 2 shown]
	s_cbranch_execz .LBB56_48
; %bb.46:
	v_mov_b32_e32 v43, v2
	s_branch .LBB56_128
.LBB56_47:
                                        ; implicit-def: $vgpr2
                                        ; implicit-def: $vgpr21
                                        ; implicit-def: $vgpr24
                                        ; implicit-def: $vgpr23
                                        ; implicit-def: $vgpr22
                                        ; implicit-def: $vgpr20
                                        ; implicit-def: $vgpr19
.LBB56_48:
	v_lshl_add_u32 v74, v1, 2, v74
	s_mul_hi_i32 s7, s12, s22
	s_mul_i32 s6, s12, s22
	v_and_b32_e32 v3, 28, v45
	s_lshl_b64 s[6:7], s[6:7], 2
	v_mul_lo_u32 v5, s22, v74
	s_sub_i32 s16, s48, s12
	s_add_u32 s6, s8, s6
	s_mov_b64 s[10:11], src_private_base
	s_addc_u32 s10, s9, s7
	v_lshlrev_b32_e32 v26, 2, v3
	v_cmp_gt_i32_e64 s9, s16, v74
	v_mov_b32_e32 v19, 0
	v_ashrrev_i32_e32 v6, 31, v5
	buffer_store_dword v19, off, s[0:3], 0
	buffer_store_dword v19, off, s[0:3], 0 offset:4
	buffer_store_dword v19, off, s[0:3], 0 offset:8
	;; [unrolled: 1-line block ×3, first 2 shown]
	v_lshlrev_b64 v[1:2], 2, v[5:6]
	s_lshl_b32 s17, s22, 4
	v_add_nc_u32_e32 v75, 16, v74
	v_add_nc_u32_e32 v5, s17, v5
	v_mad_u32_u24 v8, 0x90, v74, v26
	v_add_nc_u32_e32 v76, 32, v74
	v_add_co_u32 v1, vcc_lo, s6, v1
	v_add_co_ci_u32_e64 v2, null, s10, v2, vcc_lo
	v_ashrrev_i32_e32 v6, 31, v5
	v_add_co_u32 v1, vcc_lo, v1, v26
	v_add_co_ci_u32_e64 v2, null, 0, v2, vcc_lo
	v_lshlrev_b64 v[6:7], 2, v[5:6]
	v_cndmask_b32_e64 v1, 0, v1, s9
	v_cmp_gt_i32_e64 s8, s16, v75
	v_cndmask_b32_e64 v2, s11, v2, s9
	v_add_nc_u32_e32 v5, s17, v5
	v_cmp_gt_i32_e64 s7, s16, v76
	v_add_co_u32 v6, vcc_lo, s6, v6
	flat_load_dwordx4 v[1:4], v[1:2]
	v_add_co_ci_u32_e64 v7, null, s10, v7, vcc_lo
	v_add_co_u32 v6, vcc_lo, v6, v26
	buffer_store_dword v19, off, s[0:3], 0
	v_add_co_ci_u32_e64 v7, null, 0, v7, vcc_lo
	v_cndmask_b32_e64 v6, 0, v6, s8
	buffer_store_dword v19, off, s[0:3], 0 offset:4
	buffer_store_dword v19, off, s[0:3], 0 offset:8
	;; [unrolled: 1-line block ×3, first 2 shown]
	v_add_nc_u32_e32 v77, 48, v74
	v_cndmask_b32_e64 v7, s11, v7, s8
	v_mov_b32_e32 v25, 0
	v_mov_b32_e32 v88, 0
	;; [unrolled: 1-line block ×16, first 2 shown]
	s_cmp_lg_u64 s[46:47], 0
	v_mad_u64_u32 v[17:18], null, v61, s19, s[12:13]
	s_waitcnt vmcnt(0) lgkmcnt(0)
	ds_write_b128 v8, v[1:4]
	flat_load_dwordx4 v[1:4], v[6:7]
	v_ashrrev_i32_e32 v6, 31, v5
	buffer_store_dword v19, off, s[0:3], 0
	buffer_store_dword v19, off, s[0:3], 0 offset:4
	buffer_store_dword v19, off, s[0:3], 0 offset:8
	;; [unrolled: 1-line block ×3, first 2 shown]
	v_lshlrev_b64 v[6:7], 2, v[5:6]
	v_add_nc_u32_e32 v5, s17, v5
	v_add_co_u32 v6, vcc_lo, s6, v6
	v_add_co_ci_u32_e64 v7, null, s10, v7, vcc_lo
	v_add_co_u32 v6, vcc_lo, v6, v26
	v_add_co_ci_u32_e64 v7, null, 0, v7, vcc_lo
	v_cndmask_b32_e64 v6, 0, v6, s7
	v_cndmask_b32_e64 v7, s11, v7, s7
	s_waitcnt vmcnt(0) lgkmcnt(0)
	ds_write_b128 v8, v[1:4] offset:2304
	flat_load_dwordx4 v[1:4], v[6:7]
	v_ashrrev_i32_e32 v6, 31, v5
	buffer_store_dword v19, off, s[0:3], 0
	buffer_store_dword v19, off, s[0:3], 0 offset:4
	buffer_store_dword v19, off, s[0:3], 0 offset:8
	;; [unrolled: 1-line block ×3, first 2 shown]
	v_lshlrev_b64 v[5:6], 2, v[5:6]
	v_add_co_u32 v5, vcc_lo, s6, v5
	v_add_co_ci_u32_e64 v6, null, s10, v6, vcc_lo
	v_cmp_gt_i32_e64 s6, s16, v77
	v_add_co_u32 v5, vcc_lo, v5, v26
	v_add_co_ci_u32_e64 v6, null, 0, v6, vcc_lo
	v_cmp_gt_i32_e64 s10, s16, v0
	v_cndmask_b32_e64 v5, 0, v5, s6
	v_cndmask_b32_e64 v6, s11, v6, s6
	s_cselect_b32 s11, -1, 0
	s_waitcnt vmcnt(0) lgkmcnt(0)
	ds_write_b128 v8, v[1:4] offset:4608
	flat_load_dwordx4 v[1:4], v[5:6]
	s_waitcnt vmcnt(0) lgkmcnt(0)
	ds_write_b128 v8, v[1:4] offset:6912
	s_waitcnt lgkmcnt(0)
	s_waitcnt_vscnt null, 0x0
	s_barrier
	buffer_gl0_inv
	ds_read_b128 v[1:4], v65
	ds_read_b128 v[5:8], v44 offset:13312
	ds_read_b128 v[20:23], v44 offset:13440
	;; [unrolled: 1-line block ×9, first 2 shown]
	s_waitcnt lgkmcnt(8)
	;;#ASMSTART
	v_dot2_f32_f16 v25, v1, v5, v25
	;;#ASMEND
	;;#ASMSTART
	v_dot2_f32_f16 v25, v2, v6, v25
	;;#ASMEND
	;;#ASMSTART
	v_dot2_f32_f16 v25, v3, v7, v25
	;;#ASMEND
	;;#ASMSTART
	v_dot2_f32_f16 v25, v4, v8, v25
	;;#ASMEND
	s_waitcnt lgkmcnt(7)
	;;#ASMSTART
	v_dot2_f32_f16 v88, v1, v20, v88
	;;#ASMEND
	;;#ASMSTART
	v_dot2_f32_f16 v88, v2, v21, v88
	;;#ASMEND
	;;#ASMSTART
	v_dot2_f32_f16 v88, v3, v22, v88
	;;#ASMEND
	;;#ASMSTART
	v_dot2_f32_f16 v88, v4, v23, v88
	;;#ASMEND
	;; [unrolled: 13-line block ×8, first 2 shown]
	;;#ASMSTART
	v_dot2_f32_f16 v92, v101, v5, v92
	;;#ASMEND
	;;#ASMSTART
	v_dot2_f32_f16 v92, v102, v6, v92
	;;#ASMEND
	;; [unrolled: 3-line block ×32, first 2 shown]
	ds_read_b128 v[1:4], v65 offset:16
	ds_read_b128 v[5:8], v44 offset:13328
	;; [unrolled: 1-line block ×10, first 2 shown]
	s_waitcnt lgkmcnt(8)
	;;#ASMSTART
	v_dot2_f32_f16 v25, v1, v5, v25
	;;#ASMEND
	;;#ASMSTART
	v_dot2_f32_f16 v25, v2, v6, v25
	;;#ASMEND
	;;#ASMSTART
	v_dot2_f32_f16 v25, v3, v7, v25
	;;#ASMEND
	;;#ASMSTART
	v_dot2_f32_f16 v25, v4, v8, v25
	;;#ASMEND
	s_waitcnt lgkmcnt(7)
	;;#ASMSTART
	v_dot2_f32_f16 v88, v1, v20, v88
	;;#ASMEND
	;;#ASMSTART
	v_dot2_f32_f16 v88, v2, v21, v88
	;;#ASMEND
	;;#ASMSTART
	v_dot2_f32_f16 v88, v3, v22, v88
	;;#ASMEND
	;;#ASMSTART
	v_dot2_f32_f16 v88, v4, v23, v88
	;;#ASMEND
	;; [unrolled: 13-line block ×8, first 2 shown]
	;;#ASMSTART
	v_dot2_f32_f16 v92, v101, v5, v92
	;;#ASMEND
	;;#ASMSTART
	v_dot2_f32_f16 v92, v102, v6, v92
	;;#ASMEND
	;; [unrolled: 3-line block ×32, first 2 shown]
	ds_read_b128 v[1:4], v65 offset:32
	ds_read_b128 v[5:8], v44 offset:13344
	ds_read_b128 v[20:23], v44 offset:13472
	ds_read_b128 v[93:96], v44 offset:13600
	ds_read_b128 v[97:100], v44 offset:13728
	ds_read_b128 v[101:104], v65 offset:4640
	ds_read_b128 v[105:108], v44 offset:13856
	ds_read_b128 v[109:112], v44 offset:13984
	ds_read_b128 v[113:116], v44 offset:14112
	ds_read_b128 v[117:120], v44 offset:14240
	s_waitcnt lgkmcnt(8)
	;;#ASMSTART
	v_dot2_f32_f16 v25, v1, v5, v25
	;;#ASMEND
	;;#ASMSTART
	v_dot2_f32_f16 v25, v2, v6, v25
	;;#ASMEND
	;;#ASMSTART
	v_dot2_f32_f16 v25, v3, v7, v25
	;;#ASMEND
	;;#ASMSTART
	v_dot2_f32_f16 v25, v4, v8, v25
	;;#ASMEND
	s_waitcnt lgkmcnt(7)
	;;#ASMSTART
	v_dot2_f32_f16 v88, v1, v20, v88
	;;#ASMEND
	;;#ASMSTART
	v_dot2_f32_f16 v88, v2, v21, v88
	;;#ASMEND
	;;#ASMSTART
	v_dot2_f32_f16 v88, v3, v22, v88
	;;#ASMEND
	;;#ASMSTART
	v_dot2_f32_f16 v88, v4, v23, v88
	;;#ASMEND
	;; [unrolled: 13-line block ×8, first 2 shown]
	;;#ASMSTART
	v_dot2_f32_f16 v92, v101, v5, v92
	;;#ASMEND
	;;#ASMSTART
	v_dot2_f32_f16 v92, v102, v6, v92
	;;#ASMEND
	;; [unrolled: 3-line block ×32, first 2 shown]
	ds_read_b128 v[1:4], v65 offset:48
	ds_read_b128 v[5:8], v44 offset:13360
	;; [unrolled: 1-line block ×10, first 2 shown]
	s_waitcnt lgkmcnt(8)
	;;#ASMSTART
	v_dot2_f32_f16 v25, v1, v5, v25
	;;#ASMEND
	;;#ASMSTART
	v_dot2_f32_f16 v25, v2, v6, v25
	;;#ASMEND
	;;#ASMSTART
	v_dot2_f32_f16 v25, v3, v7, v25
	;;#ASMEND
	;;#ASMSTART
	v_dot2_f32_f16 v25, v4, v8, v25
	;;#ASMEND
	s_waitcnt lgkmcnt(7)
	;;#ASMSTART
	v_dot2_f32_f16 v88, v1, v20, v88
	;;#ASMEND
	;;#ASMSTART
	v_dot2_f32_f16 v88, v2, v21, v88
	;;#ASMEND
	;;#ASMSTART
	v_dot2_f32_f16 v88, v3, v22, v88
	;;#ASMEND
	;;#ASMSTART
	v_dot2_f32_f16 v88, v4, v23, v88
	;;#ASMEND
	;; [unrolled: 13-line block ×8, first 2 shown]
	;;#ASMSTART
	v_dot2_f32_f16 v92, v101, v5, v92
	;;#ASMEND
	;;#ASMSTART
	v_dot2_f32_f16 v92, v102, v6, v92
	;;#ASMEND
	;;#ASMSTART
	v_dot2_f32_f16 v92, v103, v7, v92
	;;#ASMEND
	;;#ASMSTART
	v_dot2_f32_f16 v92, v104, v8, v92
	;;#ASMEND
	;;#ASMSTART
	v_dot2_f32_f16 v91, v101, v20, v91
	;;#ASMEND
	;;#ASMSTART
	v_dot2_f32_f16 v91, v102, v21, v91
	;;#ASMEND
	;;#ASMSTART
	v_dot2_f32_f16 v91, v103, v22, v91
	;;#ASMEND
	;;#ASMSTART
	v_dot2_f32_f16 v91, v104, v23, v91
	;;#ASMEND
	;;#ASMSTART
	v_dot2_f32_f16 v90, v101, v93, v90
	;;#ASMEND
	;;#ASMSTART
	v_dot2_f32_f16 v90, v102, v94, v90
	;;#ASMEND
	;;#ASMSTART
	v_dot2_f32_f16 v90, v103, v95, v90
	;;#ASMEND
	;;#ASMSTART
	v_dot2_f32_f16 v90, v104, v96, v90
	;;#ASMEND
	;;#ASMSTART
	v_dot2_f32_f16 v89, v101, v97, v89
	;;#ASMEND
	;;#ASMSTART
	v_dot2_f32_f16 v89, v102, v98, v89
	;;#ASMEND
	;;#ASMSTART
	v_dot2_f32_f16 v89, v103, v99, v89
	;;#ASMEND
	;;#ASMSTART
	v_dot2_f32_f16 v89, v104, v100, v89
	;;#ASMEND
	;;#ASMSTART
	v_dot2_f32_f16 v87, v101, v105, v87
	;;#ASMEND
	;;#ASMSTART
	v_dot2_f32_f16 v87, v102, v106, v87
	;;#ASMEND
	;;#ASMSTART
	v_dot2_f32_f16 v87, v103, v107, v87
	;;#ASMEND
	;;#ASMSTART
	v_dot2_f32_f16 v87, v104, v108, v87
	;;#ASMEND
	;;#ASMSTART
	v_dot2_f32_f16 v85, v101, v109, v85
	;;#ASMEND
	;;#ASMSTART
	v_dot2_f32_f16 v85, v102, v110, v85
	;;#ASMEND
	;;#ASMSTART
	v_dot2_f32_f16 v85, v103, v111, v85
	;;#ASMEND
	;;#ASMSTART
	v_dot2_f32_f16 v85, v104, v112, v85
	;;#ASMEND
	;;#ASMSTART
	v_dot2_f32_f16 v83, v101, v113, v83
	;;#ASMEND
	;;#ASMSTART
	v_dot2_f32_f16 v83, v102, v114, v83
	;;#ASMEND
	;;#ASMSTART
	v_dot2_f32_f16 v83, v103, v115, v83
	;;#ASMEND
	;;#ASMSTART
	v_dot2_f32_f16 v83, v104, v116, v83
	;;#ASMEND
	;;#ASMSTART
	v_dot2_f32_f16 v81, v101, v117, v81
	;;#ASMEND
	;;#ASMSTART
	v_dot2_f32_f16 v81, v102, v118, v81
	;;#ASMEND
	;;#ASMSTART
	v_dot2_f32_f16 v81, v103, v119, v81
	;;#ASMEND
	;;#ASMSTART
	v_dot2_f32_f16 v81, v104, v120, v81
	;;#ASMEND
	ds_read_b128 v[1:4], v65 offset:64
	ds_read_b128 v[5:8], v44 offset:13376
	ds_read_b128 v[20:23], v44 offset:13504
	ds_read_b128 v[93:96], v44 offset:13632
	ds_read_b128 v[97:100], v44 offset:13760
	ds_read_b128 v[101:104], v65 offset:4672
	ds_read_b128 v[105:108], v44 offset:13888
	ds_read_b128 v[109:112], v44 offset:14016
	ds_read_b128 v[113:116], v44 offset:14144
	ds_read_b128 v[117:120], v44 offset:14272
	s_waitcnt lgkmcnt(8)
	;;#ASMSTART
	v_dot2_f32_f16 v25, v1, v5, v25
	;;#ASMEND
	;;#ASMSTART
	v_dot2_f32_f16 v25, v2, v6, v25
	;;#ASMEND
	;;#ASMSTART
	v_dot2_f32_f16 v25, v3, v7, v25
	;;#ASMEND
	;;#ASMSTART
	v_dot2_f32_f16 v25, v4, v8, v25
	;;#ASMEND
	s_waitcnt lgkmcnt(7)
	;;#ASMSTART
	v_dot2_f32_f16 v88, v1, v20, v88
	;;#ASMEND
	;;#ASMSTART
	v_dot2_f32_f16 v88, v2, v21, v88
	;;#ASMEND
	;;#ASMSTART
	v_dot2_f32_f16 v88, v3, v22, v88
	;;#ASMEND
	;;#ASMSTART
	v_dot2_f32_f16 v88, v4, v23, v88
	;;#ASMEND
	;; [unrolled: 13-line block ×8, first 2 shown]
	;;#ASMSTART
	v_dot2_f32_f16 v92, v101, v5, v92
	;;#ASMEND
	;;#ASMSTART
	v_dot2_f32_f16 v92, v102, v6, v92
	;;#ASMEND
	;;#ASMSTART
	v_dot2_f32_f16 v92, v103, v7, v92
	;;#ASMEND
	;;#ASMSTART
	v_dot2_f32_f16 v92, v104, v8, v92
	;;#ASMEND
	;;#ASMSTART
	v_dot2_f32_f16 v91, v101, v20, v91
	;;#ASMEND
	;;#ASMSTART
	v_dot2_f32_f16 v91, v102, v21, v91
	;;#ASMEND
	;;#ASMSTART
	v_dot2_f32_f16 v91, v103, v22, v91
	;;#ASMEND
	;;#ASMSTART
	v_dot2_f32_f16 v91, v104, v23, v91
	;;#ASMEND
	;;#ASMSTART
	v_dot2_f32_f16 v90, v101, v93, v90
	;;#ASMEND
	;;#ASMSTART
	v_dot2_f32_f16 v90, v102, v94, v90
	;;#ASMEND
	;;#ASMSTART
	v_dot2_f32_f16 v90, v103, v95, v90
	;;#ASMEND
	;;#ASMSTART
	v_dot2_f32_f16 v90, v104, v96, v90
	;;#ASMEND
	;;#ASMSTART
	v_dot2_f32_f16 v89, v101, v97, v89
	;;#ASMEND
	;;#ASMSTART
	v_dot2_f32_f16 v89, v102, v98, v89
	;;#ASMEND
	;;#ASMSTART
	v_dot2_f32_f16 v89, v103, v99, v89
	;;#ASMEND
	;;#ASMSTART
	v_dot2_f32_f16 v89, v104, v100, v89
	;;#ASMEND
	;;#ASMSTART
	v_dot2_f32_f16 v87, v101, v105, v87
	;;#ASMEND
	;;#ASMSTART
	v_dot2_f32_f16 v87, v102, v106, v87
	;;#ASMEND
	;;#ASMSTART
	v_dot2_f32_f16 v87, v103, v107, v87
	;;#ASMEND
	;;#ASMSTART
	v_dot2_f32_f16 v87, v104, v108, v87
	;;#ASMEND
	;;#ASMSTART
	v_dot2_f32_f16 v85, v101, v109, v85
	;;#ASMEND
	;;#ASMSTART
	v_dot2_f32_f16 v85, v102, v110, v85
	;;#ASMEND
	;;#ASMSTART
	v_dot2_f32_f16 v85, v103, v111, v85
	;;#ASMEND
	;;#ASMSTART
	v_dot2_f32_f16 v85, v104, v112, v85
	;;#ASMEND
	;;#ASMSTART
	v_dot2_f32_f16 v83, v101, v113, v83
	;;#ASMEND
	;;#ASMSTART
	v_dot2_f32_f16 v83, v102, v114, v83
	;;#ASMEND
	;;#ASMSTART
	v_dot2_f32_f16 v83, v103, v115, v83
	;;#ASMEND
	;;#ASMSTART
	v_dot2_f32_f16 v83, v104, v116, v83
	;;#ASMEND
	;;#ASMSTART
	v_dot2_f32_f16 v81, v101, v117, v81
	;;#ASMEND
	;;#ASMSTART
	v_dot2_f32_f16 v81, v102, v118, v81
	;;#ASMEND
	;;#ASMSTART
	v_dot2_f32_f16 v81, v103, v119, v81
	;;#ASMEND
	;;#ASMSTART
	v_dot2_f32_f16 v81, v104, v120, v81
	;;#ASMEND
	ds_read_b128 v[1:4], v65 offset:80
	ds_read_b128 v[5:8], v44 offset:13392
	;; [unrolled: 1-line block ×10, first 2 shown]
	s_waitcnt lgkmcnt(8)
	;;#ASMSTART
	v_dot2_f32_f16 v25, v1, v5, v25
	;;#ASMEND
	;;#ASMSTART
	v_dot2_f32_f16 v25, v2, v6, v25
	;;#ASMEND
	;;#ASMSTART
	v_dot2_f32_f16 v25, v3, v7, v25
	;;#ASMEND
	;;#ASMSTART
	v_dot2_f32_f16 v25, v4, v8, v25
	;;#ASMEND
	s_waitcnt lgkmcnt(7)
	;;#ASMSTART
	v_dot2_f32_f16 v88, v1, v20, v88
	;;#ASMEND
	;;#ASMSTART
	v_dot2_f32_f16 v88, v2, v21, v88
	;;#ASMEND
	;;#ASMSTART
	v_dot2_f32_f16 v88, v3, v22, v88
	;;#ASMEND
	;;#ASMSTART
	v_dot2_f32_f16 v88, v4, v23, v88
	;;#ASMEND
	;; [unrolled: 13-line block ×8, first 2 shown]
	;;#ASMSTART
	v_dot2_f32_f16 v92, v101, v5, v92
	;;#ASMEND
	;;#ASMSTART
	v_dot2_f32_f16 v92, v102, v6, v92
	;;#ASMEND
	;; [unrolled: 3-line block ×32, first 2 shown]
	ds_read_b128 v[1:4], v65 offset:96
	ds_read_b128 v[5:8], v44 offset:13408
	;; [unrolled: 1-line block ×10, first 2 shown]
	s_waitcnt lgkmcnt(8)
	;;#ASMSTART
	v_dot2_f32_f16 v25, v1, v5, v25
	;;#ASMEND
	;;#ASMSTART
	v_dot2_f32_f16 v25, v2, v6, v25
	;;#ASMEND
	;;#ASMSTART
	v_dot2_f32_f16 v25, v3, v7, v25
	;;#ASMEND
	;;#ASMSTART
	v_dot2_f32_f16 v25, v4, v8, v25
	;;#ASMEND
	s_waitcnt lgkmcnt(7)
	;;#ASMSTART
	v_dot2_f32_f16 v88, v1, v20, v88
	;;#ASMEND
	;;#ASMSTART
	v_dot2_f32_f16 v88, v2, v21, v88
	;;#ASMEND
	;;#ASMSTART
	v_dot2_f32_f16 v88, v3, v22, v88
	;;#ASMEND
	;;#ASMSTART
	v_dot2_f32_f16 v88, v4, v23, v88
	;;#ASMEND
	;; [unrolled: 13-line block ×8, first 2 shown]
	;;#ASMSTART
	v_dot2_f32_f16 v92, v101, v5, v92
	;;#ASMEND
	;;#ASMSTART
	v_dot2_f32_f16 v92, v102, v6, v92
	;;#ASMEND
	;; [unrolled: 3-line block ×32, first 2 shown]
	ds_read_b128 v[20:23], v65 offset:112
	ds_read_b128 v[94:97], v44 offset:13424
	ds_read_b128 v[98:101], v44 offset:13552
	ds_read_b128 v[102:105], v44 offset:13680
	ds_read_b128 v[106:109], v44 offset:13808
	ds_read_b128 v[110:113], v65 offset:4720
	ds_read_b128 v[114:117], v44 offset:13936
	ds_read_b128 v[118:121], v44 offset:14064
	ds_read_b128 v[122:125], v44 offset:14192
	ds_read_b128 v[126:129], v44 offset:14320
	s_waitcnt lgkmcnt(8)
	;;#ASMSTART
	v_dot2_f32_f16 v25, v20, v94, v25
	;;#ASMEND
	;;#ASMSTART
	v_dot2_f32_f16 v25, v21, v95, v25
	;;#ASMEND
	;;#ASMSTART
	v_dot2_f32_f16 v25, v22, v96, v25
	;;#ASMEND
	;;#ASMSTART
	v_dot2_f32_f16 v25, v23, v97, v25
	;;#ASMEND
	s_waitcnt lgkmcnt(7)
	;;#ASMSTART
	v_dot2_f32_f16 v88, v20, v98, v88
	;;#ASMEND
	;;#ASMSTART
	v_dot2_f32_f16 v88, v21, v99, v88
	;;#ASMEND
	;;#ASMSTART
	v_dot2_f32_f16 v88, v22, v100, v88
	;;#ASMEND
	;;#ASMSTART
	v_dot2_f32_f16 v88, v23, v101, v88
	;;#ASMEND
	;; [unrolled: 13-line block ×8, first 2 shown]
	;;#ASMSTART
	v_dot2_f32_f16 v92, v110, v94, v92
	;;#ASMEND
	;;#ASMSTART
	v_dot2_f32_f16 v92, v111, v95, v92
	;;#ASMEND
	;; [unrolled: 3-line block ×23, first 2 shown]
	v_mov_b32_e32 v1, v9
	;;#ASMSTART
	v_dot2_f32_f16 v85, v113, v121, v85
	;;#ASMEND
	;;#ASMSTART
	v_dot2_f32_f16 v83, v110, v122, v83
	;;#ASMEND
	v_mov_b32_e32 v2, v10
	v_mov_b32_e32 v3, v11
	;; [unrolled: 1-line block ×7, first 2 shown]
	v_cndmask_b32_e64 v93, 0, 1, s11
	;;#ASMSTART
	v_dot2_f32_f16 v83, v111, v123, v83
	;;#ASMEND
	;;#ASMSTART
	v_dot2_f32_f16 v83, v112, v124, v83
	;;#ASMEND
	;; [unrolled: 3-line block ×7, first 2 shown]
	s_and_saveexec_b32 s17, s10
	s_cbranch_execz .LBB56_52
; %bb.49:
	s_andn2_b32 vcc_lo, exec_lo, s11
	s_cbranch_vccnz .LBB56_51
; %bb.50:
	v_add_nc_u32_e32 v1, v17, v0
	v_ashrrev_i32_e32 v2, 31, v1
	v_lshlrev_b64 v[1:2], 1, v[1:2]
	v_add_co_u32 v1, vcc_lo, s46, v1
	v_add_co_ci_u32_e64 v2, null, s47, v2, vcc_lo
	global_load_ushort v1, v[1:2], off
	s_waitcnt vmcnt(0)
	v_cvt_f32_f16_e32 v1, v1
	v_mul_f32_e32 v19, v47, v1
.LBB56_51:
	v_add_f32_e32 v25, v25, v19
	v_max_f32_e32 v2, v9, v9
	v_add_f32_e32 v1, 0x40051340, v25
	v_max_f32_e32 v18, v2, v1
	v_mov_b32_e32 v1, v9
	v_mov_b32_e32 v2, v10
	;; [unrolled: 1-line block ×9, first 2 shown]
.LBB56_52:
	s_or_b32 exec_lo, exec_lo, s17
	v_add_nc_u32_e32 v61, 32, v0
	v_cmp_gt_i32_e64 s11, s16, v61
	s_and_saveexec_b32 s17, s11
	s_cbranch_execz .LBB56_57
; %bb.53:
	v_cmp_ne_u32_e32 vcc_lo, 1, v93
	s_cbranch_vccnz .LBB56_55
; %bb.54:
	v_ashrrev_i32_e32 v18, 31, v17
	v_add_co_u32 v17, vcc_lo, v17, v0
	v_add_co_ci_u32_e64 v18, null, 0, v18, vcc_lo
	v_lshlrev_b64 v[17:18], 1, v[17:18]
	v_add_co_u32 v17, vcc_lo, s46, v17
	v_add_co_ci_u32_e64 v18, null, s47, v18, vcc_lo
	global_load_ushort v17, v[17:18], off offset:64
	s_waitcnt vmcnt(0)
	v_cvt_f32_f16_e32 v17, v17
	v_mul_f32_e32 v17, v47, v17
	s_branch .LBB56_56
.LBB56_55:
	v_mov_b32_e32 v17, 0
.LBB56_56:
	v_add_f32_e32 v92, v92, v17
	v_max_f32_e32 v1, v1, v1
	v_add_f32_e32 v17, 0x40051340, v92
	v_max_f32_e32 v1, v1, v17
.LBB56_57:
	s_or_b32 exec_lo, exec_lo, s17
	v_xor_b32_e32 v24, 16, v43
	v_xor_b32_e32 v23, 8, v43
	;; [unrolled: 1-line block ×5, first 2 shown]
	v_cmp_gt_i32_e32 vcc_lo, 32, v24
	v_mul_hi_u32 v21, s28, v62
	v_cndmask_b32_e32 v17, v43, v24, vcc_lo
	v_cmp_gt_i32_e32 vcc_lo, 32, v23
	v_lshlrev_b32_e32 v65, 2, v17
	v_cndmask_b32_e32 v18, v43, v23, vcc_lo
	v_cmp_gt_i32_e32 vcc_lo, 32, v22
	ds_bpermute_b32 v17, v65, v1
	v_max_f32_e32 v1, v1, v1
	v_lshlrev_b32_e32 v94, 2, v18
	v_cndmask_b32_e32 v18, v43, v22, vcc_lo
	v_cmp_gt_i32_e32 vcc_lo, 32, v20
	v_lshlrev_b32_e32 v95, 2, v18
	v_cndmask_b32_e32 v18, v43, v20, vcc_lo
	v_cmp_gt_i32_e32 vcc_lo, 32, v19
	v_lshlrev_b32_e32 v96, 2, v18
	v_cndmask_b32_e32 v18, v43, v19, vcc_lo
	v_lshlrev_b32_e32 v97, 2, v18
	s_waitcnt lgkmcnt(0)
	v_max_f32_e32 v17, v17, v17
	v_max_f32_e32 v1, v1, v17
	ds_bpermute_b32 v17, v94, v1
	s_waitcnt lgkmcnt(0)
	v_max_f32_e32 v17, v17, v17
	v_max_f32_e32 v1, v1, v17
	ds_bpermute_b32 v17, v95, v1
	;; [unrolled: 4-line block ×3, first 2 shown]
	s_waitcnt lgkmcnt(0)
	v_max_f32_e32 v17, v17, v17
	v_max_f32_e32 v1, v1, v17
	v_add_nc_u32_e32 v17, v62, v21
	v_mov_b32_e32 v21, 32
	ds_bpermute_b32 v18, v97, v1
	v_lshrrev_b32_e32 v17, s29, v17
	v_mul_lo_u32 v17, v17, s30
	v_sub_nc_u32_e32 v17, v62, v17
	s_waitcnt lgkmcnt(0)
	v_max_f32_e32 v62, v18, v18
	v_mad_u64_u32 v[17:18], null, v17, s19, s[12:13]
	v_max_f32_e32 v1, v1, v62
	s_and_saveexec_b32 s17, s10
	s_cbranch_execz .LBB56_62
; %bb.58:
	v_cmp_ne_u32_e32 vcc_lo, 1, v93
	s_cbranch_vccnz .LBB56_60
; %bb.59:
	v_add_nc_u32_e32 v98, v17, v0
	v_ashrrev_i32_e32 v99, 31, v98
	v_lshlrev_b64 v[98:99], 1, v[98:99]
	v_add_co_u32 v98, vcc_lo, s46, v98
	v_add_co_ci_u32_e64 v99, null, s47, v99, vcc_lo
	global_load_ushort v18, v[98:99], off
	s_waitcnt vmcnt(0)
	v_cvt_f32_f16_e32 v18, v18
	v_mul_f32_e32 v18, v47, v18
	s_branch .LBB56_61
.LBB56_60:
	v_mov_b32_e32 v18, 0
.LBB56_61:
	v_add_f32_e32 v88, v88, v18
	v_max_f32_e32 v2, v2, v2
	v_add_f32_e32 v18, 0x40051340, v88
	v_max_f32_e32 v2, v2, v18
.LBB56_62:
	s_or_b32 exec_lo, exec_lo, s17
	s_and_saveexec_b32 s17, s11
	s_cbranch_execz .LBB56_67
; %bb.63:
	v_cmp_ne_u32_e32 vcc_lo, 1, v93
	s_cbranch_vccnz .LBB56_65
; %bb.64:
	v_ashrrev_i32_e32 v18, 31, v17
	v_add_co_u32 v17, vcc_lo, v17, v0
	v_add_co_ci_u32_e64 v18, null, 0, v18, vcc_lo
	v_lshlrev_b64 v[17:18], 1, v[17:18]
	v_add_co_u32 v17, vcc_lo, s46, v17
	v_add_co_ci_u32_e64 v18, null, s47, v18, vcc_lo
	global_load_ushort v17, v[17:18], off offset:64
	s_waitcnt vmcnt(0)
	v_cvt_f32_f16_e32 v17, v17
	v_mul_f32_e32 v17, v47, v17
	s_branch .LBB56_66
.LBB56_65:
	v_mov_b32_e32 v17, 0
.LBB56_66:
	v_add_f32_e32 v91, v91, v17
	v_max_f32_e32 v2, v2, v2
	v_add_f32_e32 v17, 0x40051340, v91
	v_max_f32_e32 v2, v2, v17
.LBB56_67:
	s_or_b32 exec_lo, exec_lo, s17
	ds_bpermute_b32 v17, v65, v2
	v_max_f32_e32 v2, v2, v2
	v_mul_hi_u32 v18, s28, v60
	s_waitcnt lgkmcnt(0)
	v_max_f32_e32 v17, v17, v17
	v_max_f32_e32 v2, v2, v17
	ds_bpermute_b32 v17, v94, v2
	s_waitcnt lgkmcnt(0)
	v_max_f32_e32 v17, v17, v17
	v_max_f32_e32 v2, v2, v17
	ds_bpermute_b32 v17, v95, v2
	s_waitcnt lgkmcnt(0)
	v_max_f32_e32 v17, v17, v17
	v_max_f32_e32 v2, v2, v17
	ds_bpermute_b32 v17, v96, v2
	s_waitcnt lgkmcnt(0)
	v_max_f32_e32 v17, v17, v17
	v_max_f32_e32 v2, v2, v17
	v_add_nc_u32_e32 v17, v60, v18
	ds_bpermute_b32 v18, v97, v2
	v_lshrrev_b32_e32 v17, s29, v17
	v_mul_lo_u32 v17, v17, s30
	v_sub_nc_u32_e32 v17, v60, v17
	s_waitcnt lgkmcnt(0)
	v_max_f32_e32 v60, v18, v18
	v_mad_u64_u32 v[17:18], null, v17, s19, s[12:13]
	v_max_f32_e32 v2, v2, v60
	s_and_saveexec_b32 s17, s10
	s_cbranch_execz .LBB56_72
; %bb.68:
	v_cmp_ne_u32_e32 vcc_lo, 1, v93
	s_cbranch_vccnz .LBB56_70
; %bb.69:
	v_add_nc_u32_e32 v98, v17, v0
	v_ashrrev_i32_e32 v99, 31, v98
	v_lshlrev_b64 v[98:99], 1, v[98:99]
	v_add_co_u32 v98, vcc_lo, s46, v98
	v_add_co_ci_u32_e64 v99, null, s47, v99, vcc_lo
	global_load_ushort v18, v[98:99], off
	s_waitcnt vmcnt(0)
	v_cvt_f32_f16_e32 v18, v18
	v_mul_f32_e32 v18, v47, v18
	s_branch .LBB56_71
.LBB56_70:
	v_mov_b32_e32 v18, 0
.LBB56_71:
	v_add_f32_e32 v86, v86, v18
	v_max_f32_e32 v3, v3, v3
	v_add_f32_e32 v18, 0x40051340, v86
	v_max_f32_e32 v3, v3, v18
.LBB56_72:
	s_or_b32 exec_lo, exec_lo, s17
	s_and_saveexec_b32 s17, s11
	s_cbranch_execz .LBB56_77
; %bb.73:
	v_cmp_ne_u32_e32 vcc_lo, 1, v93
	s_cbranch_vccnz .LBB56_75
; %bb.74:
	v_ashrrev_i32_e32 v18, 31, v17
	v_add_co_u32 v17, vcc_lo, v17, v0
	v_add_co_ci_u32_e64 v18, null, 0, v18, vcc_lo
	v_lshlrev_b64 v[17:18], 1, v[17:18]
	v_add_co_u32 v17, vcc_lo, s46, v17
	v_add_co_ci_u32_e64 v18, null, s47, v18, vcc_lo
	global_load_ushort v17, v[17:18], off offset:64
	s_waitcnt vmcnt(0)
	v_cvt_f32_f16_e32 v17, v17
	v_mul_f32_e32 v17, v47, v17
	s_branch .LBB56_76
.LBB56_75:
	v_mov_b32_e32 v17, 0
.LBB56_76:
	v_add_f32_e32 v90, v90, v17
	v_max_f32_e32 v3, v3, v3
	v_add_f32_e32 v17, 0x40051340, v90
	v_max_f32_e32 v3, v3, v17
.LBB56_77:
	s_or_b32 exec_lo, exec_lo, s17
	ds_bpermute_b32 v17, v65, v3
	v_max_f32_e32 v3, v3, v3
	v_mul_hi_u32 v18, s28, v58
	s_waitcnt lgkmcnt(0)
	v_max_f32_e32 v17, v17, v17
	v_max_f32_e32 v3, v3, v17
	ds_bpermute_b32 v17, v94, v3
	s_waitcnt lgkmcnt(0)
	v_max_f32_e32 v17, v17, v17
	v_max_f32_e32 v3, v3, v17
	ds_bpermute_b32 v17, v95, v3
	;; [unrolled: 4-line block ×3, first 2 shown]
	s_waitcnt lgkmcnt(0)
	v_max_f32_e32 v17, v17, v17
	v_max_f32_e32 v3, v3, v17
	v_add_nc_u32_e32 v17, v58, v18
	ds_bpermute_b32 v18, v97, v3
	v_lshrrev_b32_e32 v17, s29, v17
	v_mul_lo_u32 v17, v17, s30
	v_sub_nc_u32_e32 v17, v58, v17
	s_waitcnt lgkmcnt(0)
	v_max_f32_e32 v58, v18, v18
	v_mad_u64_u32 v[17:18], null, v17, s19, s[12:13]
	v_max_f32_e32 v3, v3, v58
	s_and_saveexec_b32 s17, s10
	s_cbranch_execz .LBB56_82
; %bb.78:
	v_cmp_ne_u32_e32 vcc_lo, 1, v93
	s_cbranch_vccnz .LBB56_80
; %bb.79:
	v_add_nc_u32_e32 v98, v17, v0
	v_ashrrev_i32_e32 v99, 31, v98
	v_lshlrev_b64 v[98:99], 1, v[98:99]
	v_add_co_u32 v98, vcc_lo, s46, v98
	v_add_co_ci_u32_e64 v99, null, s47, v99, vcc_lo
	global_load_ushort v18, v[98:99], off
	s_waitcnt vmcnt(0)
	v_cvt_f32_f16_e32 v18, v18
	v_mul_f32_e32 v18, v47, v18
	s_branch .LBB56_81
.LBB56_80:
	v_mov_b32_e32 v18, 0
.LBB56_81:
	v_add_f32_e32 v84, v84, v18
	v_max_f32_e32 v4, v4, v4
	v_add_f32_e32 v18, 0x40051340, v84
	v_max_f32_e32 v4, v4, v18
.LBB56_82:
	s_or_b32 exec_lo, exec_lo, s17
	s_and_saveexec_b32 s17, s11
	s_cbranch_execz .LBB56_87
; %bb.83:
	v_cmp_ne_u32_e32 vcc_lo, 1, v93
	s_cbranch_vccnz .LBB56_85
; %bb.84:
	v_ashrrev_i32_e32 v18, 31, v17
	v_add_co_u32 v17, vcc_lo, v17, v0
	v_add_co_ci_u32_e64 v18, null, 0, v18, vcc_lo
	v_lshlrev_b64 v[17:18], 1, v[17:18]
	v_add_co_u32 v17, vcc_lo, s46, v17
	v_add_co_ci_u32_e64 v18, null, s47, v18, vcc_lo
	global_load_ushort v17, v[17:18], off offset:64
	s_waitcnt vmcnt(0)
	v_cvt_f32_f16_e32 v17, v17
	v_mul_f32_e32 v17, v47, v17
	s_branch .LBB56_86
.LBB56_85:
	v_mov_b32_e32 v17, 0
.LBB56_86:
	v_add_f32_e32 v89, v89, v17
	v_max_f32_e32 v4, v4, v4
	v_add_f32_e32 v17, 0x40051340, v89
	v_max_f32_e32 v4, v4, v17
.LBB56_87:
	s_or_b32 exec_lo, exec_lo, s17
	ds_bpermute_b32 v17, v65, v4
	v_max_f32_e32 v4, v4, v4
	v_mul_hi_u32 v18, s28, v56
	s_waitcnt lgkmcnt(0)
	v_max_f32_e32 v17, v17, v17
	v_max_f32_e32 v4, v4, v17
	ds_bpermute_b32 v17, v94, v4
	s_waitcnt lgkmcnt(0)
	v_max_f32_e32 v17, v17, v17
	v_max_f32_e32 v4, v4, v17
	ds_bpermute_b32 v17, v95, v4
	;; [unrolled: 4-line block ×3, first 2 shown]
	s_waitcnt lgkmcnt(0)
	v_max_f32_e32 v17, v17, v17
	v_max_f32_e32 v4, v4, v17
	v_add_nc_u32_e32 v17, v56, v18
	ds_bpermute_b32 v18, v97, v4
	v_lshrrev_b32_e32 v17, s29, v17
	v_mul_lo_u32 v17, v17, s30
	v_sub_nc_u32_e32 v17, v56, v17
	s_waitcnt lgkmcnt(0)
	v_max_f32_e32 v56, v18, v18
	v_mad_u64_u32 v[17:18], null, v17, s19, s[12:13]
	v_max_f32_e32 v4, v4, v56
	s_and_saveexec_b32 s17, s10
	s_cbranch_execz .LBB56_92
; %bb.88:
	v_cmp_ne_u32_e32 vcc_lo, 1, v93
	s_cbranch_vccnz .LBB56_90
; %bb.89:
	v_add_nc_u32_e32 v98, v17, v0
	v_ashrrev_i32_e32 v99, 31, v98
	v_lshlrev_b64 v[98:99], 1, v[98:99]
	v_add_co_u32 v98, vcc_lo, s46, v98
	v_add_co_ci_u32_e64 v99, null, s47, v99, vcc_lo
	global_load_ushort v18, v[98:99], off
	s_waitcnt vmcnt(0)
	v_cvt_f32_f16_e32 v18, v18
	v_mul_f32_e32 v18, v47, v18
	s_branch .LBB56_91
.LBB56_90:
	v_mov_b32_e32 v18, 0
.LBB56_91:
	v_add_f32_e32 v82, v82, v18
	v_max_f32_e32 v5, v5, v5
	v_add_f32_e32 v18, 0x40051340, v82
	v_max_f32_e32 v5, v5, v18
.LBB56_92:
	s_or_b32 exec_lo, exec_lo, s17
	s_and_saveexec_b32 s17, s11
	s_cbranch_execz .LBB56_97
; %bb.93:
	v_cmp_ne_u32_e32 vcc_lo, 1, v93
	s_cbranch_vccnz .LBB56_95
; %bb.94:
	v_ashrrev_i32_e32 v18, 31, v17
	v_add_co_u32 v17, vcc_lo, v17, v0
	v_add_co_ci_u32_e64 v18, null, 0, v18, vcc_lo
	v_lshlrev_b64 v[17:18], 1, v[17:18]
	v_add_co_u32 v17, vcc_lo, s46, v17
	v_add_co_ci_u32_e64 v18, null, s47, v18, vcc_lo
	global_load_ushort v17, v[17:18], off offset:64
	s_waitcnt vmcnt(0)
	v_cvt_f32_f16_e32 v17, v17
	v_mul_f32_e32 v17, v47, v17
	s_branch .LBB56_96
.LBB56_95:
	v_mov_b32_e32 v17, 0
.LBB56_96:
	v_add_f32_e32 v87, v87, v17
	v_max_f32_e32 v5, v5, v5
	v_add_f32_e32 v17, 0x40051340, v87
	v_max_f32_e32 v5, v5, v17
.LBB56_97:
	s_or_b32 exec_lo, exec_lo, s17
	ds_bpermute_b32 v17, v65, v5
	v_max_f32_e32 v5, v5, v5
	v_mul_hi_u32 v18, s28, v55
	s_waitcnt lgkmcnt(0)
	v_max_f32_e32 v17, v17, v17
	v_max_f32_e32 v5, v5, v17
	ds_bpermute_b32 v17, v94, v5
	s_waitcnt lgkmcnt(0)
	v_max_f32_e32 v17, v17, v17
	v_max_f32_e32 v5, v5, v17
	ds_bpermute_b32 v17, v95, v5
	;; [unrolled: 4-line block ×3, first 2 shown]
	s_waitcnt lgkmcnt(0)
	v_max_f32_e32 v17, v17, v17
	v_max_f32_e32 v5, v5, v17
	v_add_nc_u32_e32 v17, v55, v18
	ds_bpermute_b32 v18, v97, v5
	v_lshrrev_b32_e32 v17, s29, v17
	v_mul_lo_u32 v17, v17, s30
	v_sub_nc_u32_e32 v17, v55, v17
	s_waitcnt lgkmcnt(0)
	v_max_f32_e32 v55, v18, v18
	v_mad_u64_u32 v[17:18], null, v17, s19, s[12:13]
	v_max_f32_e32 v5, v5, v55
	s_and_saveexec_b32 s17, s10
	s_cbranch_execz .LBB56_102
; %bb.98:
	v_cmp_ne_u32_e32 vcc_lo, 1, v93
	s_cbranch_vccnz .LBB56_100
; %bb.99:
	v_add_nc_u32_e32 v55, v17, v0
	v_ashrrev_i32_e32 v56, 31, v55
	v_lshlrev_b64 v[55:56], 1, v[55:56]
	v_add_co_u32 v55, vcc_lo, s46, v55
	v_add_co_ci_u32_e64 v56, null, s47, v56, vcc_lo
	global_load_ushort v18, v[55:56], off
	s_waitcnt vmcnt(0)
	v_cvt_f32_f16_e32 v18, v18
	v_mul_f32_e32 v18, v47, v18
	s_branch .LBB56_101
.LBB56_100:
	v_mov_b32_e32 v18, 0
.LBB56_101:
	v_add_f32_e32 v80, v80, v18
	v_max_f32_e32 v6, v6, v6
	v_add_f32_e32 v18, 0x40051340, v80
	v_max_f32_e32 v6, v6, v18
.LBB56_102:
	s_or_b32 exec_lo, exec_lo, s17
	s_and_saveexec_b32 s17, s11
	s_cbranch_execz .LBB56_107
; %bb.103:
	v_cmp_ne_u32_e32 vcc_lo, 1, v93
	s_cbranch_vccnz .LBB56_105
; %bb.104:
	v_ashrrev_i32_e32 v18, 31, v17
	v_add_co_u32 v17, vcc_lo, v17, v0
	v_add_co_ci_u32_e64 v18, null, 0, v18, vcc_lo
	v_lshlrev_b64 v[17:18], 1, v[17:18]
	v_add_co_u32 v17, vcc_lo, s46, v17
	v_add_co_ci_u32_e64 v18, null, s47, v18, vcc_lo
	global_load_ushort v17, v[17:18], off offset:64
	s_waitcnt vmcnt(0)
	v_cvt_f32_f16_e32 v17, v17
	v_mul_f32_e32 v17, v47, v17
	s_branch .LBB56_106
.LBB56_105:
	v_mov_b32_e32 v17, 0
.LBB56_106:
	v_add_f32_e32 v85, v85, v17
	v_max_f32_e32 v6, v6, v6
	v_add_f32_e32 v17, 0x40051340, v85
	v_max_f32_e32 v6, v6, v17
.LBB56_107:
	s_or_b32 exec_lo, exec_lo, s17
	ds_bpermute_b32 v17, v65, v6
	v_max_f32_e32 v6, v6, v6
	v_mul_hi_u32 v18, s28, v53
	s_waitcnt lgkmcnt(0)
	v_max_f32_e32 v17, v17, v17
	v_max_f32_e32 v6, v6, v17
	ds_bpermute_b32 v17, v94, v6
	s_waitcnt lgkmcnt(0)
	v_max_f32_e32 v17, v17, v17
	v_max_f32_e32 v6, v6, v17
	ds_bpermute_b32 v17, v95, v6
	;; [unrolled: 4-line block ×3, first 2 shown]
	s_waitcnt lgkmcnt(0)
	v_max_f32_e32 v17, v17, v17
	v_max_f32_e32 v6, v6, v17
	v_add_nc_u32_e32 v17, v53, v18
	ds_bpermute_b32 v18, v97, v6
	v_lshrrev_b32_e32 v17, s29, v17
	v_mul_lo_u32 v17, v17, s30
	v_sub_nc_u32_e32 v17, v53, v17
	s_waitcnt lgkmcnt(0)
	v_max_f32_e32 v53, v18, v18
	v_mad_u64_u32 v[17:18], null, v17, s19, s[12:13]
	v_max_f32_e32 v6, v6, v53
	s_and_saveexec_b32 s17, s10
	s_cbranch_execz .LBB56_112
; %bb.108:
	v_cmp_ne_u32_e32 vcc_lo, 1, v93
	s_cbranch_vccnz .LBB56_110
; %bb.109:
	v_add_nc_u32_e32 v55, v17, v0
	v_ashrrev_i32_e32 v56, 31, v55
	v_lshlrev_b64 v[55:56], 1, v[55:56]
	v_add_co_u32 v55, vcc_lo, s46, v55
	v_add_co_ci_u32_e64 v56, null, s47, v56, vcc_lo
	global_load_ushort v18, v[55:56], off
	s_waitcnt vmcnt(0)
	v_cvt_f32_f16_e32 v18, v18
	v_mul_f32_e32 v18, v47, v18
	s_branch .LBB56_111
.LBB56_110:
	v_mov_b32_e32 v18, 0
.LBB56_111:
	v_add_f32_e32 v79, v79, v18
	v_max_f32_e32 v7, v7, v7
	v_add_f32_e32 v18, 0x40051340, v79
	v_max_f32_e32 v7, v7, v18
.LBB56_112:
	s_or_b32 exec_lo, exec_lo, s17
	s_and_saveexec_b32 s17, s11
	s_cbranch_execz .LBB56_117
; %bb.113:
	v_cmp_ne_u32_e32 vcc_lo, 1, v93
	s_cbranch_vccnz .LBB56_115
; %bb.114:
	v_ashrrev_i32_e32 v18, 31, v17
	v_add_co_u32 v17, vcc_lo, v17, v0
	v_add_co_ci_u32_e64 v18, null, 0, v18, vcc_lo
	v_lshlrev_b64 v[17:18], 1, v[17:18]
	v_add_co_u32 v17, vcc_lo, s46, v17
	v_add_co_ci_u32_e64 v18, null, s47, v18, vcc_lo
	global_load_ushort v17, v[17:18], off offset:64
	s_waitcnt vmcnt(0)
	v_cvt_f32_f16_e32 v17, v17
	v_mul_f32_e32 v17, v47, v17
	s_branch .LBB56_116
.LBB56_115:
	v_mov_b32_e32 v17, 0
.LBB56_116:
	v_add_f32_e32 v83, v83, v17
	v_max_f32_e32 v7, v7, v7
	v_add_f32_e32 v17, 0x40051340, v83
	v_max_f32_e32 v7, v7, v17
.LBB56_117:
	s_or_b32 exec_lo, exec_lo, s17
	ds_bpermute_b32 v17, v65, v7
	v_max_f32_e32 v7, v7, v7
	v_mul_hi_u32 v18, s28, v52
	s_waitcnt lgkmcnt(0)
	v_max_f32_e32 v17, v17, v17
	v_max_f32_e32 v7, v7, v17
	ds_bpermute_b32 v17, v94, v7
	s_waitcnt lgkmcnt(0)
	v_max_f32_e32 v17, v17, v17
	v_max_f32_e32 v7, v7, v17
	ds_bpermute_b32 v17, v95, v7
	s_waitcnt lgkmcnt(0)
	v_max_f32_e32 v17, v17, v17
	v_max_f32_e32 v7, v7, v17
	ds_bpermute_b32 v17, v96, v7
	s_waitcnt lgkmcnt(0)
	v_max_f32_e32 v17, v17, v17
	v_max_f32_e32 v7, v7, v17
	v_add_nc_u32_e32 v17, v52, v18
	ds_bpermute_b32 v18, v97, v7
	v_lshrrev_b32_e32 v17, s29, v17
	v_mul_lo_u32 v17, v17, s30
	v_sub_nc_u32_e32 v17, v52, v17
	s_waitcnt lgkmcnt(0)
	v_max_f32_e32 v52, v18, v18
	v_mad_u64_u32 v[17:18], null, v17, s19, s[12:13]
	v_max_f32_e32 v7, v7, v52
	s_and_saveexec_b32 s17, s10
	s_cbranch_execz .LBB56_122
; %bb.118:
	v_cmp_ne_u32_e32 vcc_lo, 1, v93
	s_cbranch_vccnz .LBB56_120
; %bb.119:
	v_add_nc_u32_e32 v52, v17, v0
	v_ashrrev_i32_e32 v53, 31, v52
	v_lshlrev_b64 v[52:53], 1, v[52:53]
	v_add_co_u32 v52, vcc_lo, s46, v52
	v_add_co_ci_u32_e64 v53, null, s47, v53, vcc_lo
	global_load_ushort v18, v[52:53], off
	s_waitcnt vmcnt(0)
	v_cvt_f32_f16_e32 v18, v18
	v_mul_f32_e32 v18, v47, v18
	s_branch .LBB56_121
.LBB56_120:
	v_mov_b32_e32 v18, 0
.LBB56_121:
	v_add_f32_e32 v78, v78, v18
	v_max_f32_e32 v8, v8, v8
	v_add_f32_e32 v18, 0x40051340, v78
	v_max_f32_e32 v8, v8, v18
.LBB56_122:
	s_or_b32 exec_lo, exec_lo, s17
	s_and_saveexec_b32 s10, s11
	s_cbranch_execz .LBB56_127
; %bb.123:
	v_cmp_ne_u32_e32 vcc_lo, 1, v93
	s_cbranch_vccnz .LBB56_125
; %bb.124:
	v_ashrrev_i32_e32 v18, 31, v17
	v_add_co_u32 v17, vcc_lo, v17, v0
	v_add_co_ci_u32_e64 v18, null, 0, v18, vcc_lo
	v_lshlrev_b64 v[17:18], 1, v[17:18]
	v_add_co_u32 v17, vcc_lo, s46, v17
	v_add_co_ci_u32_e64 v18, null, s47, v18, vcc_lo
	global_load_ushort v17, v[17:18], off offset:64
	s_waitcnt vmcnt(0)
	v_cvt_f32_f16_e32 v17, v17
	v_mul_f32_e32 v17, v47, v17
	s_branch .LBB56_126
.LBB56_125:
	v_mov_b32_e32 v17, 0
.LBB56_126:
	v_add_f32_e32 v81, v81, v17
	v_max_f32_e32 v8, v8, v8
	v_add_f32_e32 v17, 0x40051340, v81
	v_max_f32_e32 v8, v8, v17
.LBB56_127:
	s_or_b32 exec_lo, exec_lo, s10
	ds_bpermute_b32 v17, v65, v8
	v_max_f32_e32 v8, v8, v8
	v_cmp_gt_u32_e32 vcc_lo, s16, v0
	v_sub_f32_e32 v9, v9, v1
	v_sub_f32_e32 v10, v10, v2
	s_waitcnt lgkmcnt(0)
	s_barrier
	buffer_gl0_inv
	v_max_f32_e32 v17, v17, v17
	v_max_f32_e32 v8, v8, v17
	ds_bpermute_b32 v17, v94, v8
	s_waitcnt lgkmcnt(0)
	v_max_f32_e32 v17, v17, v17
	v_max_f32_e32 v8, v8, v17
	ds_bpermute_b32 v17, v95, v8
	s_waitcnt lgkmcnt(0)
	;; [unrolled: 4-line block ×4, first 2 shown]
	v_max_f32_e32 v17, v17, v17
	v_max_f32_e32 v8, v8, v17
	v_sub_f32_e32 v17, v25, v1
	v_mul_f32_e32 v18, 0x3fb8aa3b, v17
	v_cmp_ngt_f32_e64 s10, 0xc2ce8ed0, v17
	v_fma_f32 v25, 0x3fb8aa3b, v17, -v18
	v_rndne_f32_e32 v47, v18
	v_fmac_f32_e32 v25, 0x32a5705f, v17
	v_sub_f32_e32 v18, v18, v47
	v_add_f32_e32 v18, v18, v25
	v_cvt_i32_f32_e32 v25, v47
	v_exp_f32_e32 v18, v18
	v_ldexp_f32 v18, v18, v25
	v_cndmask_b32_e64 v18, 0, v18, s10
	v_cmp_nlt_f32_e64 s10, 0x42b17218, v17
	v_cndmask_b32_e64 v17, 0x7f800000, v18, s10
	v_sub_f32_e32 v18, v92, v1
	v_cmp_gt_u32_e64 s10, s16, v61
	v_cndmask_b32_e32 v17, 0, v17, vcc_lo
	v_mul_f32_e32 v25, 0x3fb8aa3b, v18
	v_cmp_ngt_f32_e64 s11, 0xc2ce8ed0, v18
	v_cvt_f16_f32_e32 v58, v17
	v_fma_f32 v47, 0x3fb8aa3b, v18, -v25
	v_rndne_f32_e32 v52, v25
	v_fmac_f32_e32 v47, 0x32a5705f, v18
	v_sub_f32_e32 v25, v25, v52
	v_add_f32_e32 v25, v25, v47
	v_cvt_i32_f32_e32 v47, v52
	v_exp_f32_e32 v25, v25
	v_ldexp_f32 v25, v25, v47
	v_cndmask_b32_e64 v25, 0, v25, s11
	v_cmp_nlt_f32_e64 s11, 0x42b17218, v18
	v_cndmask_b32_e64 v18, 0x7f800000, v25, s11
	v_cmp_ngt_f32_e64 s11, 0xc2ce8ed0, v9
	v_cndmask_b32_e64 v18, 0, v18, s10
	v_add_f32_e32 v17, v17, v18
	v_cvt_f16_f32_e32 v60, v18
	v_mul_f32_e32 v18, 0x3fb8aa3b, v9
	v_fma_f32 v25, 0x3fb8aa3b, v9, -v18
	v_rndne_f32_e32 v47, v18
	v_fmac_f32_e32 v25, 0x32a5705f, v9
	v_sub_f32_e32 v18, v18, v47
	v_add_f32_e32 v18, v18, v25
	v_cvt_i32_f32_e32 v25, v47
	v_exp_f32_e32 v18, v18
	v_ldexp_f32 v18, v18, v25
	v_mov_b32_e32 v25, 0x10001
	v_cndmask_b32_e64 v18, 0, v18, s11
	v_cmp_nlt_f32_e64 s11, 0x42b17218, v9
	v_cndmask_b32_e64 v9, 0x7f800000, v18, s11
	v_sub_f32_e32 v18, v88, v2
	v_fmac_f32_e32 v17, v72, v9
	v_mul_f32_e32 v47, 0x3fb8aa3b, v18
	v_cmp_ngt_f32_e64 s11, 0xc2ce8ed0, v18
	v_cvt_f16_f32_e32 v9, v9
	v_fma_f32 v52, 0x3fb8aa3b, v18, -v47
	v_rndne_f32_e32 v53, v47
	v_mul_u32_u24_sdwa v9, v9, v25 dst_sel:DWORD dst_unused:UNUSED_PAD src0_sel:WORD_0 src1_sel:DWORD
	v_fmac_f32_e32 v52, 0x32a5705f, v18
	v_sub_f32_e32 v47, v47, v53
	v_pk_mul_f16 v9, v64, v9
	v_add_f32_e32 v47, v47, v52
	v_cvt_i32_f32_e32 v52, v53
	v_exp_f32_e32 v47, v47
	v_ldexp_f32 v47, v47, v52
	v_cndmask_b32_e64 v47, 0, v47, s11
	v_cmp_nlt_f32_e64 s11, 0x42b17218, v18
	v_cndmask_b32_e64 v18, 0x7f800000, v47, s11
	v_sub_f32_e32 v47, v91, v2
	v_cndmask_b32_e32 v18, 0, v18, vcc_lo
	v_mul_f32_e32 v52, 0x3fb8aa3b, v47
	v_cmp_ngt_f32_e64 s11, 0xc2ce8ed0, v47
	v_cvt_f16_f32_e32 v62, v18
	v_fma_f32 v53, 0x3fb8aa3b, v47, -v52
	v_rndne_f32_e32 v55, v52
	v_fmac_f32_e32 v53, 0x32a5705f, v47
	v_sub_f32_e32 v52, v52, v55
	v_add_f32_e32 v52, v52, v53
	v_cvt_i32_f32_e32 v53, v55
	v_exp_f32_e32 v52, v52
	v_ldexp_f32 v52, v52, v53
	v_cndmask_b32_e64 v52, 0, v52, s11
	v_cmp_nlt_f32_e64 s11, 0x42b17218, v47
	v_cndmask_b32_e64 v47, 0x7f800000, v52, s11
	v_cmp_ngt_f32_e64 s11, 0xc2ce8ed0, v10
	v_cndmask_b32_e64 v47, 0, v47, s10
	v_add_f32_e32 v18, v18, v47
	v_cvt_f16_f32_e32 v64, v47
	v_mul_f32_e32 v47, 0x3fb8aa3b, v10
	v_fma_f32 v52, 0x3fb8aa3b, v10, -v47
	v_rndne_f32_e32 v53, v47
	v_fmac_f32_e32 v52, 0x32a5705f, v10
	v_sub_f32_e32 v47, v47, v53
	v_add_f32_e32 v47, v47, v52
	v_cvt_i32_f32_e32 v52, v53
	v_exp_f32_e32 v47, v47
	v_ldexp_f32 v47, v47, v52
	v_cndmask_b32_e64 v47, 0, v47, s11
	v_cmp_nlt_f32_e64 s11, 0x42b17218, v10
	v_cndmask_b32_e64 v10, 0x7f800000, v47, s11
	v_sub_f32_e32 v47, v11, v3
	v_sub_f32_e32 v11, v86, v3
	v_fmac_f32_e32 v18, v71, v10
	v_cvt_f16_f32_e32 v10, v10
	v_mul_f32_e32 v52, 0x3fb8aa3b, v11
	v_cmp_ngt_f32_e64 s11, 0xc2ce8ed0, v11
	v_mul_u32_u24_sdwa v10, v10, v25 dst_sel:DWORD dst_unused:UNUSED_PAD src0_sel:WORD_0 src1_sel:DWORD
	v_fma_f32 v53, 0x3fb8aa3b, v11, -v52
	v_rndne_f32_e32 v55, v52
	v_pk_mul_f16 v10, v63, v10
	v_fmac_f32_e32 v53, 0x32a5705f, v11
	v_sub_f32_e32 v52, v52, v55
	v_add_f32_e32 v52, v52, v53
	v_cvt_i32_f32_e32 v53, v55
	v_exp_f32_e32 v52, v52
	v_ldexp_f32 v52, v52, v53
	v_cndmask_b32_e64 v52, 0, v52, s11
	v_cmp_nlt_f32_e64 s11, 0x42b17218, v11
	v_cndmask_b32_e64 v11, 0x7f800000, v52, s11
	v_sub_f32_e32 v52, v90, v3
	v_cndmask_b32_e32 v11, 0, v11, vcc_lo
	v_mul_f32_e32 v53, 0x3fb8aa3b, v52
	v_cmp_ngt_f32_e64 s11, 0xc2ce8ed0, v52
	v_cvt_f16_f32_e32 v55, v11
	v_fma_f32 v56, 0x3fb8aa3b, v52, -v53
	v_rndne_f32_e32 v63, v53
	v_fmac_f32_e32 v56, 0x32a5705f, v52
	v_sub_f32_e32 v53, v53, v63
	v_add_f32_e32 v53, v53, v56
	v_cvt_i32_f32_e32 v56, v63
	v_exp_f32_e32 v53, v53
	v_ldexp_f32 v53, v53, v56
	v_cndmask_b32_e64 v53, 0, v53, s11
	v_cmp_nlt_f32_e64 s11, 0x42b17218, v52
	v_cndmask_b32_e64 v52, 0x7f800000, v53, s11
	v_cmp_ngt_f32_e64 s11, 0xc2ce8ed0, v47
	v_cndmask_b32_e64 v52, 0, v52, s10
	v_add_f32_e32 v11, v11, v52
	v_cvt_f16_f32_e32 v63, v52
	v_mul_f32_e32 v52, 0x3fb8aa3b, v47
	v_fma_f32 v53, 0x3fb8aa3b, v47, -v52
	v_rndne_f32_e32 v56, v52
	v_fmac_f32_e32 v53, 0x32a5705f, v47
	v_sub_f32_e32 v52, v52, v56
	v_add_f32_e32 v52, v52, v53
	v_cvt_i32_f32_e32 v53, v56
	v_exp_f32_e32 v52, v52
	v_ldexp_f32 v52, v52, v53
	v_cndmask_b32_e64 v52, 0, v52, s11
	v_cmp_nlt_f32_e64 s11, 0x42b17218, v47
	v_cndmask_b32_e64 v47, 0x7f800000, v52, s11
	v_sub_f32_e32 v52, v12, v4
	v_sub_f32_e32 v12, v84, v4
	v_fmac_f32_e32 v11, v70, v47
	v_cvt_f16_f32_e32 v47, v47
	v_mul_f32_e32 v53, 0x3fb8aa3b, v12
	v_cmp_ngt_f32_e64 s11, 0xc2ce8ed0, v12
	v_mul_u32_u24_sdwa v47, v47, v25 dst_sel:DWORD dst_unused:UNUSED_PAD src0_sel:WORD_0 src1_sel:DWORD
	v_fma_f32 v56, 0x3fb8aa3b, v12, -v53
	v_pk_mul_f16 v47, v59, v47
	v_rndne_f32_e32 v59, v53
	v_fmac_f32_e32 v56, 0x32a5705f, v12
	v_sub_f32_e32 v53, v53, v59
	v_add_f32_e32 v53, v53, v56
	v_cvt_i32_f32_e32 v56, v59
	v_exp_f32_e32 v53, v53
	v_ldexp_f32 v53, v53, v56
	v_cndmask_b32_e64 v53, 0, v53, s11
	v_cmp_nlt_f32_e64 s11, 0x42b17218, v12
	v_cndmask_b32_e64 v12, 0x7f800000, v53, s11
	v_sub_f32_e32 v53, v89, v4
	v_cndmask_b32_e32 v12, 0, v12, vcc_lo
	v_mul_f32_e32 v56, 0x3fb8aa3b, v53
	v_cmp_ngt_f32_e64 s11, 0xc2ce8ed0, v53
	v_cvt_f16_f32_e32 v59, v12
	v_fma_f32 v65, 0x3fb8aa3b, v53, -v56
	v_rndne_f32_e32 v70, v56
	v_pack_b32_f16 v55, v55, v59
	v_fmac_f32_e32 v65, 0x32a5705f, v53
	v_sub_f32_e32 v56, v56, v70
	v_add_f32_e32 v56, v56, v65
	v_cvt_i32_f32_e32 v65, v70
	v_exp_f32_e32 v56, v56
	v_ldexp_f32 v56, v56, v65
	v_cndmask_b32_e64 v56, 0, v56, s11
	v_cmp_nlt_f32_e64 s11, 0x42b17218, v53
	v_cndmask_b32_e64 v53, 0x7f800000, v56, s11
	v_cmp_ngt_f32_e64 s11, 0xc2ce8ed0, v52
	v_cndmask_b32_e64 v53, 0, v53, s10
	v_add_f32_e32 v12, v12, v53
	v_cvt_f16_f32_e32 v65, v53
	v_mul_f32_e32 v53, 0x3fb8aa3b, v52
	v_fma_f32 v56, 0x3fb8aa3b, v52, -v53
	v_rndne_f32_e32 v70, v53
	v_fmac_f32_e32 v56, 0x32a5705f, v52
	v_sub_f32_e32 v53, v53, v70
	v_add_f32_e32 v53, v53, v56
	v_cvt_i32_f32_e32 v56, v70
	v_exp_f32_e32 v53, v53
	v_ldexp_f32 v53, v53, v56
	v_cndmask_b32_e64 v53, 0, v53, s11
	v_cmp_nlt_f32_e64 s11, 0x42b17218, v52
	v_cndmask_b32_e64 v52, 0x7f800000, v53, s11
	v_sub_f32_e32 v53, v13, v5
	v_sub_f32_e32 v13, v82, v5
	v_fmac_f32_e32 v12, v67, v52
	v_cvt_f16_f32_e32 v52, v52
	v_mul_f32_e32 v56, 0x3fb8aa3b, v13
	v_cmp_ngt_f32_e64 s11, 0xc2ce8ed0, v13
	v_mul_u32_u24_sdwa v52, v52, v25 dst_sel:DWORD dst_unused:UNUSED_PAD src0_sel:WORD_0 src1_sel:DWORD
	v_rndne_f32_e32 v67, v56
	v_pk_mul_f16 v52, v57, v52
	v_fma_f32 v57, 0x3fb8aa3b, v13, -v56
	v_sub_f32_e32 v56, v56, v67
	v_fmac_f32_e32 v57, 0x32a5705f, v13
	v_add_f32_e32 v56, v56, v57
	v_cvt_i32_f32_e32 v57, v67
	v_exp_f32_e32 v56, v56
	v_ldexp_f32 v56, v56, v57
	v_sub_f32_e32 v57, v87, v5
	v_cndmask_b32_e64 v56, 0, v56, s11
	v_mul_f32_e32 v67, 0x3fb8aa3b, v57
	v_cmp_nlt_f32_e64 s11, 0x42b17218, v13
	v_fma_f32 v70, 0x3fb8aa3b, v57, -v67
	v_rndne_f32_e32 v71, v67
	v_cndmask_b32_e64 v13, 0x7f800000, v56, s11
	v_cmp_ngt_f32_e64 s11, 0xc2ce8ed0, v57
	v_fmac_f32_e32 v70, 0x32a5705f, v57
	v_sub_f32_e32 v67, v67, v71
	v_cndmask_b32_e32 v13, 0, v13, vcc_lo
	v_add_f32_e32 v67, v67, v70
	v_cvt_i32_f32_e32 v70, v71
	v_cvt_f16_f32_e32 v56, v13
	v_exp_f32_e32 v67, v67
	v_ldexp_f32 v67, v67, v70
	v_cndmask_b32_e64 v67, 0, v67, s11
	v_cmp_nlt_f32_e64 s11, 0x42b17218, v57
	v_cndmask_b32_e64 v57, 0x7f800000, v67, s11
	v_cmp_ngt_f32_e64 s11, 0xc2ce8ed0, v53
	v_cndmask_b32_e64 v57, 0, v57, s10
	v_add_f32_e32 v13, v13, v57
	v_cvt_f16_f32_e32 v67, v57
	v_mul_f32_e32 v57, 0x3fb8aa3b, v53
	v_fma_f32 v70, 0x3fb8aa3b, v53, -v57
	v_rndne_f32_e32 v71, v57
	v_fmac_f32_e32 v70, 0x32a5705f, v53
	v_sub_f32_e32 v57, v57, v71
	v_add_f32_e32 v57, v57, v70
	v_cvt_i32_f32_e32 v70, v71
	v_exp_f32_e32 v57, v57
	v_ldexp_f32 v57, v57, v70
	v_cndmask_b32_e64 v57, 0, v57, s11
	v_cmp_nlt_f32_e64 s11, 0x42b17218, v53
	v_cndmask_b32_e64 v53, 0x7f800000, v57, s11
	v_fmac_f32_e32 v13, v68, v53
	v_cvt_f16_f32_e32 v53, v53
	v_mul_u32_u24_sdwa v53, v53, v25 dst_sel:DWORD dst_unused:UNUSED_PAD src0_sel:WORD_0 src1_sel:DWORD
	v_pk_mul_f16 v53, v54, v53
	v_sub_f32_e32 v54, v14, v6
	v_sub_f32_e32 v14, v80, v6
	v_mul_f32_e32 v57, 0x3fb8aa3b, v14
	v_cmp_ngt_f32_e64 s11, 0xc2ce8ed0, v14
	v_fma_f32 v68, 0x3fb8aa3b, v14, -v57
	v_rndne_f32_e32 v70, v57
	v_fmac_f32_e32 v68, 0x32a5705f, v14
	v_sub_f32_e32 v57, v57, v70
	v_add_f32_e32 v57, v57, v68
	v_cvt_i32_f32_e32 v68, v70
	v_exp_f32_e32 v57, v57
	v_ldexp_f32 v57, v57, v68
	v_cndmask_b32_e64 v57, 0, v57, s11
	v_cmp_nlt_f32_e64 s11, 0x42b17218, v14
	v_cndmask_b32_e64 v14, 0x7f800000, v57, s11
	v_sub_f32_e32 v57, v85, v6
	v_cndmask_b32_e32 v14, 0, v14, vcc_lo
	v_mul_f32_e32 v70, 0x3fb8aa3b, v57
	v_cmp_ngt_f32_e64 s11, 0xc2ce8ed0, v57
	v_cvt_f16_f32_e32 v68, v14
	v_fma_f32 v71, 0x3fb8aa3b, v57, -v70
	v_rndne_f32_e32 v72, v70
	v_pack_b32_f16 v56, v56, v68
	v_fmac_f32_e32 v71, 0x32a5705f, v57
	v_sub_f32_e32 v70, v70, v72
	v_add_f32_e32 v70, v70, v71
	v_cvt_i32_f32_e32 v71, v72
	v_exp_f32_e32 v70, v70
	v_ldexp_f32 v70, v70, v71
	v_cndmask_b32_e64 v70, 0, v70, s11
	v_cmp_nlt_f32_e64 s11, 0x42b17218, v57
	v_cndmask_b32_e64 v57, 0x7f800000, v70, s11
	v_cmp_ngt_f32_e64 s11, 0xc2ce8ed0, v54
	v_cndmask_b32_e64 v57, 0, v57, s10
	v_add_f32_e32 v14, v14, v57
	v_cvt_f16_f32_e32 v70, v57
	v_mul_f32_e32 v57, 0x3fb8aa3b, v54
	v_fma_f32 v71, 0x3fb8aa3b, v54, -v57
	v_rndne_f32_e32 v72, v57
	v_fmac_f32_e32 v71, 0x32a5705f, v54
	v_sub_f32_e32 v57, v57, v72
	v_add_f32_e32 v57, v57, v71
	v_cvt_i32_f32_e32 v71, v72
	v_exp_f32_e32 v57, v57
	v_ldexp_f32 v57, v57, v71
	v_cndmask_b32_e64 v57, 0, v57, s11
	v_cmp_nlt_f32_e64 s11, 0x42b17218, v54
	v_cndmask_b32_e64 v54, 0x7f800000, v57, s11
	v_fmac_f32_e32 v14, v69, v54
	v_cvt_f16_f32_e32 v54, v54
	v_mul_u32_u24_sdwa v54, v54, v25 dst_sel:DWORD dst_unused:UNUSED_PAD src0_sel:WORD_0 src1_sel:DWORD
	v_pk_mul_f16 v51, v51, v54
	v_sub_f32_e32 v54, v15, v7
	v_sub_f32_e32 v15, v79, v7
	v_mul_f32_e32 v57, 0x3fb8aa3b, v15
	v_cmp_ngt_f32_e64 s11, 0xc2ce8ed0, v15
	v_fma_f32 v69, 0x3fb8aa3b, v15, -v57
	v_rndne_f32_e32 v71, v57
	v_fmac_f32_e32 v69, 0x32a5705f, v15
	v_sub_f32_e32 v57, v57, v71
	v_add_f32_e32 v57, v57, v69
	v_cvt_i32_f32_e32 v69, v71
	v_exp_f32_e32 v57, v57
	v_ldexp_f32 v57, v57, v69
	v_sub_f32_e32 v69, v83, v7
	v_cndmask_b32_e64 v57, 0, v57, s11
	v_mul_f32_e32 v71, 0x3fb8aa3b, v69
	v_cmp_nlt_f32_e64 s11, 0x42b17218, v15
	v_fma_f32 v72, 0x3fb8aa3b, v69, -v71
	v_rndne_f32_e32 v79, v71
	v_cndmask_b32_e64 v15, 0x7f800000, v57, s11
	v_cmp_ngt_f32_e64 s11, 0xc2ce8ed0, v69
	v_fmac_f32_e32 v72, 0x32a5705f, v69
	v_sub_f32_e32 v71, v71, v79
	v_cndmask_b32_e32 v15, 0, v15, vcc_lo
	v_add_f32_e32 v71, v71, v72
	v_cvt_i32_f32_e32 v72, v79
	v_cvt_f16_f32_e32 v57, v15
	v_exp_f32_e32 v71, v71
	v_ldexp_f32 v71, v71, v72
	v_cndmask_b32_e64 v71, 0, v71, s11
	v_cmp_nlt_f32_e64 s11, 0x42b17218, v69
	v_cndmask_b32_e64 v69, 0x7f800000, v71, s11
	v_mul_f32_e32 v71, 0x3fb8aa3b, v54
	v_cmp_ngt_f32_e64 s11, 0xc2ce8ed0, v54
	v_cndmask_b32_e64 v69, 0, v69, s10
	v_fma_f32 v72, 0x3fb8aa3b, v54, -v71
	v_rndne_f32_e32 v79, v71
	v_add_f32_e32 v15, v15, v69
	v_fmac_f32_e32 v72, 0x32a5705f, v54
	v_sub_f32_e32 v71, v71, v79
	v_cvt_f16_f32_e32 v69, v69
	v_add_f32_e32 v71, v71, v72
	v_cvt_i32_f32_e32 v72, v79
	v_exp_f32_e32 v71, v71
	v_ldexp_f32 v71, v71, v72
	v_cndmask_b32_e64 v71, 0, v71, s11
	v_cmp_nlt_f32_e64 s11, 0x42b17218, v54
	v_cndmask_b32_e64 v54, 0x7f800000, v71, s11
	v_fmac_f32_e32 v15, v73, v54
	v_cvt_f16_f32_e32 v54, v54
	v_mul_u32_u24_sdwa v54, v54, v25 dst_sel:DWORD dst_unused:UNUSED_PAD src0_sel:WORD_0 src1_sel:DWORD
	v_pk_mul_f16 v50, v50, v54
	v_sub_f32_e32 v54, v16, v8
	v_sub_f32_e32 v16, v78, v8
	v_mul_f32_e32 v71, 0x3fb8aa3b, v16
	v_cmp_ngt_f32_e64 s11, 0xc2ce8ed0, v16
	v_fma_f32 v72, 0x3fb8aa3b, v16, -v71
	v_rndne_f32_e32 v73, v71
	v_fmac_f32_e32 v72, 0x32a5705f, v16
	v_sub_f32_e32 v71, v71, v73
	v_add_f32_e32 v71, v71, v72
	v_cvt_i32_f32_e32 v72, v73
	v_exp_f32_e32 v71, v71
	v_ldexp_f32 v71, v71, v72
	v_sub_f32_e32 v72, v81, v8
	v_cndmask_b32_e64 v71, 0, v71, s11
	v_mul_f32_e32 v73, 0x3fb8aa3b, v72
	v_cmp_nlt_f32_e64 s11, 0x42b17218, v16
	v_fma_f32 v78, 0x3fb8aa3b, v72, -v73
	v_rndne_f32_e32 v79, v73
	v_cndmask_b32_e64 v16, 0x7f800000, v71, s11
	s_mul_hi_i32 s11, s12, s13
	v_fmac_f32_e32 v78, 0x32a5705f, v72
	v_sub_f32_e32 v73, v73, v79
	v_cndmask_b32_e32 v16, 0, v16, vcc_lo
	v_cmp_ngt_f32_e32 vcc_lo, 0xc2ce8ed0, v72
	v_add_f32_e32 v73, v73, v78
	v_cvt_i32_f32_e32 v78, v79
	v_cvt_f16_f32_e32 v71, v16
	v_exp_f32_e32 v73, v73
	v_pack_b32_f16 v57, v57, v71
	v_ldexp_f32 v73, v73, v78
	v_cndmask_b32_e32 v73, 0, v73, vcc_lo
	v_cmp_nlt_f32_e32 vcc_lo, 0x42b17218, v72
	v_cndmask_b32_e32 v72, 0x7f800000, v73, vcc_lo
	v_mul_f32_e32 v73, 0x3fb8aa3b, v54
	v_cmp_ngt_f32_e32 vcc_lo, 0xc2ce8ed0, v54
	v_cndmask_b32_e64 v72, 0, v72, s10
	v_fma_f32 v78, 0x3fb8aa3b, v54, -v73
	v_rndne_f32_e32 v79, v73
	s_mul_i32 s10, s12, s13
	v_add_f32_e32 v16, v16, v72
	v_fmac_f32_e32 v78, 0x32a5705f, v54
	v_sub_f32_e32 v73, v73, v79
	v_cvt_f16_f32_e32 v72, v72
	s_lshl_b64 s[10:11], s[10:11], 2
	s_add_u32 s12, s14, s10
	v_add_f32_e32 v73, v73, v78
	v_cvt_i32_f32_e32 v78, v79
	s_addc_u32 s14, s15, s11
	s_mov_b64 s[10:11], src_private_base
	s_lshl_b32 s10, s13, 4
	v_exp_f32_e32 v73, v73
	v_ldexp_f32 v73, v73, v78
	v_cndmask_b32_e32 v73, 0, v73, vcc_lo
	v_cmp_nlt_f32_e32 vcc_lo, 0x42b17218, v54
	v_cndmask_b32_e32 v54, 0x7f800000, v73, vcc_lo
	v_fmac_f32_e32 v16, v66, v54
	v_cvt_f16_f32_e32 v54, v54
	v_lshl_add_u32 v66, v0, 4, v48
	v_lshl_add_u32 v48, v61, 4, v48
	v_mul_u32_u24_sdwa v54, v54, v25 dst_sel:DWORD dst_unused:UNUSED_PAD src0_sel:WORD_0 src1_sel:DWORD
	v_pk_mul_f16 v49, v49, v54
	v_pack_b32_f16 v54, v58, v62
	v_mov_b32_e32 v58, 0
	ds_write_b128 v66, v[54:57]
	v_pack_b32_f16 v57, v69, v72
	v_pack_b32_f16 v56, v67, v70
	;; [unrolled: 1-line block ×4, first 2 shown]
	v_lshl_or_b32 v60, v75, 7, v26
	v_lshl_or_b32 v63, v76, 7, v26
	ds_write_b128 v48, v[54:57]
	v_mul_lo_u32 v54, s13, v74
	buffer_store_dword v58, off, s[0:3], 0
	buffer_store_dword v58, off, s[0:3], 0 offset:4
	buffer_store_dword v58, off, s[0:3], 0 offset:8
	;; [unrolled: 1-line block ×3, first 2 shown]
	v_lshl_or_b32 v48, v74, 7, v26
	v_ashrrev_i32_e32 v55, 31, v54
	v_lshlrev_b64 v[55:56], 2, v[54:55]
	v_add_nc_u32_e32 v54, s10, v54
	v_add_co_u32 v55, vcc_lo, s12, v55
	v_add_co_ci_u32_e64 v56, null, s14, v56, vcc_lo
	v_add_co_u32 v57, vcc_lo, v55, v26
	v_ashrrev_i32_e32 v55, 31, v54
	v_add_co_ci_u32_e64 v59, null, 0, v56, vcc_lo
	v_lshlrev_b64 v[55:56], 2, v[54:55]
	v_add_nc_u32_e32 v54, s10, v54
	v_add_co_u32 v55, vcc_lo, s12, v55
	v_add_co_ci_u32_e64 v56, null, s14, v56, vcc_lo
	v_add_co_u32 v61, vcc_lo, v55, v26
	v_ashrrev_i32_e32 v55, 31, v54
	v_add_co_ci_u32_e64 v62, null, 0, v56, vcc_lo
	;; [unrolled: 7-line block ×3, first 2 shown]
	v_lshlrev_b64 v[54:55], 2, v[54:55]
	v_add_co_u32 v54, vcc_lo, s12, v54
	v_add_co_ci_u32_e64 v55, null, s14, v55, vcc_lo
	v_add_co_u32 v66, vcc_lo, v54, v26
	v_add_co_ci_u32_e64 v67, null, 0, v55, vcc_lo
	v_cndmask_b32_e64 v55, s11, v59, s9
	v_cndmask_b32_e64 v54, 0, v57, s9
	v_lshl_or_b32 v26, v77, 7, v26
	flat_load_dwordx4 v[54:57], v[54:55]
	s_waitcnt vmcnt(0) lgkmcnt(0)
	ds_write_b128 v48, v[54:57]
	v_cndmask_b32_e64 v55, s11, v62, s8
	v_cndmask_b32_e64 v54, 0, v61, s8
	buffer_store_dword v58, off, s[0:3], 0
	buffer_store_dword v58, off, s[0:3], 0 offset:4
	buffer_store_dword v58, off, s[0:3], 0 offset:8
	buffer_store_dword v58, off, s[0:3], 0 offset:12
	flat_load_dwordx4 v[54:57], v[54:55]
	s_waitcnt vmcnt(0) lgkmcnt(0)
	ds_write_b128 v60, v[54:57]
	v_cndmask_b32_e64 v55, s11, v65, s7
	v_cndmask_b32_e64 v54, 0, v64, s7
	buffer_store_dword v58, off, s[0:3], 0
	buffer_store_dword v58, off, s[0:3], 0 offset:4
	buffer_store_dword v58, off, s[0:3], 0 offset:8
	buffer_store_dword v58, off, s[0:3], 0 offset:12
	flat_load_dwordx4 v[54:57], v[54:55]
	s_waitcnt vmcnt(0) lgkmcnt(0)
	ds_write_b128 v63, v[54:57]
	v_cndmask_b32_e64 v55, s11, v67, s6
	v_cndmask_b32_e64 v54, 0, v66, s6
	buffer_store_dword v58, off, s[0:3], 0
	buffer_store_dword v58, off, s[0:3], 0 offset:4
	buffer_store_dword v58, off, s[0:3], 0 offset:8
	buffer_store_dword v58, off, s[0:3], 0 offset:12
	flat_load_dwordx4 v[54:57], v[54:55]
	s_waitcnt vmcnt(0) lgkmcnt(0)
	ds_write_b128 v26, v[54:57]
	s_waitcnt lgkmcnt(0)
	s_waitcnt_vscnt null, 0x0
	s_barrier
	buffer_gl0_inv
	ds_read2_b32 v[70:71], v45 offset1:32
	ds_read_b128 v[54:57], v44 offset:9216
	ds_read_b128 v[58:61], v44 offset:9232
	ds_read_b128 v[62:65], v44 offset:9248
	ds_read_b128 v[66:69], v44 offset:9264
	s_waitcnt lgkmcnt(3)
	v_mul_u32_u24_sdwa v26, v54, v25 dst_sel:DWORD dst_unused:UNUSED_PAD src0_sel:WORD_0 src1_sel:DWORD
	v_mul_u32_u24_sdwa v48, v54, v25 dst_sel:DWORD dst_unused:UNUSED_PAD src0_sel:WORD_1 src1_sel:DWORD
	v_mul_u32_u24_sdwa v54, v55, v25 dst_sel:DWORD dst_unused:UNUSED_PAD src0_sel:WORD_0 src1_sel:DWORD
	v_mul_u32_u24_sdwa v55, v55, v25 dst_sel:DWORD dst_unused:UNUSED_PAD src0_sel:WORD_1 src1_sel:DWORD
	v_mul_u32_u24_sdwa v72, v56, v25 dst_sel:DWORD dst_unused:UNUSED_PAD src0_sel:WORD_0 src1_sel:DWORD
	v_pk_fma_f16 v9, v70, v26, v9
	v_pk_fma_f16 v10, v70, v48, v10
	;; [unrolled: 1-line block ×5, first 2 shown]
	s_waitcnt lgkmcnt(2)
	v_mul_u32_u24_sdwa v52, v58, v25 dst_sel:DWORD dst_unused:UNUSED_PAD src0_sel:WORD_0 src1_sel:DWORD
	v_mul_u32_u24_sdwa v53, v58, v25 dst_sel:DWORD dst_unused:UNUSED_PAD src0_sel:WORD_1 src1_sel:DWORD
	v_mul_u32_u24_sdwa v56, v56, v25 dst_sel:DWORD dst_unused:UNUSED_PAD src0_sel:WORD_1 src1_sel:DWORD
	v_mul_u32_u24_sdwa v73, v57, v25 dst_sel:DWORD dst_unused:UNUSED_PAD src0_sel:WORD_0 src1_sel:DWORD
	v_mul_u32_u24_sdwa v57, v57, v25 dst_sel:DWORD dst_unused:UNUSED_PAD src0_sel:WORD_1 src1_sel:DWORD
	v_pk_fma_f16 v52, v71, v52, v9
	v_pk_fma_f16 v53, v71, v53, v10
	ds_read2_b32 v[9:10], v45 offset0:64 offset1:96
	v_pk_fma_f16 v51, v70, v56, v51
	v_pk_fma_f16 v50, v70, v73, v50
	;; [unrolled: 1-line block ×3, first 2 shown]
	v_mul_u32_u24_sdwa v54, v59, v25 dst_sel:DWORD dst_unused:UNUSED_PAD src0_sel:WORD_0 src1_sel:DWORD
	v_mul_u32_u24_sdwa v55, v59, v25 dst_sel:DWORD dst_unused:UNUSED_PAD src0_sel:WORD_1 src1_sel:DWORD
	v_mul_u32_u24_sdwa v56, v60, v25 dst_sel:DWORD dst_unused:UNUSED_PAD src0_sel:WORD_0 src1_sel:DWORD
	v_mul_u32_u24_sdwa v57, v60, v25 dst_sel:DWORD dst_unused:UNUSED_PAD src0_sel:WORD_1 src1_sel:DWORD
	;; [unrolled: 2-line block ×3, first 2 shown]
	v_pk_fma_f16 v26, v71, v54, v26
	v_pk_fma_f16 v47, v71, v55, v47
	;; [unrolled: 1-line block ×6, first 2 shown]
	s_waitcnt lgkmcnt(2)
	v_mul_u32_u24_sdwa v54, v62, v25 dst_sel:DWORD dst_unused:UNUSED_PAD src0_sel:WORD_0 src1_sel:DWORD
	v_mul_u32_u24_sdwa v55, v62, v25 dst_sel:DWORD dst_unused:UNUSED_PAD src0_sel:WORD_1 src1_sel:DWORD
	v_mul_u32_u24_sdwa v56, v63, v25 dst_sel:DWORD dst_unused:UNUSED_PAD src0_sel:WORD_0 src1_sel:DWORD
	v_mul_u32_u24_sdwa v57, v63, v25 dst_sel:DWORD dst_unused:UNUSED_PAD src0_sel:WORD_1 src1_sel:DWORD
	;; [unrolled: 2-line block ×4, first 2 shown]
	s_waitcnt lgkmcnt(0)
	v_pk_fma_f16 v52, v9, v54, v52
	v_pk_fma_f16 v53, v9, v55, v53
	;; [unrolled: 1-line block ×8, first 2 shown]
	v_mul_u32_u24_sdwa v49, v66, v25 dst_sel:DWORD dst_unused:UNUSED_PAD src0_sel:WORD_0 src1_sel:DWORD
	v_mul_u32_u24_sdwa v54, v66, v25 dst_sel:DWORD dst_unused:UNUSED_PAD src0_sel:WORD_1 src1_sel:DWORD
	v_mul_u32_u24_sdwa v55, v67, v25 dst_sel:DWORD dst_unused:UNUSED_PAD src0_sel:WORD_0 src1_sel:DWORD
	v_mul_u32_u24_sdwa v56, v67, v25 dst_sel:DWORD dst_unused:UNUSED_PAD src0_sel:WORD_1 src1_sel:DWORD
	;; [unrolled: 2-line block ×4, first 2 shown]
	v_pk_fma_f16 v52, v10, v49, v52
	v_pk_fma_f16 v53, v10, v54, v53
	;; [unrolled: 1-line block ×8, first 2 shown]
	ds_read2_b32 v[9:10], v45 offset0:128 offset1:160
	ds_read_b128 v[47:50], v44 offset:9280
	v_mov_b32_e32 v66, v16
	v_mov_b32_e32 v73, v15
	;; [unrolled: 1-line block ×8, first 2 shown]
	s_waitcnt lgkmcnt(0)
	v_mul_u32_u24_sdwa v58, v47, v25 dst_sel:DWORD dst_unused:UNUSED_PAD src0_sel:WORD_0 src1_sel:DWORD
	v_mul_u32_u24_sdwa v47, v47, v25 dst_sel:DWORD dst_unused:UNUSED_PAD src0_sel:WORD_1 src1_sel:DWORD
	v_mul_u32_u24_sdwa v59, v48, v25 dst_sel:DWORD dst_unused:UNUSED_PAD src0_sel:WORD_0 src1_sel:DWORD
	v_mul_u32_u24_sdwa v48, v48, v25 dst_sel:DWORD dst_unused:UNUSED_PAD src0_sel:WORD_1 src1_sel:DWORD
	;; [unrolled: 2-line block ×4, first 2 shown]
	v_pk_fma_f16 v52, v9, v58, v52
	v_pk_fma_f16 v53, v9, v47, v53
	;; [unrolled: 1-line block ×8, first 2 shown]
	ds_read_b128 v[47:50], v44 offset:9296
	s_waitcnt lgkmcnt(0)
	v_mul_u32_u24_sdwa v57, v47, v25 dst_sel:DWORD dst_unused:UNUSED_PAD src0_sel:WORD_0 src1_sel:DWORD
	v_mul_u32_u24_sdwa v47, v47, v25 dst_sel:DWORD dst_unused:UNUSED_PAD src0_sel:WORD_1 src1_sel:DWORD
	v_mul_u32_u24_sdwa v58, v48, v25 dst_sel:DWORD dst_unused:UNUSED_PAD src0_sel:WORD_0 src1_sel:DWORD
	v_mul_u32_u24_sdwa v48, v48, v25 dst_sel:DWORD dst_unused:UNUSED_PAD src0_sel:WORD_1 src1_sel:DWORD
	;; [unrolled: 2-line block ×4, first 2 shown]
	v_pk_fma_f16 v52, v10, v57, v52
	v_pk_fma_f16 v53, v10, v47, v53
	;; [unrolled: 1-line block ×8, first 2 shown]
	ds_read2_b32 v[9:10], v45 offset0:192 offset1:224
	ds_read_b128 v[47:50], v44 offset:9312
	s_waitcnt lgkmcnt(0)
	v_mul_u32_u24_sdwa v58, v47, v25 dst_sel:DWORD dst_unused:UNUSED_PAD src0_sel:WORD_0 src1_sel:DWORD
	v_mul_u32_u24_sdwa v47, v47, v25 dst_sel:DWORD dst_unused:UNUSED_PAD src0_sel:WORD_1 src1_sel:DWORD
	v_mul_u32_u24_sdwa v59, v48, v25 dst_sel:DWORD dst_unused:UNUSED_PAD src0_sel:WORD_0 src1_sel:DWORD
	v_mul_u32_u24_sdwa v48, v48, v25 dst_sel:DWORD dst_unused:UNUSED_PAD src0_sel:WORD_1 src1_sel:DWORD
	;; [unrolled: 2-line block ×4, first 2 shown]
	v_pk_fma_f16 v52, v9, v58, v52
	v_pk_fma_f16 v53, v9, v47, v53
	;; [unrolled: 1-line block ×8, first 2 shown]
	ds_read_b128 v[47:50], v44 offset:9328
	s_waitcnt lgkmcnt(0)
	v_mul_u32_u24_sdwa v58, v48, v25 dst_sel:DWORD dst_unused:UNUSED_PAD src0_sel:WORD_0 src1_sel:DWORD
	v_mul_u32_u24_sdwa v57, v47, v25 dst_sel:DWORD dst_unused:UNUSED_PAD src0_sel:WORD_0 src1_sel:DWORD
	v_mul_u32_u24_sdwa v47, v47, v25 dst_sel:DWORD dst_unused:UNUSED_PAD src0_sel:WORD_1 src1_sel:DWORD
	v_mul_u32_u24_sdwa v48, v48, v25 dst_sel:DWORD dst_unused:UNUSED_PAD src0_sel:WORD_1 src1_sel:DWORD
	v_mul_u32_u24_sdwa v59, v49, v25 dst_sel:DWORD dst_unused:UNUSED_PAD src0_sel:WORD_0 src1_sel:DWORD
	v_mul_u32_u24_sdwa v49, v49, v25 dst_sel:DWORD dst_unused:UNUSED_PAD src0_sel:WORD_1 src1_sel:DWORD
	v_mul_u32_u24_sdwa v60, v50, v25 dst_sel:DWORD dst_unused:UNUSED_PAD src0_sel:WORD_0 src1_sel:DWORD
	v_mul_u32_u24_sdwa v50, v50, v25 dst_sel:DWORD dst_unused:UNUSED_PAD src0_sel:WORD_1 src1_sel:DWORD
	v_pk_fma_f16 v26, v10, v58, v26
	v_add_nc_u32_e32 v58, 0x400, v45
	v_pk_fma_f16 v52, v10, v57, v52
	v_pk_fma_f16 v53, v10, v47, v53
	;; [unrolled: 1-line block ×7, first 2 shown]
	ds_read2_b32 v[9:10], v58 offset1:32
	ds_read_b128 v[47:50], v44 offset:9344
	s_waitcnt lgkmcnt(0)
	v_mul_u32_u24_sdwa v59, v47, v25 dst_sel:DWORD dst_unused:UNUSED_PAD src0_sel:WORD_0 src1_sel:DWORD
	v_mul_u32_u24_sdwa v47, v47, v25 dst_sel:DWORD dst_unused:UNUSED_PAD src0_sel:WORD_1 src1_sel:DWORD
	v_mul_u32_u24_sdwa v60, v48, v25 dst_sel:DWORD dst_unused:UNUSED_PAD src0_sel:WORD_0 src1_sel:DWORD
	v_mul_u32_u24_sdwa v48, v48, v25 dst_sel:DWORD dst_unused:UNUSED_PAD src0_sel:WORD_1 src1_sel:DWORD
	v_mul_u32_u24_sdwa v61, v49, v25 dst_sel:DWORD dst_unused:UNUSED_PAD src0_sel:WORD_0 src1_sel:DWORD
	v_mul_u32_u24_sdwa v49, v49, v25 dst_sel:DWORD dst_unused:UNUSED_PAD src0_sel:WORD_1 src1_sel:DWORD
	v_mul_u32_u24_sdwa v62, v50, v25 dst_sel:DWORD dst_unused:UNUSED_PAD src0_sel:WORD_0 src1_sel:DWORD
	v_mul_u32_u24_sdwa v50, v50, v25 dst_sel:DWORD dst_unused:UNUSED_PAD src0_sel:WORD_1 src1_sel:DWORD
	v_pk_fma_f16 v52, v9, v59, v52
	v_pk_fma_f16 v53, v9, v47, v53
	v_pk_fma_f16 v26, v9, v60, v26
	v_pk_fma_f16 v54, v9, v48, v54
	v_pk_fma_f16 v55, v9, v61, v55
	v_pk_fma_f16 v51, v9, v49, v51
	v_pk_fma_f16 v56, v9, v62, v56
	v_pk_fma_f16 v9, v9, v50, v57
	ds_read_b128 v[47:50], v44 offset:9360
	s_waitcnt lgkmcnt(0)
	v_mul_u32_u24_sdwa v57, v47, v25 dst_sel:DWORD dst_unused:UNUSED_PAD src0_sel:WORD_0 src1_sel:DWORD
	v_mul_u32_u24_sdwa v47, v47, v25 dst_sel:DWORD dst_unused:UNUSED_PAD src0_sel:WORD_1 src1_sel:DWORD
	v_mul_u32_u24_sdwa v59, v48, v25 dst_sel:DWORD dst_unused:UNUSED_PAD src0_sel:WORD_0 src1_sel:DWORD
	v_mul_u32_u24_sdwa v48, v48, v25 dst_sel:DWORD dst_unused:UNUSED_PAD src0_sel:WORD_1 src1_sel:DWORD
	v_mul_u32_u24_sdwa v60, v49, v25 dst_sel:DWORD dst_unused:UNUSED_PAD src0_sel:WORD_0 src1_sel:DWORD
	v_mul_u32_u24_sdwa v49, v49, v25 dst_sel:DWORD dst_unused:UNUSED_PAD src0_sel:WORD_1 src1_sel:DWORD
	v_mul_u32_u24_sdwa v61, v50, v25 dst_sel:DWORD dst_unused:UNUSED_PAD src0_sel:WORD_0 src1_sel:DWORD
	v_mul_u32_u24_sdwa v50, v50, v25 dst_sel:DWORD dst_unused:UNUSED_PAD src0_sel:WORD_1 src1_sel:DWORD
	v_pk_fma_f16 v52, v10, v57, v52
	v_pk_fma_f16 v53, v10, v47, v53
	v_pk_fma_f16 v26, v10, v59, v26
	v_pk_fma_f16 v54, v10, v48, v54
	v_pk_fma_f16 v55, v10, v60, v55
	v_pk_fma_f16 v51, v10, v49, v51
	v_pk_fma_f16 v56, v10, v61, v56
	v_pk_fma_f16 v57, v10, v50, v9
	ds_read2_b32 v[9:10], v58 offset0:64 offset1:96
	ds_read_b128 v[47:50], v44 offset:9376
	s_waitcnt lgkmcnt(0)
	v_mul_u32_u24_sdwa v59, v47, v25 dst_sel:DWORD dst_unused:UNUSED_PAD src0_sel:WORD_0 src1_sel:DWORD
	v_mul_u32_u24_sdwa v47, v47, v25 dst_sel:DWORD dst_unused:UNUSED_PAD src0_sel:WORD_1 src1_sel:DWORD
	v_mul_u32_u24_sdwa v60, v48, v25 dst_sel:DWORD dst_unused:UNUSED_PAD src0_sel:WORD_0 src1_sel:DWORD
	v_mul_u32_u24_sdwa v48, v48, v25 dst_sel:DWORD dst_unused:UNUSED_PAD src0_sel:WORD_1 src1_sel:DWORD
	v_mul_u32_u24_sdwa v61, v49, v25 dst_sel:DWORD dst_unused:UNUSED_PAD src0_sel:WORD_0 src1_sel:DWORD
	v_mul_u32_u24_sdwa v49, v49, v25 dst_sel:DWORD dst_unused:UNUSED_PAD src0_sel:WORD_1 src1_sel:DWORD
	v_mul_u32_u24_sdwa v62, v50, v25 dst_sel:DWORD dst_unused:UNUSED_PAD src0_sel:WORD_0 src1_sel:DWORD
	v_mul_u32_u24_sdwa v50, v50, v25 dst_sel:DWORD dst_unused:UNUSED_PAD src0_sel:WORD_1 src1_sel:DWORD
	v_pk_fma_f16 v52, v9, v59, v52
	v_pk_fma_f16 v53, v9, v47, v53
	v_pk_fma_f16 v26, v9, v60, v26
	v_pk_fma_f16 v54, v9, v48, v54
	v_pk_fma_f16 v55, v9, v61, v55
	v_pk_fma_f16 v51, v9, v49, v51
	v_pk_fma_f16 v56, v9, v62, v56
	v_pk_fma_f16 v9, v9, v50, v57
	ds_read_b128 v[47:50], v44 offset:9392
	s_waitcnt lgkmcnt(0)
	v_mul_u32_u24_sdwa v57, v47, v25 dst_sel:DWORD dst_unused:UNUSED_PAD src0_sel:WORD_0 src1_sel:DWORD
	v_mul_u32_u24_sdwa v47, v47, v25 dst_sel:DWORD dst_unused:UNUSED_PAD src0_sel:WORD_1 src1_sel:DWORD
	v_mul_u32_u24_sdwa v59, v48, v25 dst_sel:DWORD dst_unused:UNUSED_PAD src0_sel:WORD_0 src1_sel:DWORD
	v_mul_u32_u24_sdwa v48, v48, v25 dst_sel:DWORD dst_unused:UNUSED_PAD src0_sel:WORD_1 src1_sel:DWORD
	v_mul_u32_u24_sdwa v60, v49, v25 dst_sel:DWORD dst_unused:UNUSED_PAD src0_sel:WORD_0 src1_sel:DWORD
	v_mul_u32_u24_sdwa v49, v49, v25 dst_sel:DWORD dst_unused:UNUSED_PAD src0_sel:WORD_1 src1_sel:DWORD
	v_mul_u32_u24_sdwa v61, v50, v25 dst_sel:DWORD dst_unused:UNUSED_PAD src0_sel:WORD_0 src1_sel:DWORD
	v_mul_u32_u24_sdwa v50, v50, v25 dst_sel:DWORD dst_unused:UNUSED_PAD src0_sel:WORD_1 src1_sel:DWORD
	v_pk_fma_f16 v52, v10, v57, v52
	v_pk_fma_f16 v53, v10, v47, v53
	v_pk_fma_f16 v26, v10, v59, v26
	v_pk_fma_f16 v54, v10, v48, v54
	v_pk_fma_f16 v55, v10, v60, v55
	v_pk_fma_f16 v51, v10, v49, v51
	v_pk_fma_f16 v56, v10, v61, v56
	v_pk_fma_f16 v57, v10, v50, v9
	ds_read2_b32 v[9:10], v58 offset0:128 offset1:160
	;; [unrolled: 37-line block ×3, first 2 shown]
	ds_read_b128 v[47:50], v44 offset:9440
	s_waitcnt lgkmcnt(0)
	v_mul_u32_u24_sdwa v58, v47, v25 dst_sel:DWORD dst_unused:UNUSED_PAD src0_sel:WORD_0 src1_sel:DWORD
	v_mul_u32_u24_sdwa v47, v47, v25 dst_sel:DWORD dst_unused:UNUSED_PAD src0_sel:WORD_1 src1_sel:DWORD
	v_mul_u32_u24_sdwa v59, v48, v25 dst_sel:DWORD dst_unused:UNUSED_PAD src0_sel:WORD_0 src1_sel:DWORD
	v_mul_u32_u24_sdwa v48, v48, v25 dst_sel:DWORD dst_unused:UNUSED_PAD src0_sel:WORD_1 src1_sel:DWORD
	;; [unrolled: 2-line block ×4, first 2 shown]
	v_pk_fma_f16 v52, v9, v58, v52
	v_pk_fma_f16 v53, v9, v47, v53
	;; [unrolled: 1-line block ×8, first 2 shown]
	ds_read_b128 v[47:50], v44 offset:9456
	s_waitcnt lgkmcnt(0)
	v_mul_u32_u24_sdwa v58, v48, v25 dst_sel:DWORD dst_unused:UNUSED_PAD src0_sel:WORD_0 src1_sel:DWORD
	v_mul_u32_u24_sdwa v57, v47, v25 dst_sel:DWORD dst_unused:UNUSED_PAD src0_sel:WORD_0 src1_sel:DWORD
	v_mul_u32_u24_sdwa v47, v47, v25 dst_sel:DWORD dst_unused:UNUSED_PAD src0_sel:WORD_1 src1_sel:DWORD
	v_mul_u32_u24_sdwa v48, v48, v25 dst_sel:DWORD dst_unused:UNUSED_PAD src0_sel:WORD_1 src1_sel:DWORD
	v_mul_u32_u24_sdwa v59, v49, v25 dst_sel:DWORD dst_unused:UNUSED_PAD src0_sel:WORD_0 src1_sel:DWORD
	v_mul_u32_u24_sdwa v49, v49, v25 dst_sel:DWORD dst_unused:UNUSED_PAD src0_sel:WORD_1 src1_sel:DWORD
	v_mul_u32_u24_sdwa v60, v50, v25 dst_sel:DWORD dst_unused:UNUSED_PAD src0_sel:WORD_0 src1_sel:DWORD
	v_mul_u32_u24_sdwa v50, v50, v25 dst_sel:DWORD dst_unused:UNUSED_PAD src0_sel:WORD_1 src1_sel:DWORD
	v_pk_fma_f16 v26, v10, v58, v26
	v_add_nc_u32_e32 v58, 0x800, v45
	v_pk_fma_f16 v52, v10, v57, v52
	v_pk_fma_f16 v53, v10, v47, v53
	;; [unrolled: 1-line block ×7, first 2 shown]
	ds_read2_b32 v[9:10], v58 offset1:32
	ds_read_b128 v[47:50], v44 offset:9472
	s_waitcnt lgkmcnt(0)
	v_mul_u32_u24_sdwa v59, v47, v25 dst_sel:DWORD dst_unused:UNUSED_PAD src0_sel:WORD_0 src1_sel:DWORD
	v_mul_u32_u24_sdwa v47, v47, v25 dst_sel:DWORD dst_unused:UNUSED_PAD src0_sel:WORD_1 src1_sel:DWORD
	v_mul_u32_u24_sdwa v60, v48, v25 dst_sel:DWORD dst_unused:UNUSED_PAD src0_sel:WORD_0 src1_sel:DWORD
	v_mul_u32_u24_sdwa v48, v48, v25 dst_sel:DWORD dst_unused:UNUSED_PAD src0_sel:WORD_1 src1_sel:DWORD
	v_mul_u32_u24_sdwa v61, v49, v25 dst_sel:DWORD dst_unused:UNUSED_PAD src0_sel:WORD_0 src1_sel:DWORD
	v_mul_u32_u24_sdwa v49, v49, v25 dst_sel:DWORD dst_unused:UNUSED_PAD src0_sel:WORD_1 src1_sel:DWORD
	v_mul_u32_u24_sdwa v62, v50, v25 dst_sel:DWORD dst_unused:UNUSED_PAD src0_sel:WORD_0 src1_sel:DWORD
	v_mul_u32_u24_sdwa v50, v50, v25 dst_sel:DWORD dst_unused:UNUSED_PAD src0_sel:WORD_1 src1_sel:DWORD
	v_pk_fma_f16 v52, v9, v59, v52
	v_pk_fma_f16 v53, v9, v47, v53
	v_pk_fma_f16 v26, v9, v60, v26
	v_pk_fma_f16 v54, v9, v48, v54
	v_pk_fma_f16 v55, v9, v61, v55
	v_pk_fma_f16 v51, v9, v49, v51
	v_pk_fma_f16 v56, v9, v62, v56
	v_pk_fma_f16 v9, v9, v50, v57
	ds_read_b128 v[47:50], v44 offset:9488
	s_waitcnt lgkmcnt(0)
	v_mul_u32_u24_sdwa v57, v47, v25 dst_sel:DWORD dst_unused:UNUSED_PAD src0_sel:WORD_0 src1_sel:DWORD
	v_mul_u32_u24_sdwa v47, v47, v25 dst_sel:DWORD dst_unused:UNUSED_PAD src0_sel:WORD_1 src1_sel:DWORD
	v_mul_u32_u24_sdwa v59, v48, v25 dst_sel:DWORD dst_unused:UNUSED_PAD src0_sel:WORD_0 src1_sel:DWORD
	v_mul_u32_u24_sdwa v48, v48, v25 dst_sel:DWORD dst_unused:UNUSED_PAD src0_sel:WORD_1 src1_sel:DWORD
	v_mul_u32_u24_sdwa v60, v49, v25 dst_sel:DWORD dst_unused:UNUSED_PAD src0_sel:WORD_0 src1_sel:DWORD
	v_mul_u32_u24_sdwa v49, v49, v25 dst_sel:DWORD dst_unused:UNUSED_PAD src0_sel:WORD_1 src1_sel:DWORD
	v_mul_u32_u24_sdwa v61, v50, v25 dst_sel:DWORD dst_unused:UNUSED_PAD src0_sel:WORD_0 src1_sel:DWORD
	v_mul_u32_u24_sdwa v50, v50, v25 dst_sel:DWORD dst_unused:UNUSED_PAD src0_sel:WORD_1 src1_sel:DWORD
	v_pk_fma_f16 v52, v10, v57, v52
	v_pk_fma_f16 v53, v10, v47, v53
	v_pk_fma_f16 v26, v10, v59, v26
	v_pk_fma_f16 v54, v10, v48, v54
	v_pk_fma_f16 v55, v10, v60, v55
	v_pk_fma_f16 v51, v10, v49, v51
	v_pk_fma_f16 v56, v10, v61, v56
	v_pk_fma_f16 v57, v10, v50, v9
	ds_read2_b32 v[9:10], v58 offset0:64 offset1:96
	ds_read_b128 v[47:50], v44 offset:9504
	s_waitcnt lgkmcnt(0)
	v_mul_u32_u24_sdwa v59, v47, v25 dst_sel:DWORD dst_unused:UNUSED_PAD src0_sel:WORD_0 src1_sel:DWORD
	v_mul_u32_u24_sdwa v47, v47, v25 dst_sel:DWORD dst_unused:UNUSED_PAD src0_sel:WORD_1 src1_sel:DWORD
	v_mul_u32_u24_sdwa v60, v48, v25 dst_sel:DWORD dst_unused:UNUSED_PAD src0_sel:WORD_0 src1_sel:DWORD
	v_mul_u32_u24_sdwa v48, v48, v25 dst_sel:DWORD dst_unused:UNUSED_PAD src0_sel:WORD_1 src1_sel:DWORD
	v_mul_u32_u24_sdwa v61, v49, v25 dst_sel:DWORD dst_unused:UNUSED_PAD src0_sel:WORD_0 src1_sel:DWORD
	v_mul_u32_u24_sdwa v49, v49, v25 dst_sel:DWORD dst_unused:UNUSED_PAD src0_sel:WORD_1 src1_sel:DWORD
	v_mul_u32_u24_sdwa v62, v50, v25 dst_sel:DWORD dst_unused:UNUSED_PAD src0_sel:WORD_0 src1_sel:DWORD
	v_mul_u32_u24_sdwa v50, v50, v25 dst_sel:DWORD dst_unused:UNUSED_PAD src0_sel:WORD_1 src1_sel:DWORD
	v_pk_fma_f16 v52, v9, v59, v52
	v_pk_fma_f16 v53, v9, v47, v53
	v_pk_fma_f16 v26, v9, v60, v26
	v_pk_fma_f16 v54, v9, v48, v54
	v_pk_fma_f16 v55, v9, v61, v55
	v_pk_fma_f16 v51, v9, v49, v51
	v_pk_fma_f16 v56, v9, v62, v56
	v_pk_fma_f16 v9, v9, v50, v57
	ds_read_b128 v[47:50], v44 offset:9520
	s_waitcnt lgkmcnt(0)
	v_mul_u32_u24_sdwa v57, v47, v25 dst_sel:DWORD dst_unused:UNUSED_PAD src0_sel:WORD_0 src1_sel:DWORD
	v_mul_u32_u24_sdwa v47, v47, v25 dst_sel:DWORD dst_unused:UNUSED_PAD src0_sel:WORD_1 src1_sel:DWORD
	v_mul_u32_u24_sdwa v59, v48, v25 dst_sel:DWORD dst_unused:UNUSED_PAD src0_sel:WORD_0 src1_sel:DWORD
	v_mul_u32_u24_sdwa v48, v48, v25 dst_sel:DWORD dst_unused:UNUSED_PAD src0_sel:WORD_1 src1_sel:DWORD
	v_mul_u32_u24_sdwa v60, v49, v25 dst_sel:DWORD dst_unused:UNUSED_PAD src0_sel:WORD_0 src1_sel:DWORD
	v_mul_u32_u24_sdwa v49, v49, v25 dst_sel:DWORD dst_unused:UNUSED_PAD src0_sel:WORD_1 src1_sel:DWORD
	v_mul_u32_u24_sdwa v61, v50, v25 dst_sel:DWORD dst_unused:UNUSED_PAD src0_sel:WORD_0 src1_sel:DWORD
	v_mul_u32_u24_sdwa v50, v50, v25 dst_sel:DWORD dst_unused:UNUSED_PAD src0_sel:WORD_1 src1_sel:DWORD
	v_pk_fma_f16 v52, v10, v57, v52
	v_pk_fma_f16 v53, v10, v47, v53
	v_pk_fma_f16 v26, v10, v59, v26
	v_pk_fma_f16 v54, v10, v48, v54
	v_pk_fma_f16 v55, v10, v60, v55
	v_pk_fma_f16 v51, v10, v49, v51
	v_pk_fma_f16 v56, v10, v61, v56
	v_pk_fma_f16 v57, v10, v50, v9
	ds_read2_b32 v[9:10], v58 offset0:128 offset1:160
	;; [unrolled: 37-line block ×3, first 2 shown]
	ds_read_b128 v[47:50], v44 offset:9568
	s_waitcnt lgkmcnt(0)
	v_mul_u32_u24_sdwa v58, v47, v25 dst_sel:DWORD dst_unused:UNUSED_PAD src0_sel:WORD_0 src1_sel:DWORD
	v_mul_u32_u24_sdwa v47, v47, v25 dst_sel:DWORD dst_unused:UNUSED_PAD src0_sel:WORD_1 src1_sel:DWORD
	v_mul_u32_u24_sdwa v59, v48, v25 dst_sel:DWORD dst_unused:UNUSED_PAD src0_sel:WORD_0 src1_sel:DWORD
	v_mul_u32_u24_sdwa v48, v48, v25 dst_sel:DWORD dst_unused:UNUSED_PAD src0_sel:WORD_1 src1_sel:DWORD
	;; [unrolled: 2-line block ×4, first 2 shown]
	v_pk_fma_f16 v52, v9, v58, v52
	v_pk_fma_f16 v53, v9, v47, v53
	;; [unrolled: 1-line block ×8, first 2 shown]
	ds_read_b128 v[47:50], v44 offset:9584
	s_waitcnt lgkmcnt(0)
	v_mul_u32_u24_sdwa v58, v48, v25 dst_sel:DWORD dst_unused:UNUSED_PAD src0_sel:WORD_0 src1_sel:DWORD
	v_mul_u32_u24_sdwa v57, v47, v25 dst_sel:DWORD dst_unused:UNUSED_PAD src0_sel:WORD_0 src1_sel:DWORD
	v_mul_u32_u24_sdwa v47, v47, v25 dst_sel:DWORD dst_unused:UNUSED_PAD src0_sel:WORD_1 src1_sel:DWORD
	v_mul_u32_u24_sdwa v48, v48, v25 dst_sel:DWORD dst_unused:UNUSED_PAD src0_sel:WORD_1 src1_sel:DWORD
	v_mul_u32_u24_sdwa v59, v49, v25 dst_sel:DWORD dst_unused:UNUSED_PAD src0_sel:WORD_0 src1_sel:DWORD
	v_mul_u32_u24_sdwa v49, v49, v25 dst_sel:DWORD dst_unused:UNUSED_PAD src0_sel:WORD_1 src1_sel:DWORD
	v_mul_u32_u24_sdwa v60, v50, v25 dst_sel:DWORD dst_unused:UNUSED_PAD src0_sel:WORD_0 src1_sel:DWORD
	v_mul_u32_u24_sdwa v50, v50, v25 dst_sel:DWORD dst_unused:UNUSED_PAD src0_sel:WORD_1 src1_sel:DWORD
	v_pk_fma_f16 v26, v10, v58, v26
	v_add_nc_u32_e32 v58, 0xc00, v45
	v_pk_fma_f16 v52, v10, v57, v52
	v_pk_fma_f16 v53, v10, v47, v53
	;; [unrolled: 1-line block ×7, first 2 shown]
	ds_read2_b32 v[9:10], v58 offset1:32
	ds_read_b128 v[47:50], v44 offset:9600
	s_waitcnt lgkmcnt(0)
	v_mul_u32_u24_sdwa v59, v47, v25 dst_sel:DWORD dst_unused:UNUSED_PAD src0_sel:WORD_0 src1_sel:DWORD
	v_mul_u32_u24_sdwa v47, v47, v25 dst_sel:DWORD dst_unused:UNUSED_PAD src0_sel:WORD_1 src1_sel:DWORD
	v_mul_u32_u24_sdwa v60, v48, v25 dst_sel:DWORD dst_unused:UNUSED_PAD src0_sel:WORD_0 src1_sel:DWORD
	v_mul_u32_u24_sdwa v48, v48, v25 dst_sel:DWORD dst_unused:UNUSED_PAD src0_sel:WORD_1 src1_sel:DWORD
	v_mul_u32_u24_sdwa v61, v49, v25 dst_sel:DWORD dst_unused:UNUSED_PAD src0_sel:WORD_0 src1_sel:DWORD
	v_mul_u32_u24_sdwa v49, v49, v25 dst_sel:DWORD dst_unused:UNUSED_PAD src0_sel:WORD_1 src1_sel:DWORD
	v_mul_u32_u24_sdwa v62, v50, v25 dst_sel:DWORD dst_unused:UNUSED_PAD src0_sel:WORD_0 src1_sel:DWORD
	v_mul_u32_u24_sdwa v50, v50, v25 dst_sel:DWORD dst_unused:UNUSED_PAD src0_sel:WORD_1 src1_sel:DWORD
	v_pk_fma_f16 v52, v9, v59, v52
	v_pk_fma_f16 v53, v9, v47, v53
	v_pk_fma_f16 v26, v9, v60, v26
	v_pk_fma_f16 v54, v9, v48, v54
	v_pk_fma_f16 v55, v9, v61, v55
	v_pk_fma_f16 v51, v9, v49, v51
	v_pk_fma_f16 v56, v9, v62, v56
	v_pk_fma_f16 v9, v9, v50, v57
	ds_read_b128 v[47:50], v44 offset:9616
	s_waitcnt lgkmcnt(0)
	v_mul_u32_u24_sdwa v57, v47, v25 dst_sel:DWORD dst_unused:UNUSED_PAD src0_sel:WORD_0 src1_sel:DWORD
	v_mul_u32_u24_sdwa v47, v47, v25 dst_sel:DWORD dst_unused:UNUSED_PAD src0_sel:WORD_1 src1_sel:DWORD
	v_mul_u32_u24_sdwa v59, v48, v25 dst_sel:DWORD dst_unused:UNUSED_PAD src0_sel:WORD_0 src1_sel:DWORD
	v_mul_u32_u24_sdwa v48, v48, v25 dst_sel:DWORD dst_unused:UNUSED_PAD src0_sel:WORD_1 src1_sel:DWORD
	v_mul_u32_u24_sdwa v60, v49, v25 dst_sel:DWORD dst_unused:UNUSED_PAD src0_sel:WORD_0 src1_sel:DWORD
	v_mul_u32_u24_sdwa v49, v49, v25 dst_sel:DWORD dst_unused:UNUSED_PAD src0_sel:WORD_1 src1_sel:DWORD
	v_mul_u32_u24_sdwa v61, v50, v25 dst_sel:DWORD dst_unused:UNUSED_PAD src0_sel:WORD_0 src1_sel:DWORD
	v_mul_u32_u24_sdwa v50, v50, v25 dst_sel:DWORD dst_unused:UNUSED_PAD src0_sel:WORD_1 src1_sel:DWORD
	v_pk_fma_f16 v52, v10, v57, v52
	v_pk_fma_f16 v53, v10, v47, v53
	v_pk_fma_f16 v26, v10, v59, v26
	v_pk_fma_f16 v54, v10, v48, v54
	v_pk_fma_f16 v55, v10, v60, v55
	v_pk_fma_f16 v51, v10, v49, v51
	v_pk_fma_f16 v56, v10, v61, v56
	v_pk_fma_f16 v57, v10, v50, v9
	ds_read2_b32 v[9:10], v58 offset0:64 offset1:96
	ds_read_b128 v[47:50], v44 offset:9632
	s_waitcnt lgkmcnt(0)
	v_mul_u32_u24_sdwa v59, v47, v25 dst_sel:DWORD dst_unused:UNUSED_PAD src0_sel:WORD_0 src1_sel:DWORD
	v_mul_u32_u24_sdwa v47, v47, v25 dst_sel:DWORD dst_unused:UNUSED_PAD src0_sel:WORD_1 src1_sel:DWORD
	v_mul_u32_u24_sdwa v60, v48, v25 dst_sel:DWORD dst_unused:UNUSED_PAD src0_sel:WORD_0 src1_sel:DWORD
	v_mul_u32_u24_sdwa v48, v48, v25 dst_sel:DWORD dst_unused:UNUSED_PAD src0_sel:WORD_1 src1_sel:DWORD
	v_mul_u32_u24_sdwa v61, v49, v25 dst_sel:DWORD dst_unused:UNUSED_PAD src0_sel:WORD_0 src1_sel:DWORD
	v_mul_u32_u24_sdwa v49, v49, v25 dst_sel:DWORD dst_unused:UNUSED_PAD src0_sel:WORD_1 src1_sel:DWORD
	v_mul_u32_u24_sdwa v62, v50, v25 dst_sel:DWORD dst_unused:UNUSED_PAD src0_sel:WORD_0 src1_sel:DWORD
	v_mul_u32_u24_sdwa v50, v50, v25 dst_sel:DWORD dst_unused:UNUSED_PAD src0_sel:WORD_1 src1_sel:DWORD
	v_pk_fma_f16 v52, v9, v59, v52
	v_pk_fma_f16 v53, v9, v47, v53
	v_pk_fma_f16 v26, v9, v60, v26
	v_pk_fma_f16 v54, v9, v48, v54
	v_pk_fma_f16 v55, v9, v61, v55
	v_pk_fma_f16 v51, v9, v49, v51
	v_pk_fma_f16 v56, v9, v62, v56
	v_pk_fma_f16 v9, v9, v50, v57
	ds_read_b128 v[47:50], v44 offset:9648
	s_waitcnt lgkmcnt(0)
	v_mul_u32_u24_sdwa v57, v47, v25 dst_sel:DWORD dst_unused:UNUSED_PAD src0_sel:WORD_0 src1_sel:DWORD
	v_mul_u32_u24_sdwa v47, v47, v25 dst_sel:DWORD dst_unused:UNUSED_PAD src0_sel:WORD_1 src1_sel:DWORD
	v_mul_u32_u24_sdwa v59, v48, v25 dst_sel:DWORD dst_unused:UNUSED_PAD src0_sel:WORD_0 src1_sel:DWORD
	v_mul_u32_u24_sdwa v48, v48, v25 dst_sel:DWORD dst_unused:UNUSED_PAD src0_sel:WORD_1 src1_sel:DWORD
	v_mul_u32_u24_sdwa v60, v49, v25 dst_sel:DWORD dst_unused:UNUSED_PAD src0_sel:WORD_0 src1_sel:DWORD
	v_mul_u32_u24_sdwa v49, v49, v25 dst_sel:DWORD dst_unused:UNUSED_PAD src0_sel:WORD_1 src1_sel:DWORD
	v_mul_u32_u24_sdwa v61, v50, v25 dst_sel:DWORD dst_unused:UNUSED_PAD src0_sel:WORD_0 src1_sel:DWORD
	v_mul_u32_u24_sdwa v50, v50, v25 dst_sel:DWORD dst_unused:UNUSED_PAD src0_sel:WORD_1 src1_sel:DWORD
	v_pk_fma_f16 v52, v10, v57, v52
	v_pk_fma_f16 v53, v10, v47, v53
	v_pk_fma_f16 v26, v10, v59, v26
	v_pk_fma_f16 v54, v10, v48, v54
	v_pk_fma_f16 v55, v10, v60, v55
	v_pk_fma_f16 v51, v10, v49, v51
	v_pk_fma_f16 v56, v10, v61, v56
	v_pk_fma_f16 v57, v10, v50, v9
	ds_read2_b32 v[9:10], v58 offset0:128 offset1:160
	ds_read_b128 v[47:50], v44 offset:9664
	s_waitcnt lgkmcnt(0)
	v_mul_u32_u24_sdwa v59, v47, v25 dst_sel:DWORD dst_unused:UNUSED_PAD src0_sel:WORD_0 src1_sel:DWORD
	v_mul_u32_u24_sdwa v47, v47, v25 dst_sel:DWORD dst_unused:UNUSED_PAD src0_sel:WORD_1 src1_sel:DWORD
	v_mul_u32_u24_sdwa v60, v48, v25 dst_sel:DWORD dst_unused:UNUSED_PAD src0_sel:WORD_0 src1_sel:DWORD
	v_mul_u32_u24_sdwa v48, v48, v25 dst_sel:DWORD dst_unused:UNUSED_PAD src0_sel:WORD_1 src1_sel:DWORD
	v_mul_u32_u24_sdwa v61, v49, v25 dst_sel:DWORD dst_unused:UNUSED_PAD src0_sel:WORD_0 src1_sel:DWORD
	v_mul_u32_u24_sdwa v49, v49, v25 dst_sel:DWORD dst_unused:UNUSED_PAD src0_sel:WORD_1 src1_sel:DWORD
	v_mul_u32_u24_sdwa v62, v50, v25 dst_sel:DWORD dst_unused:UNUSED_PAD src0_sel:WORD_0 src1_sel:DWORD
	v_mul_u32_u24_sdwa v50, v50, v25 dst_sel:DWORD dst_unused:UNUSED_PAD src0_sel:WORD_1 src1_sel:DWORD
	v_pk_fma_f16 v52, v9, v59, v52
	v_pk_fma_f16 v53, v9, v47, v53
	v_pk_fma_f16 v26, v9, v60, v26
	v_pk_fma_f16 v54, v9, v48, v54
	v_pk_fma_f16 v55, v9, v61, v55
	v_pk_fma_f16 v51, v9, v49, v51
	v_pk_fma_f16 v56, v9, v62, v56
	v_pk_fma_f16 v9, v9, v50, v57
	ds_read_b128 v[47:50], v44 offset:9680
	s_waitcnt lgkmcnt(0)
	v_mul_u32_u24_sdwa v57, v47, v25 dst_sel:DWORD dst_unused:UNUSED_PAD src0_sel:WORD_0 src1_sel:DWORD
	v_mul_u32_u24_sdwa v47, v47, v25 dst_sel:DWORD dst_unused:UNUSED_PAD src0_sel:WORD_1 src1_sel:DWORD
	v_mul_u32_u24_sdwa v59, v48, v25 dst_sel:DWORD dst_unused:UNUSED_PAD src0_sel:WORD_0 src1_sel:DWORD
	v_mul_u32_u24_sdwa v48, v48, v25 dst_sel:DWORD dst_unused:UNUSED_PAD src0_sel:WORD_1 src1_sel:DWORD
	v_mul_u32_u24_sdwa v60, v49, v25 dst_sel:DWORD dst_unused:UNUSED_PAD src0_sel:WORD_0 src1_sel:DWORD
	v_mul_u32_u24_sdwa v49, v49, v25 dst_sel:DWORD dst_unused:UNUSED_PAD src0_sel:WORD_1 src1_sel:DWORD
	v_mul_u32_u24_sdwa v61, v50, v25 dst_sel:DWORD dst_unused:UNUSED_PAD src0_sel:WORD_0 src1_sel:DWORD
	v_mul_u32_u24_sdwa v50, v50, v25 dst_sel:DWORD dst_unused:UNUSED_PAD src0_sel:WORD_1 src1_sel:DWORD
	v_pk_fma_f16 v52, v10, v57, v52
	v_pk_fma_f16 v53, v10, v47, v53
	v_pk_fma_f16 v26, v10, v59, v26
	v_pk_fma_f16 v54, v10, v48, v54
	v_pk_fma_f16 v55, v10, v60, v55
	v_pk_fma_f16 v51, v10, v49, v51
	v_pk_fma_f16 v56, v10, v61, v56
	v_pk_fma_f16 v57, v10, v50, v9
	ds_read2_b32 v[9:10], v58 offset0:192 offset1:224
	ds_read_b128 v[47:50], v44 offset:9696
	s_waitcnt lgkmcnt(0)
	v_mul_u32_u24_sdwa v58, v47, v25 dst_sel:DWORD dst_unused:UNUSED_PAD src0_sel:WORD_0 src1_sel:DWORD
	v_mul_u32_u24_sdwa v47, v47, v25 dst_sel:DWORD dst_unused:UNUSED_PAD src0_sel:WORD_1 src1_sel:DWORD
	v_mul_u32_u24_sdwa v59, v48, v25 dst_sel:DWORD dst_unused:UNUSED_PAD src0_sel:WORD_0 src1_sel:DWORD
	v_mul_u32_u24_sdwa v48, v48, v25 dst_sel:DWORD dst_unused:UNUSED_PAD src0_sel:WORD_1 src1_sel:DWORD
	;; [unrolled: 2-line block ×4, first 2 shown]
	v_pk_fma_f16 v52, v9, v58, v52
	v_pk_fma_f16 v53, v9, v47, v53
	v_pk_fma_f16 v26, v9, v59, v26
	v_pk_fma_f16 v54, v9, v48, v54
	v_pk_fma_f16 v55, v9, v60, v55
	v_pk_fma_f16 v51, v9, v49, v51
	v_pk_fma_f16 v56, v9, v61, v56
	v_pk_fma_f16 v9, v9, v50, v57
	ds_read_b128 v[47:50], v44 offset:9712
	s_waitcnt lgkmcnt(0)
	v_mul_u32_u24_sdwa v58, v48, v25 dst_sel:DWORD dst_unused:UNUSED_PAD src0_sel:WORD_0 src1_sel:DWORD
	v_mul_u32_u24_sdwa v57, v47, v25 dst_sel:DWORD dst_unused:UNUSED_PAD src0_sel:WORD_0 src1_sel:DWORD
	v_mul_u32_u24_sdwa v47, v47, v25 dst_sel:DWORD dst_unused:UNUSED_PAD src0_sel:WORD_1 src1_sel:DWORD
	v_mul_u32_u24_sdwa v48, v48, v25 dst_sel:DWORD dst_unused:UNUSED_PAD src0_sel:WORD_1 src1_sel:DWORD
	v_mul_u32_u24_sdwa v59, v49, v25 dst_sel:DWORD dst_unused:UNUSED_PAD src0_sel:WORD_0 src1_sel:DWORD
	v_mul_u32_u24_sdwa v49, v49, v25 dst_sel:DWORD dst_unused:UNUSED_PAD src0_sel:WORD_1 src1_sel:DWORD
	v_mul_u32_u24_sdwa v60, v50, v25 dst_sel:DWORD dst_unused:UNUSED_PAD src0_sel:WORD_0 src1_sel:DWORD
	v_mul_u32_u24_sdwa v50, v50, v25 dst_sel:DWORD dst_unused:UNUSED_PAD src0_sel:WORD_1 src1_sel:DWORD
	v_pk_fma_f16 v26, v10, v58, v26
	v_add_nc_u32_e32 v58, 0x1000, v45
	v_pk_fma_f16 v52, v10, v57, v52
	v_pk_fma_f16 v53, v10, v47, v53
	;; [unrolled: 1-line block ×7, first 2 shown]
	ds_read2_b32 v[9:10], v58 offset1:32
	ds_read_b128 v[47:50], v44 offset:9728
	s_waitcnt lgkmcnt(0)
	v_mul_u32_u24_sdwa v59, v47, v25 dst_sel:DWORD dst_unused:UNUSED_PAD src0_sel:WORD_0 src1_sel:DWORD
	v_mul_u32_u24_sdwa v47, v47, v25 dst_sel:DWORD dst_unused:UNUSED_PAD src0_sel:WORD_1 src1_sel:DWORD
	v_mul_u32_u24_sdwa v60, v48, v25 dst_sel:DWORD dst_unused:UNUSED_PAD src0_sel:WORD_0 src1_sel:DWORD
	v_mul_u32_u24_sdwa v48, v48, v25 dst_sel:DWORD dst_unused:UNUSED_PAD src0_sel:WORD_1 src1_sel:DWORD
	v_mul_u32_u24_sdwa v61, v49, v25 dst_sel:DWORD dst_unused:UNUSED_PAD src0_sel:WORD_0 src1_sel:DWORD
	v_mul_u32_u24_sdwa v49, v49, v25 dst_sel:DWORD dst_unused:UNUSED_PAD src0_sel:WORD_1 src1_sel:DWORD
	v_mul_u32_u24_sdwa v62, v50, v25 dst_sel:DWORD dst_unused:UNUSED_PAD src0_sel:WORD_0 src1_sel:DWORD
	v_mul_u32_u24_sdwa v50, v50, v25 dst_sel:DWORD dst_unused:UNUSED_PAD src0_sel:WORD_1 src1_sel:DWORD
	v_pk_fma_f16 v52, v9, v59, v52
	v_pk_fma_f16 v53, v9, v47, v53
	v_pk_fma_f16 v26, v9, v60, v26
	v_pk_fma_f16 v54, v9, v48, v54
	v_pk_fma_f16 v55, v9, v61, v55
	v_pk_fma_f16 v51, v9, v49, v51
	v_pk_fma_f16 v56, v9, v62, v56
	v_pk_fma_f16 v9, v9, v50, v57
	ds_read_b128 v[47:50], v44 offset:9744
	s_waitcnt lgkmcnt(0)
	v_mul_u32_u24_sdwa v57, v47, v25 dst_sel:DWORD dst_unused:UNUSED_PAD src0_sel:WORD_0 src1_sel:DWORD
	v_mul_u32_u24_sdwa v47, v47, v25 dst_sel:DWORD dst_unused:UNUSED_PAD src0_sel:WORD_1 src1_sel:DWORD
	v_mul_u32_u24_sdwa v59, v48, v25 dst_sel:DWORD dst_unused:UNUSED_PAD src0_sel:WORD_0 src1_sel:DWORD
	v_mul_u32_u24_sdwa v48, v48, v25 dst_sel:DWORD dst_unused:UNUSED_PAD src0_sel:WORD_1 src1_sel:DWORD
	v_mul_u32_u24_sdwa v60, v49, v25 dst_sel:DWORD dst_unused:UNUSED_PAD src0_sel:WORD_0 src1_sel:DWORD
	v_mul_u32_u24_sdwa v49, v49, v25 dst_sel:DWORD dst_unused:UNUSED_PAD src0_sel:WORD_1 src1_sel:DWORD
	v_mul_u32_u24_sdwa v61, v50, v25 dst_sel:DWORD dst_unused:UNUSED_PAD src0_sel:WORD_0 src1_sel:DWORD
	v_mul_u32_u24_sdwa v50, v50, v25 dst_sel:DWORD dst_unused:UNUSED_PAD src0_sel:WORD_1 src1_sel:DWORD
	v_pk_fma_f16 v52, v10, v57, v52
	v_pk_fma_f16 v53, v10, v47, v53
	v_pk_fma_f16 v26, v10, v59, v26
	v_pk_fma_f16 v54, v10, v48, v54
	v_pk_fma_f16 v55, v10, v60, v55
	v_pk_fma_f16 v51, v10, v49, v51
	v_pk_fma_f16 v56, v10, v61, v56
	v_pk_fma_f16 v57, v10, v50, v9
	ds_read2_b32 v[9:10], v58 offset0:64 offset1:96
	ds_read_b128 v[47:50], v44 offset:9760
	s_waitcnt lgkmcnt(0)
	v_mul_u32_u24_sdwa v59, v47, v25 dst_sel:DWORD dst_unused:UNUSED_PAD src0_sel:WORD_0 src1_sel:DWORD
	v_mul_u32_u24_sdwa v47, v47, v25 dst_sel:DWORD dst_unused:UNUSED_PAD src0_sel:WORD_1 src1_sel:DWORD
	v_mul_u32_u24_sdwa v60, v48, v25 dst_sel:DWORD dst_unused:UNUSED_PAD src0_sel:WORD_0 src1_sel:DWORD
	v_mul_u32_u24_sdwa v48, v48, v25 dst_sel:DWORD dst_unused:UNUSED_PAD src0_sel:WORD_1 src1_sel:DWORD
	v_mul_u32_u24_sdwa v61, v49, v25 dst_sel:DWORD dst_unused:UNUSED_PAD src0_sel:WORD_0 src1_sel:DWORD
	v_mul_u32_u24_sdwa v49, v49, v25 dst_sel:DWORD dst_unused:UNUSED_PAD src0_sel:WORD_1 src1_sel:DWORD
	v_mul_u32_u24_sdwa v62, v50, v25 dst_sel:DWORD dst_unused:UNUSED_PAD src0_sel:WORD_0 src1_sel:DWORD
	v_mul_u32_u24_sdwa v50, v50, v25 dst_sel:DWORD dst_unused:UNUSED_PAD src0_sel:WORD_1 src1_sel:DWORD
	v_pk_fma_f16 v52, v9, v59, v52
	v_pk_fma_f16 v53, v9, v47, v53
	v_pk_fma_f16 v26, v9, v60, v26
	v_pk_fma_f16 v54, v9, v48, v54
	v_pk_fma_f16 v55, v9, v61, v55
	v_pk_fma_f16 v51, v9, v49, v51
	v_pk_fma_f16 v56, v9, v62, v56
	v_pk_fma_f16 v9, v9, v50, v57
	ds_read_b128 v[47:50], v44 offset:9776
	s_waitcnt lgkmcnt(0)
	v_mul_u32_u24_sdwa v57, v47, v25 dst_sel:DWORD dst_unused:UNUSED_PAD src0_sel:WORD_0 src1_sel:DWORD
	v_mul_u32_u24_sdwa v47, v47, v25 dst_sel:DWORD dst_unused:UNUSED_PAD src0_sel:WORD_1 src1_sel:DWORD
	v_mul_u32_u24_sdwa v59, v48, v25 dst_sel:DWORD dst_unused:UNUSED_PAD src0_sel:WORD_0 src1_sel:DWORD
	v_mul_u32_u24_sdwa v48, v48, v25 dst_sel:DWORD dst_unused:UNUSED_PAD src0_sel:WORD_1 src1_sel:DWORD
	v_mul_u32_u24_sdwa v60, v49, v25 dst_sel:DWORD dst_unused:UNUSED_PAD src0_sel:WORD_0 src1_sel:DWORD
	v_mul_u32_u24_sdwa v49, v49, v25 dst_sel:DWORD dst_unused:UNUSED_PAD src0_sel:WORD_1 src1_sel:DWORD
	v_mul_u32_u24_sdwa v61, v50, v25 dst_sel:DWORD dst_unused:UNUSED_PAD src0_sel:WORD_0 src1_sel:DWORD
	v_mul_u32_u24_sdwa v50, v50, v25 dst_sel:DWORD dst_unused:UNUSED_PAD src0_sel:WORD_1 src1_sel:DWORD
	v_pk_fma_f16 v52, v10, v57, v52
	v_pk_fma_f16 v53, v10, v47, v53
	v_pk_fma_f16 v26, v10, v59, v26
	v_pk_fma_f16 v54, v10, v48, v54
	v_pk_fma_f16 v55, v10, v60, v55
	v_pk_fma_f16 v51, v10, v49, v51
	v_pk_fma_f16 v56, v10, v61, v56
	v_pk_fma_f16 v57, v10, v50, v9
	ds_read2_b32 v[9:10], v58 offset0:128 offset1:160
	;; [unrolled: 37-line block ×3, first 2 shown]
	ds_read_b128 v[47:50], v44 offset:9824
	s_waitcnt lgkmcnt(0)
	v_mul_u32_u24_sdwa v58, v47, v25 dst_sel:DWORD dst_unused:UNUSED_PAD src0_sel:WORD_0 src1_sel:DWORD
	v_mul_u32_u24_sdwa v47, v47, v25 dst_sel:DWORD dst_unused:UNUSED_PAD src0_sel:WORD_1 src1_sel:DWORD
	v_mul_u32_u24_sdwa v59, v48, v25 dst_sel:DWORD dst_unused:UNUSED_PAD src0_sel:WORD_0 src1_sel:DWORD
	v_mul_u32_u24_sdwa v48, v48, v25 dst_sel:DWORD dst_unused:UNUSED_PAD src0_sel:WORD_1 src1_sel:DWORD
	;; [unrolled: 2-line block ×4, first 2 shown]
	v_pk_fma_f16 v52, v9, v58, v52
	v_pk_fma_f16 v53, v9, v47, v53
	;; [unrolled: 1-line block ×8, first 2 shown]
	ds_read_b128 v[47:50], v44 offset:9840
	s_waitcnt lgkmcnt(0)
	v_mul_u32_u24_sdwa v58, v48, v25 dst_sel:DWORD dst_unused:UNUSED_PAD src0_sel:WORD_0 src1_sel:DWORD
	v_mul_u32_u24_sdwa v57, v47, v25 dst_sel:DWORD dst_unused:UNUSED_PAD src0_sel:WORD_0 src1_sel:DWORD
	v_mul_u32_u24_sdwa v47, v47, v25 dst_sel:DWORD dst_unused:UNUSED_PAD src0_sel:WORD_1 src1_sel:DWORD
	v_mul_u32_u24_sdwa v48, v48, v25 dst_sel:DWORD dst_unused:UNUSED_PAD src0_sel:WORD_1 src1_sel:DWORD
	v_mul_u32_u24_sdwa v59, v49, v25 dst_sel:DWORD dst_unused:UNUSED_PAD src0_sel:WORD_0 src1_sel:DWORD
	v_mul_u32_u24_sdwa v49, v49, v25 dst_sel:DWORD dst_unused:UNUSED_PAD src0_sel:WORD_1 src1_sel:DWORD
	v_mul_u32_u24_sdwa v60, v50, v25 dst_sel:DWORD dst_unused:UNUSED_PAD src0_sel:WORD_0 src1_sel:DWORD
	v_mul_u32_u24_sdwa v50, v50, v25 dst_sel:DWORD dst_unused:UNUSED_PAD src0_sel:WORD_1 src1_sel:DWORD
	v_pk_fma_f16 v26, v10, v58, v26
	v_add_nc_u32_e32 v58, 0x1400, v45
	v_pk_fma_f16 v52, v10, v57, v52
	v_pk_fma_f16 v53, v10, v47, v53
	;; [unrolled: 1-line block ×7, first 2 shown]
	ds_read2_b32 v[9:10], v58 offset1:32
	ds_read_b128 v[47:50], v44 offset:9856
	s_waitcnt lgkmcnt(0)
	v_mul_u32_u24_sdwa v59, v47, v25 dst_sel:DWORD dst_unused:UNUSED_PAD src0_sel:WORD_0 src1_sel:DWORD
	v_mul_u32_u24_sdwa v47, v47, v25 dst_sel:DWORD dst_unused:UNUSED_PAD src0_sel:WORD_1 src1_sel:DWORD
	v_mul_u32_u24_sdwa v60, v48, v25 dst_sel:DWORD dst_unused:UNUSED_PAD src0_sel:WORD_0 src1_sel:DWORD
	v_mul_u32_u24_sdwa v48, v48, v25 dst_sel:DWORD dst_unused:UNUSED_PAD src0_sel:WORD_1 src1_sel:DWORD
	v_mul_u32_u24_sdwa v61, v49, v25 dst_sel:DWORD dst_unused:UNUSED_PAD src0_sel:WORD_0 src1_sel:DWORD
	v_mul_u32_u24_sdwa v49, v49, v25 dst_sel:DWORD dst_unused:UNUSED_PAD src0_sel:WORD_1 src1_sel:DWORD
	v_mul_u32_u24_sdwa v62, v50, v25 dst_sel:DWORD dst_unused:UNUSED_PAD src0_sel:WORD_0 src1_sel:DWORD
	v_mul_u32_u24_sdwa v50, v50, v25 dst_sel:DWORD dst_unused:UNUSED_PAD src0_sel:WORD_1 src1_sel:DWORD
	v_pk_fma_f16 v52, v9, v59, v52
	v_pk_fma_f16 v53, v9, v47, v53
	v_pk_fma_f16 v26, v9, v60, v26
	v_pk_fma_f16 v54, v9, v48, v54
	v_pk_fma_f16 v55, v9, v61, v55
	v_pk_fma_f16 v51, v9, v49, v51
	v_pk_fma_f16 v56, v9, v62, v56
	v_pk_fma_f16 v9, v9, v50, v57
	ds_read_b128 v[47:50], v44 offset:9872
	s_waitcnt lgkmcnt(0)
	v_mul_u32_u24_sdwa v57, v47, v25 dst_sel:DWORD dst_unused:UNUSED_PAD src0_sel:WORD_0 src1_sel:DWORD
	v_mul_u32_u24_sdwa v47, v47, v25 dst_sel:DWORD dst_unused:UNUSED_PAD src0_sel:WORD_1 src1_sel:DWORD
	v_mul_u32_u24_sdwa v59, v48, v25 dst_sel:DWORD dst_unused:UNUSED_PAD src0_sel:WORD_0 src1_sel:DWORD
	v_mul_u32_u24_sdwa v48, v48, v25 dst_sel:DWORD dst_unused:UNUSED_PAD src0_sel:WORD_1 src1_sel:DWORD
	v_mul_u32_u24_sdwa v60, v49, v25 dst_sel:DWORD dst_unused:UNUSED_PAD src0_sel:WORD_0 src1_sel:DWORD
	v_mul_u32_u24_sdwa v49, v49, v25 dst_sel:DWORD dst_unused:UNUSED_PAD src0_sel:WORD_1 src1_sel:DWORD
	v_mul_u32_u24_sdwa v61, v50, v25 dst_sel:DWORD dst_unused:UNUSED_PAD src0_sel:WORD_0 src1_sel:DWORD
	v_mul_u32_u24_sdwa v50, v50, v25 dst_sel:DWORD dst_unused:UNUSED_PAD src0_sel:WORD_1 src1_sel:DWORD
	v_pk_fma_f16 v52, v10, v57, v52
	v_pk_fma_f16 v53, v10, v47, v53
	v_pk_fma_f16 v26, v10, v59, v26
	v_pk_fma_f16 v54, v10, v48, v54
	v_pk_fma_f16 v55, v10, v60, v55
	v_pk_fma_f16 v51, v10, v49, v51
	v_pk_fma_f16 v56, v10, v61, v56
	v_pk_fma_f16 v57, v10, v50, v9
	ds_read2_b32 v[9:10], v58 offset0:64 offset1:96
	ds_read_b128 v[47:50], v44 offset:9888
	s_waitcnt lgkmcnt(0)
	v_mul_u32_u24_sdwa v59, v47, v25 dst_sel:DWORD dst_unused:UNUSED_PAD src0_sel:WORD_0 src1_sel:DWORD
	v_mul_u32_u24_sdwa v47, v47, v25 dst_sel:DWORD dst_unused:UNUSED_PAD src0_sel:WORD_1 src1_sel:DWORD
	v_mul_u32_u24_sdwa v60, v48, v25 dst_sel:DWORD dst_unused:UNUSED_PAD src0_sel:WORD_0 src1_sel:DWORD
	v_mul_u32_u24_sdwa v48, v48, v25 dst_sel:DWORD dst_unused:UNUSED_PAD src0_sel:WORD_1 src1_sel:DWORD
	v_mul_u32_u24_sdwa v61, v49, v25 dst_sel:DWORD dst_unused:UNUSED_PAD src0_sel:WORD_0 src1_sel:DWORD
	v_mul_u32_u24_sdwa v49, v49, v25 dst_sel:DWORD dst_unused:UNUSED_PAD src0_sel:WORD_1 src1_sel:DWORD
	v_mul_u32_u24_sdwa v62, v50, v25 dst_sel:DWORD dst_unused:UNUSED_PAD src0_sel:WORD_0 src1_sel:DWORD
	v_mul_u32_u24_sdwa v50, v50, v25 dst_sel:DWORD dst_unused:UNUSED_PAD src0_sel:WORD_1 src1_sel:DWORD
	v_pk_fma_f16 v52, v9, v59, v52
	v_pk_fma_f16 v53, v9, v47, v53
	v_pk_fma_f16 v26, v9, v60, v26
	v_pk_fma_f16 v54, v9, v48, v54
	v_pk_fma_f16 v55, v9, v61, v55
	v_pk_fma_f16 v51, v9, v49, v51
	v_pk_fma_f16 v56, v9, v62, v56
	v_pk_fma_f16 v9, v9, v50, v57
	ds_read_b128 v[47:50], v44 offset:9904
	s_waitcnt lgkmcnt(0)
	v_mul_u32_u24_sdwa v57, v47, v25 dst_sel:DWORD dst_unused:UNUSED_PAD src0_sel:WORD_0 src1_sel:DWORD
	v_mul_u32_u24_sdwa v47, v47, v25 dst_sel:DWORD dst_unused:UNUSED_PAD src0_sel:WORD_1 src1_sel:DWORD
	v_mul_u32_u24_sdwa v59, v48, v25 dst_sel:DWORD dst_unused:UNUSED_PAD src0_sel:WORD_0 src1_sel:DWORD
	v_mul_u32_u24_sdwa v48, v48, v25 dst_sel:DWORD dst_unused:UNUSED_PAD src0_sel:WORD_1 src1_sel:DWORD
	v_mul_u32_u24_sdwa v60, v49, v25 dst_sel:DWORD dst_unused:UNUSED_PAD src0_sel:WORD_0 src1_sel:DWORD
	v_mul_u32_u24_sdwa v49, v49, v25 dst_sel:DWORD dst_unused:UNUSED_PAD src0_sel:WORD_1 src1_sel:DWORD
	v_mul_u32_u24_sdwa v61, v50, v25 dst_sel:DWORD dst_unused:UNUSED_PAD src0_sel:WORD_0 src1_sel:DWORD
	v_mul_u32_u24_sdwa v50, v50, v25 dst_sel:DWORD dst_unused:UNUSED_PAD src0_sel:WORD_1 src1_sel:DWORD
	v_pk_fma_f16 v52, v10, v57, v52
	v_pk_fma_f16 v53, v10, v47, v53
	v_pk_fma_f16 v26, v10, v59, v26
	v_pk_fma_f16 v54, v10, v48, v54
	v_pk_fma_f16 v55, v10, v60, v55
	v_pk_fma_f16 v51, v10, v49, v51
	v_pk_fma_f16 v56, v10, v61, v56
	v_pk_fma_f16 v57, v10, v50, v9
	ds_read2_b32 v[9:10], v58 offset0:128 offset1:160
	;; [unrolled: 37-line block ×3, first 2 shown]
	ds_read_b128 v[47:50], v44 offset:9952
	s_waitcnt lgkmcnt(0)
	v_mul_u32_u24_sdwa v58, v47, v25 dst_sel:DWORD dst_unused:UNUSED_PAD src0_sel:WORD_0 src1_sel:DWORD
	v_mul_u32_u24_sdwa v47, v47, v25 dst_sel:DWORD dst_unused:UNUSED_PAD src0_sel:WORD_1 src1_sel:DWORD
	v_mul_u32_u24_sdwa v59, v48, v25 dst_sel:DWORD dst_unused:UNUSED_PAD src0_sel:WORD_0 src1_sel:DWORD
	v_mul_u32_u24_sdwa v48, v48, v25 dst_sel:DWORD dst_unused:UNUSED_PAD src0_sel:WORD_1 src1_sel:DWORD
	;; [unrolled: 2-line block ×4, first 2 shown]
	v_pk_fma_f16 v52, v9, v58, v52
	v_pk_fma_f16 v53, v9, v47, v53
	;; [unrolled: 1-line block ×8, first 2 shown]
	ds_read_b128 v[47:50], v44 offset:9968
	s_waitcnt lgkmcnt(0)
	v_mul_u32_u24_sdwa v58, v48, v25 dst_sel:DWORD dst_unused:UNUSED_PAD src0_sel:WORD_0 src1_sel:DWORD
	v_mul_u32_u24_sdwa v57, v47, v25 dst_sel:DWORD dst_unused:UNUSED_PAD src0_sel:WORD_0 src1_sel:DWORD
	v_mul_u32_u24_sdwa v47, v47, v25 dst_sel:DWORD dst_unused:UNUSED_PAD src0_sel:WORD_1 src1_sel:DWORD
	v_mul_u32_u24_sdwa v48, v48, v25 dst_sel:DWORD dst_unused:UNUSED_PAD src0_sel:WORD_1 src1_sel:DWORD
	v_mul_u32_u24_sdwa v59, v49, v25 dst_sel:DWORD dst_unused:UNUSED_PAD src0_sel:WORD_0 src1_sel:DWORD
	v_mul_u32_u24_sdwa v49, v49, v25 dst_sel:DWORD dst_unused:UNUSED_PAD src0_sel:WORD_1 src1_sel:DWORD
	v_mul_u32_u24_sdwa v60, v50, v25 dst_sel:DWORD dst_unused:UNUSED_PAD src0_sel:WORD_0 src1_sel:DWORD
	v_mul_u32_u24_sdwa v50, v50, v25 dst_sel:DWORD dst_unused:UNUSED_PAD src0_sel:WORD_1 src1_sel:DWORD
	v_pk_fma_f16 v26, v10, v58, v26
	v_add_nc_u32_e32 v58, 0x1800, v45
	v_pk_fma_f16 v52, v10, v57, v52
	v_pk_fma_f16 v53, v10, v47, v53
	;; [unrolled: 1-line block ×7, first 2 shown]
	ds_read2_b32 v[9:10], v58 offset1:32
	ds_read_b128 v[47:50], v44 offset:9984
	v_add_nc_u32_e32 v45, 0x1c00, v45
	s_waitcnt lgkmcnt(0)
	v_mul_u32_u24_sdwa v59, v47, v25 dst_sel:DWORD dst_unused:UNUSED_PAD src0_sel:WORD_0 src1_sel:DWORD
	v_mul_u32_u24_sdwa v47, v47, v25 dst_sel:DWORD dst_unused:UNUSED_PAD src0_sel:WORD_1 src1_sel:DWORD
	v_mul_u32_u24_sdwa v60, v48, v25 dst_sel:DWORD dst_unused:UNUSED_PAD src0_sel:WORD_0 src1_sel:DWORD
	v_mul_u32_u24_sdwa v48, v48, v25 dst_sel:DWORD dst_unused:UNUSED_PAD src0_sel:WORD_1 src1_sel:DWORD
	v_mul_u32_u24_sdwa v61, v49, v25 dst_sel:DWORD dst_unused:UNUSED_PAD src0_sel:WORD_0 src1_sel:DWORD
	v_mul_u32_u24_sdwa v49, v49, v25 dst_sel:DWORD dst_unused:UNUSED_PAD src0_sel:WORD_1 src1_sel:DWORD
	v_mul_u32_u24_sdwa v62, v50, v25 dst_sel:DWORD dst_unused:UNUSED_PAD src0_sel:WORD_0 src1_sel:DWORD
	v_mul_u32_u24_sdwa v50, v50, v25 dst_sel:DWORD dst_unused:UNUSED_PAD src0_sel:WORD_1 src1_sel:DWORD
	v_pk_fma_f16 v52, v9, v59, v52
	v_pk_fma_f16 v53, v9, v47, v53
	v_pk_fma_f16 v26, v9, v60, v26
	v_pk_fma_f16 v54, v9, v48, v54
	v_pk_fma_f16 v55, v9, v61, v55
	v_pk_fma_f16 v51, v9, v49, v51
	v_pk_fma_f16 v56, v9, v62, v56
	v_pk_fma_f16 v9, v9, v50, v57
	ds_read_b128 v[47:50], v44 offset:10000
	s_waitcnt lgkmcnt(0)
	v_mul_u32_u24_sdwa v57, v47, v25 dst_sel:DWORD dst_unused:UNUSED_PAD src0_sel:WORD_0 src1_sel:DWORD
	v_mul_u32_u24_sdwa v47, v47, v25 dst_sel:DWORD dst_unused:UNUSED_PAD src0_sel:WORD_1 src1_sel:DWORD
	v_mul_u32_u24_sdwa v59, v48, v25 dst_sel:DWORD dst_unused:UNUSED_PAD src0_sel:WORD_0 src1_sel:DWORD
	v_mul_u32_u24_sdwa v48, v48, v25 dst_sel:DWORD dst_unused:UNUSED_PAD src0_sel:WORD_1 src1_sel:DWORD
	v_mul_u32_u24_sdwa v60, v49, v25 dst_sel:DWORD dst_unused:UNUSED_PAD src0_sel:WORD_0 src1_sel:DWORD
	v_mul_u32_u24_sdwa v49, v49, v25 dst_sel:DWORD dst_unused:UNUSED_PAD src0_sel:WORD_1 src1_sel:DWORD
	v_mul_u32_u24_sdwa v61, v50, v25 dst_sel:DWORD dst_unused:UNUSED_PAD src0_sel:WORD_0 src1_sel:DWORD
	v_mul_u32_u24_sdwa v50, v50, v25 dst_sel:DWORD dst_unused:UNUSED_PAD src0_sel:WORD_1 src1_sel:DWORD
	v_pk_fma_f16 v52, v10, v57, v52
	v_pk_fma_f16 v53, v10, v47, v53
	v_pk_fma_f16 v26, v10, v59, v26
	v_pk_fma_f16 v54, v10, v48, v54
	v_pk_fma_f16 v55, v10, v60, v55
	v_pk_fma_f16 v51, v10, v49, v51
	v_pk_fma_f16 v56, v10, v61, v56
	v_pk_fma_f16 v57, v10, v50, v9
	ds_read2_b32 v[9:10], v58 offset0:64 offset1:96
	ds_read_b128 v[47:50], v44 offset:10016
	s_waitcnt lgkmcnt(0)
	v_mul_u32_u24_sdwa v59, v47, v25 dst_sel:DWORD dst_unused:UNUSED_PAD src0_sel:WORD_0 src1_sel:DWORD
	v_mul_u32_u24_sdwa v47, v47, v25 dst_sel:DWORD dst_unused:UNUSED_PAD src0_sel:WORD_1 src1_sel:DWORD
	v_mul_u32_u24_sdwa v60, v48, v25 dst_sel:DWORD dst_unused:UNUSED_PAD src0_sel:WORD_0 src1_sel:DWORD
	v_mul_u32_u24_sdwa v48, v48, v25 dst_sel:DWORD dst_unused:UNUSED_PAD src0_sel:WORD_1 src1_sel:DWORD
	v_mul_u32_u24_sdwa v61, v49, v25 dst_sel:DWORD dst_unused:UNUSED_PAD src0_sel:WORD_0 src1_sel:DWORD
	v_mul_u32_u24_sdwa v49, v49, v25 dst_sel:DWORD dst_unused:UNUSED_PAD src0_sel:WORD_1 src1_sel:DWORD
	v_mul_u32_u24_sdwa v62, v50, v25 dst_sel:DWORD dst_unused:UNUSED_PAD src0_sel:WORD_0 src1_sel:DWORD
	v_mul_u32_u24_sdwa v50, v50, v25 dst_sel:DWORD dst_unused:UNUSED_PAD src0_sel:WORD_1 src1_sel:DWORD
	v_pk_fma_f16 v52, v9, v59, v52
	v_pk_fma_f16 v53, v9, v47, v53
	v_pk_fma_f16 v26, v9, v60, v26
	v_pk_fma_f16 v54, v9, v48, v54
	v_pk_fma_f16 v55, v9, v61, v55
	v_pk_fma_f16 v51, v9, v49, v51
	v_pk_fma_f16 v56, v9, v62, v56
	v_pk_fma_f16 v9, v9, v50, v57
	ds_read_b128 v[47:50], v44 offset:10032
	s_waitcnt lgkmcnt(0)
	v_mul_u32_u24_sdwa v57, v47, v25 dst_sel:DWORD dst_unused:UNUSED_PAD src0_sel:WORD_0 src1_sel:DWORD
	v_mul_u32_u24_sdwa v47, v47, v25 dst_sel:DWORD dst_unused:UNUSED_PAD src0_sel:WORD_1 src1_sel:DWORD
	v_mul_u32_u24_sdwa v59, v48, v25 dst_sel:DWORD dst_unused:UNUSED_PAD src0_sel:WORD_0 src1_sel:DWORD
	v_mul_u32_u24_sdwa v48, v48, v25 dst_sel:DWORD dst_unused:UNUSED_PAD src0_sel:WORD_1 src1_sel:DWORD
	v_mul_u32_u24_sdwa v60, v49, v25 dst_sel:DWORD dst_unused:UNUSED_PAD src0_sel:WORD_0 src1_sel:DWORD
	v_mul_u32_u24_sdwa v49, v49, v25 dst_sel:DWORD dst_unused:UNUSED_PAD src0_sel:WORD_1 src1_sel:DWORD
	v_mul_u32_u24_sdwa v61, v50, v25 dst_sel:DWORD dst_unused:UNUSED_PAD src0_sel:WORD_0 src1_sel:DWORD
	v_mul_u32_u24_sdwa v50, v50, v25 dst_sel:DWORD dst_unused:UNUSED_PAD src0_sel:WORD_1 src1_sel:DWORD
	v_pk_fma_f16 v52, v10, v57, v52
	v_pk_fma_f16 v53, v10, v47, v53
	v_pk_fma_f16 v26, v10, v59, v26
	v_pk_fma_f16 v54, v10, v48, v54
	v_pk_fma_f16 v55, v10, v60, v55
	v_pk_fma_f16 v51, v10, v49, v51
	v_pk_fma_f16 v56, v10, v61, v56
	v_pk_fma_f16 v57, v10, v50, v9
	ds_read2_b32 v[9:10], v58 offset0:128 offset1:160
	ds_read_b128 v[47:50], v44 offset:10048
	;; [unrolled: 37-line block ×3, first 2 shown]
	s_waitcnt lgkmcnt(0)
	v_mul_u32_u24_sdwa v58, v47, v25 dst_sel:DWORD dst_unused:UNUSED_PAD src0_sel:WORD_0 src1_sel:DWORD
	v_mul_u32_u24_sdwa v47, v47, v25 dst_sel:DWORD dst_unused:UNUSED_PAD src0_sel:WORD_1 src1_sel:DWORD
	v_mul_u32_u24_sdwa v59, v48, v25 dst_sel:DWORD dst_unused:UNUSED_PAD src0_sel:WORD_0 src1_sel:DWORD
	v_mul_u32_u24_sdwa v48, v48, v25 dst_sel:DWORD dst_unused:UNUSED_PAD src0_sel:WORD_1 src1_sel:DWORD
	v_mul_u32_u24_sdwa v60, v49, v25 dst_sel:DWORD dst_unused:UNUSED_PAD src0_sel:WORD_0 src1_sel:DWORD
	v_mul_u32_u24_sdwa v49, v49, v25 dst_sel:DWORD dst_unused:UNUSED_PAD src0_sel:WORD_1 src1_sel:DWORD
	v_mul_u32_u24_sdwa v61, v50, v25 dst_sel:DWORD dst_unused:UNUSED_PAD src0_sel:WORD_0 src1_sel:DWORD
	v_mul_u32_u24_sdwa v50, v50, v25 dst_sel:DWORD dst_unused:UNUSED_PAD src0_sel:WORD_1 src1_sel:DWORD
	v_pk_fma_f16 v52, v9, v58, v52
	v_pk_fma_f16 v53, v9, v47, v53
	;; [unrolled: 1-line block ×8, first 2 shown]
	ds_read_b128 v[47:50], v44 offset:10096
	s_waitcnt lgkmcnt(0)
	v_mul_u32_u24_sdwa v57, v47, v25 dst_sel:DWORD dst_unused:UNUSED_PAD src0_sel:WORD_0 src1_sel:DWORD
	v_mul_u32_u24_sdwa v47, v47, v25 dst_sel:DWORD dst_unused:UNUSED_PAD src0_sel:WORD_1 src1_sel:DWORD
	v_mul_u32_u24_sdwa v58, v48, v25 dst_sel:DWORD dst_unused:UNUSED_PAD src0_sel:WORD_0 src1_sel:DWORD
	v_mul_u32_u24_sdwa v48, v48, v25 dst_sel:DWORD dst_unused:UNUSED_PAD src0_sel:WORD_1 src1_sel:DWORD
	;; [unrolled: 2-line block ×4, first 2 shown]
	v_pk_fma_f16 v52, v10, v57, v52
	v_pk_fma_f16 v53, v10, v47, v53
	;; [unrolled: 1-line block ×8, first 2 shown]
	ds_read2_b32 v[9:10], v45 offset1:32
	ds_read_b128 v[47:50], v44 offset:10112
	s_waitcnt lgkmcnt(0)
	v_mul_u32_u24_sdwa v58, v47, v25 dst_sel:DWORD dst_unused:UNUSED_PAD src0_sel:WORD_0 src1_sel:DWORD
	v_mul_u32_u24_sdwa v47, v47, v25 dst_sel:DWORD dst_unused:UNUSED_PAD src0_sel:WORD_1 src1_sel:DWORD
	v_mul_u32_u24_sdwa v59, v48, v25 dst_sel:DWORD dst_unused:UNUSED_PAD src0_sel:WORD_0 src1_sel:DWORD
	v_mul_u32_u24_sdwa v48, v48, v25 dst_sel:DWORD dst_unused:UNUSED_PAD src0_sel:WORD_1 src1_sel:DWORD
	v_mul_u32_u24_sdwa v60, v49, v25 dst_sel:DWORD dst_unused:UNUSED_PAD src0_sel:WORD_0 src1_sel:DWORD
	v_mul_u32_u24_sdwa v49, v49, v25 dst_sel:DWORD dst_unused:UNUSED_PAD src0_sel:WORD_1 src1_sel:DWORD
	v_mul_u32_u24_sdwa v61, v50, v25 dst_sel:DWORD dst_unused:UNUSED_PAD src0_sel:WORD_0 src1_sel:DWORD
	v_mul_u32_u24_sdwa v50, v50, v25 dst_sel:DWORD dst_unused:UNUSED_PAD src0_sel:WORD_1 src1_sel:DWORD
	v_pk_fma_f16 v52, v9, v58, v52
	v_pk_fma_f16 v53, v9, v47, v53
	v_pk_fma_f16 v26, v9, v59, v26
	v_pk_fma_f16 v54, v9, v48, v54
	v_pk_fma_f16 v55, v9, v60, v55
	v_pk_fma_f16 v51, v9, v49, v51
	v_pk_fma_f16 v56, v9, v61, v56
	v_pk_fma_f16 v9, v9, v50, v57
	ds_read_b128 v[47:50], v44 offset:10128
	s_waitcnt lgkmcnt(0)
	v_mul_u32_u24_sdwa v57, v47, v25 dst_sel:DWORD dst_unused:UNUSED_PAD src0_sel:WORD_0 src1_sel:DWORD
	v_mul_u32_u24_sdwa v47, v47, v25 dst_sel:DWORD dst_unused:UNUSED_PAD src0_sel:WORD_1 src1_sel:DWORD
	v_mul_u32_u24_sdwa v58, v48, v25 dst_sel:DWORD dst_unused:UNUSED_PAD src0_sel:WORD_0 src1_sel:DWORD
	v_mul_u32_u24_sdwa v48, v48, v25 dst_sel:DWORD dst_unused:UNUSED_PAD src0_sel:WORD_1 src1_sel:DWORD
	v_mul_u32_u24_sdwa v59, v49, v25 dst_sel:DWORD dst_unused:UNUSED_PAD src0_sel:WORD_0 src1_sel:DWORD
	v_mul_u32_u24_sdwa v49, v49, v25 dst_sel:DWORD dst_unused:UNUSED_PAD src0_sel:WORD_1 src1_sel:DWORD
	v_mul_u32_u24_sdwa v60, v50, v25 dst_sel:DWORD dst_unused:UNUSED_PAD src0_sel:WORD_0 src1_sel:DWORD
	v_mul_u32_u24_sdwa v50, v50, v25 dst_sel:DWORD dst_unused:UNUSED_PAD src0_sel:WORD_1 src1_sel:DWORD
	v_pk_fma_f16 v52, v10, v57, v52
	v_pk_fma_f16 v53, v10, v47, v53
	v_pk_fma_f16 v26, v10, v58, v26
	v_pk_fma_f16 v54, v10, v48, v54
	v_pk_fma_f16 v55, v10, v59, v55
	v_pk_fma_f16 v51, v10, v49, v51
	v_pk_fma_f16 v56, v10, v60, v56
	v_pk_fma_f16 v57, v10, v50, v9
	ds_read2_b32 v[9:10], v45 offset0:64 offset1:96
	ds_read_b128 v[47:50], v44 offset:10144
	s_waitcnt lgkmcnt(0)
	v_mul_u32_u24_sdwa v58, v47, v25 dst_sel:DWORD dst_unused:UNUSED_PAD src0_sel:WORD_0 src1_sel:DWORD
	v_mul_u32_u24_sdwa v47, v47, v25 dst_sel:DWORD dst_unused:UNUSED_PAD src0_sel:WORD_1 src1_sel:DWORD
	v_mul_u32_u24_sdwa v59, v48, v25 dst_sel:DWORD dst_unused:UNUSED_PAD src0_sel:WORD_0 src1_sel:DWORD
	v_mul_u32_u24_sdwa v48, v48, v25 dst_sel:DWORD dst_unused:UNUSED_PAD src0_sel:WORD_1 src1_sel:DWORD
	v_mul_u32_u24_sdwa v60, v49, v25 dst_sel:DWORD dst_unused:UNUSED_PAD src0_sel:WORD_0 src1_sel:DWORD
	v_mul_u32_u24_sdwa v49, v49, v25 dst_sel:DWORD dst_unused:UNUSED_PAD src0_sel:WORD_1 src1_sel:DWORD
	v_mul_u32_u24_sdwa v61, v50, v25 dst_sel:DWORD dst_unused:UNUSED_PAD src0_sel:WORD_0 src1_sel:DWORD
	v_mul_u32_u24_sdwa v50, v50, v25 dst_sel:DWORD dst_unused:UNUSED_PAD src0_sel:WORD_1 src1_sel:DWORD
	v_pk_fma_f16 v52, v9, v58, v52
	v_pk_fma_f16 v53, v9, v47, v53
	v_pk_fma_f16 v26, v9, v59, v26
	v_pk_fma_f16 v54, v9, v48, v54
	v_pk_fma_f16 v55, v9, v60, v55
	v_pk_fma_f16 v51, v9, v49, v51
	v_pk_fma_f16 v56, v9, v61, v56
	v_pk_fma_f16 v9, v9, v50, v57
	ds_read_b128 v[47:50], v44 offset:10160
	s_waitcnt lgkmcnt(0)
	v_mul_u32_u24_sdwa v57, v47, v25 dst_sel:DWORD dst_unused:UNUSED_PAD src0_sel:WORD_0 src1_sel:DWORD
	v_mul_u32_u24_sdwa v47, v47, v25 dst_sel:DWORD dst_unused:UNUSED_PAD src0_sel:WORD_1 src1_sel:DWORD
	v_mul_u32_u24_sdwa v58, v48, v25 dst_sel:DWORD dst_unused:UNUSED_PAD src0_sel:WORD_0 src1_sel:DWORD
	v_mul_u32_u24_sdwa v48, v48, v25 dst_sel:DWORD dst_unused:UNUSED_PAD src0_sel:WORD_1 src1_sel:DWORD
	v_mul_u32_u24_sdwa v59, v49, v25 dst_sel:DWORD dst_unused:UNUSED_PAD src0_sel:WORD_0 src1_sel:DWORD
	v_mul_u32_u24_sdwa v49, v49, v25 dst_sel:DWORD dst_unused:UNUSED_PAD src0_sel:WORD_1 src1_sel:DWORD
	v_mul_u32_u24_sdwa v60, v50, v25 dst_sel:DWORD dst_unused:UNUSED_PAD src0_sel:WORD_0 src1_sel:DWORD
	v_mul_u32_u24_sdwa v50, v50, v25 dst_sel:DWORD dst_unused:UNUSED_PAD src0_sel:WORD_1 src1_sel:DWORD
	v_pk_fma_f16 v52, v10, v57, v52
	v_pk_fma_f16 v53, v10, v47, v53
	v_pk_fma_f16 v26, v10, v58, v26
	v_pk_fma_f16 v54, v10, v48, v54
	v_pk_fma_f16 v55, v10, v59, v55
	v_pk_fma_f16 v51, v10, v49, v51
	v_pk_fma_f16 v56, v10, v60, v56
	v_pk_fma_f16 v57, v10, v50, v9
	ds_read2_b32 v[9:10], v45 offset0:128 offset1:160
	;; [unrolled: 37-line block ×3, first 2 shown]
	ds_read_b128 v[47:50], v44 offset:10208
	s_waitcnt lgkmcnt(0)
	v_mul_u32_u24_sdwa v26, v47, v25 dst_sel:DWORD dst_unused:UNUSED_PAD src0_sel:WORD_0 src1_sel:DWORD
	v_mul_u32_u24_sdwa v45, v47, v25 dst_sel:DWORD dst_unused:UNUSED_PAD src0_sel:WORD_1 src1_sel:DWORD
	v_mul_u32_u24_sdwa v47, v48, v25 dst_sel:DWORD dst_unused:UNUSED_PAD src0_sel:WORD_0 src1_sel:DWORD
	v_mul_u32_u24_sdwa v48, v48, v25 dst_sel:DWORD dst_unused:UNUSED_PAD src0_sel:WORD_1 src1_sel:DWORD
	v_mul_u32_u24_sdwa v59, v49, v25 dst_sel:DWORD dst_unused:UNUSED_PAD src0_sel:WORD_0 src1_sel:DWORD
	v_mul_u32_u24_sdwa v61, v50, v25 dst_sel:DWORD dst_unused:UNUSED_PAD src0_sel:WORD_0 src1_sel:DWORD
	v_mul_u32_u24_sdwa v60, v49, v25 dst_sel:DWORD dst_unused:UNUSED_PAD src0_sel:WORD_1 src1_sel:DWORD
	v_pk_fma_f16 v26, v9, v26, v52
	v_pk_fma_f16 v47, v9, v47, v57
	;; [unrolled: 1-line block ×5, first 2 shown]
	ds_read_b128 v[54:57], v44 offset:10224
	v_mul_u32_u24_sdwa v62, v50, v25 dst_sel:DWORD dst_unused:UNUSED_PAD src0_sel:WORD_1 src1_sel:DWORD
	v_pk_fma_f16 v45, v9, v45, v53
	v_pk_fma_f16 v50, v9, v60, v51
	s_waitcnt lgkmcnt(0)
	s_barrier
	v_pk_fma_f16 v9, v9, v62, v58
	buffer_gl0_inv
	v_mul_u32_u24_sdwa v44, v54, v25 dst_sel:DWORD dst_unused:UNUSED_PAD src0_sel:WORD_0 src1_sel:DWORD
	v_mul_u32_u24_sdwa v51, v54, v25 dst_sel:DWORD dst_unused:UNUSED_PAD src0_sel:WORD_1 src1_sel:DWORD
	v_mul_u32_u24_sdwa v53, v55, v25 dst_sel:DWORD dst_unused:UNUSED_PAD src0_sel:WORD_0 src1_sel:DWORD
	v_mul_u32_u24_sdwa v54, v55, v25 dst_sel:DWORD dst_unused:UNUSED_PAD src0_sel:WORD_1 src1_sel:DWORD
	;; [unrolled: 2-line block ×4, first 2 shown]
	v_pk_fma_f16 v64, v10, v44, v26
	v_pk_fma_f16 v63, v10, v51, v45
	;; [unrolled: 1-line block ×8, first 2 shown]
	v_mov_b32_e32 v16, v8
	v_mov_b32_e32 v15, v7
	;; [unrolled: 1-line block ×8, first 2 shown]
.LBB56_128:
	v_cmp_lt_i32_e32 vcc_lo, v24, v21
	s_cmp_eq_u64 s[20:21], 0
	s_cselect_b32 s6, -1, 0
	s_cmp_lg_u32 s34, 0
	v_cndmask_b32_e32 v1, v43, v24, vcc_lo
	v_cmp_lt_i32_e32 vcc_lo, v23, v21
	s_cselect_b32 s7, -1, 0
	s_or_b32 s6, s7, s6
	v_lshlrev_b32_e32 v1, 2, v1
	v_cndmask_b32_e32 v17, v43, v23, vcc_lo
	v_cmp_lt_i32_e32 vcc_lo, v22, v21
	ds_bpermute_b32 v2, v1, v72
	ds_bpermute_b32 v3, v1, v71
	;; [unrolled: 1-line block ×8, first 2 shown]
	v_lshlrev_b32_e32 v17, 2, v17
	v_cndmask_b32_e32 v22, v43, v22, vcc_lo
	v_cmp_lt_i32_e32 vcc_lo, v20, v21
	v_lshlrev_b32_e32 v22, 2, v22
	v_cndmask_b32_e32 v20, v43, v20, vcc_lo
	v_cmp_lt_i32_e32 vcc_lo, v19, v21
	v_lshlrev_b32_e32 v20, 2, v20
	s_waitcnt lgkmcnt(7)
	v_add_f32_e32 v2, v72, v2
	s_waitcnt lgkmcnt(6)
	v_add_f32_e32 v3, v71, v3
	;; [unrolled: 2-line block ×8, first 2 shown]
	ds_bpermute_b32 v18, v17, v2
	ds_bpermute_b32 v23, v17, v3
	;; [unrolled: 1-line block ×8, first 2 shown]
	v_cndmask_b32_e32 v19, v43, v19, vcc_lo
	s_and_b32 vcc_lo, exec_lo, s6
	v_lshlrev_b32_e32 v19, 2, v19
	s_waitcnt lgkmcnt(7)
	v_add_f32_e32 v2, v2, v18
	s_waitcnt lgkmcnt(6)
	v_add_f32_e32 v3, v3, v23
	s_waitcnt lgkmcnt(5)
	v_add_f32_e32 v4, v4, v24
	s_waitcnt lgkmcnt(4)
	v_add_f32_e32 v5, v5, v25
	s_waitcnt lgkmcnt(3)
	v_add_f32_e32 v6, v6, v26
	s_waitcnt lgkmcnt(2)
	v_add_f32_e32 v7, v7, v44
	s_waitcnt lgkmcnt(1)
	v_add_f32_e32 v8, v8, v45
	s_waitcnt lgkmcnt(0)
	v_add_f32_e32 v1, v1, v17
	ds_bpermute_b32 v17, v22, v2
	ds_bpermute_b32 v18, v22, v3
	ds_bpermute_b32 v23, v22, v4
	ds_bpermute_b32 v24, v22, v5
	ds_bpermute_b32 v25, v22, v6
	ds_bpermute_b32 v26, v22, v7
	ds_bpermute_b32 v44, v22, v8
	ds_bpermute_b32 v22, v22, v1
	s_waitcnt lgkmcnt(7)
	v_add_f32_e32 v2, v2, v17
	s_waitcnt lgkmcnt(6)
	v_add_f32_e32 v3, v3, v18
	s_waitcnt lgkmcnt(5)
	v_add_f32_e32 v4, v4, v23
	s_waitcnt lgkmcnt(4)
	v_add_f32_e32 v5, v5, v24
	s_waitcnt lgkmcnt(3)
	v_add_f32_e32 v6, v6, v25
	s_waitcnt lgkmcnt(2)
	v_add_f32_e32 v7, v7, v26
	s_waitcnt lgkmcnt(1)
	v_add_f32_e32 v8, v8, v44
	s_waitcnt lgkmcnt(0)
	v_add_f32_e32 v1, v1, v22
	ds_bpermute_b32 v17, v20, v2
	ds_bpermute_b32 v18, v20, v3
	ds_bpermute_b32 v22, v20, v4
	ds_bpermute_b32 v23, v20, v5
	ds_bpermute_b32 v24, v20, v6
	ds_bpermute_b32 v25, v20, v7
	ds_bpermute_b32 v26, v20, v8
	ds_bpermute_b32 v20, v20, v1
	;; [unrolled: 24-line block ×3, first 2 shown]
	s_waitcnt lgkmcnt(7)
	v_add_f32_e32 v1, v2, v1
	s_waitcnt lgkmcnt(6)
	v_add_f32_e32 v2, v3, v18
	;; [unrolled: 2-line block ×8, first 2 shown]
	s_cbranch_vccnz .LBB56_131
; %bb.129:
	s_lshl_b64 s[6:7], s[44:45], 2
	v_mov_b32_e32 v17, 0
	s_add_u32 s6, s20, s6
	s_addc_u32 s7, s21, s7
	v_max_f32_e32 v18, v9, v9
	v_max_f32_e32 v19, v10, v10
	global_load_dword v17, v17, s[6:7]
	v_max_f32_e32 v20, v11, v11
	v_max_f32_e32 v21, v12, v12
	;; [unrolled: 1-line block ×6, first 2 shown]
	v_mov_b32_e32 v25, 0x10001
	s_waitcnt vmcnt(0)
	v_max_f32_e32 v22, v17, v17
	v_max_f32_e32 v65, v18, v22
	;; [unrolled: 1-line block ×9, first 2 shown]
	v_sub_f32_e32 v9, v9, v65
	v_sub_f32_e32 v18, v17, v65
	v_sub_f32_e32 v19, v17, v66
	v_sub_f32_e32 v20, v17, v67
	v_sub_f32_e32 v21, v17, v68
	v_sub_f32_e32 v22, v17, v69
	v_sub_f32_e32 v23, v17, v70
	v_sub_f32_e32 v24, v17, v71
	v_sub_f32_e32 v26, v17, v72
	v_mul_f32_e32 v17, 0x3fb8aa3b, v9
	v_sub_f32_e32 v10, v10, v66
	v_mul_f32_e32 v43, 0x3fb8aa3b, v18
	v_sub_f32_e32 v11, v11, v67
	v_mul_f32_e32 v45, 0x3fb8aa3b, v19
	v_fma_f32 v75, 0x3fb8aa3b, v9, -v17
	v_rndne_f32_e32 v76, v17
	v_mul_f32_e32 v44, 0x3fb8aa3b, v10
	v_fma_f32 v77, 0x3fb8aa3b, v18, -v43
	v_rndne_f32_e32 v78, v43
	v_fmac_f32_e32 v75, 0x32a5705f, v9
	v_sub_f32_e32 v17, v17, v76
	v_fma_f32 v79, 0x3fb8aa3b, v10, -v44
	v_rndne_f32_e32 v80, v44
	v_fmac_f32_e32 v77, 0x32a5705f, v18
	v_sub_f32_e32 v43, v43, v78
	v_add_f32_e32 v17, v17, v75
	v_mul_f32_e32 v47, 0x3fb8aa3b, v11
	v_fma_f32 v81, 0x3fb8aa3b, v19, -v45
	v_rndne_f32_e32 v82, v45
	v_fmac_f32_e32 v79, 0x32a5705f, v10
	v_sub_f32_e32 v44, v44, v80
	v_add_f32_e32 v43, v43, v77
	v_exp_f32_e32 v17, v17
	v_sub_f32_e32 v12, v12, v68
	v_mul_f32_e32 v48, 0x3fb8aa3b, v20
	v_fma_f32 v83, 0x3fb8aa3b, v11, -v47
	v_rndne_f32_e32 v84, v47
	v_cvt_i32_f32_e32 v76, v76
	v_fmac_f32_e32 v81, 0x32a5705f, v19
	v_sub_f32_e32 v45, v45, v82
	v_add_f32_e32 v44, v44, v79
	v_exp_f32_e32 v43, v43
	v_mul_f32_e32 v52, 0x3fb8aa3b, v12
	v_fma_f32 v85, 0x3fb8aa3b, v20, -v48
	v_rndne_f32_e32 v86, v48
	v_cvt_i32_f32_e32 v78, v78
	v_fmac_f32_e32 v83, 0x32a5705f, v11
	v_sub_f32_e32 v47, v47, v84
	v_add_f32_e32 v45, v45, v81
	v_exp_f32_e32 v44, v44
	v_ldexp_f32 v17, v17, v76
	v_cmp_ngt_f32_e32 vcc_lo, 0xc2ce8ed0, v9
	v_sub_f32_e32 v13, v13, v69
	v_mul_f32_e32 v53, 0x3fb8aa3b, v21
	v_fma_f32 v87, 0x3fb8aa3b, v12, -v52
	v_rndne_f32_e32 v88, v52
	v_cvt_i32_f32_e32 v80, v80
	v_fmac_f32_e32 v85, 0x32a5705f, v20
	v_sub_f32_e32 v48, v48, v86
	v_add_f32_e32 v47, v47, v83
	v_exp_f32_e32 v45, v45
	v_ldexp_f32 v43, v43, v78
	v_cndmask_b32_e32 v17, 0, v17, vcc_lo
	v_cmp_ngt_f32_e32 vcc_lo, 0xc2ce8ed0, v18
	v_mul_f32_e32 v55, 0x3fb8aa3b, v13
	v_fma_f32 v89, 0x3fb8aa3b, v21, -v53
	v_rndne_f32_e32 v90, v53
	v_cvt_i32_f32_e32 v82, v82
	v_fmac_f32_e32 v87, 0x32a5705f, v12
	v_sub_f32_e32 v52, v52, v88
	v_add_f32_e32 v48, v48, v85
	v_exp_f32_e32 v47, v47
	v_ldexp_f32 v44, v44, v80
	v_cndmask_b32_e32 v43, 0, v43, vcc_lo
	v_cmp_ngt_f32_e32 vcc_lo, 0xc2ce8ed0, v10
	v_sub_f32_e32 v14, v14, v70
	v_mul_f32_e32 v56, 0x3fb8aa3b, v22
	v_fma_f32 v91, 0x3fb8aa3b, v13, -v55
	v_rndne_f32_e32 v92, v55
	v_cvt_i32_f32_e32 v84, v84
	v_fmac_f32_e32 v89, 0x32a5705f, v21
	v_sub_f32_e32 v53, v53, v90
	v_add_f32_e32 v52, v52, v87
	v_exp_f32_e32 v48, v48
	v_ldexp_f32 v45, v45, v82
	v_cndmask_b32_e32 v44, 0, v44, vcc_lo
	v_cmp_ngt_f32_e32 vcc_lo, 0xc2ce8ed0, v19
	v_mul_f32_e32 v58, 0x3fb8aa3b, v14
	v_fma_f32 v93, 0x3fb8aa3b, v22, -v56
	v_rndne_f32_e32 v94, v56
	v_cvt_i32_f32_e32 v86, v86
	v_fmac_f32_e32 v91, 0x32a5705f, v13
	v_sub_f32_e32 v55, v55, v92
	v_add_f32_e32 v53, v53, v89
	v_exp_f32_e32 v52, v52
	v_ldexp_f32 v47, v47, v84
	v_cndmask_b32_e32 v45, 0, v45, vcc_lo
	;; [unrolled: 23-line block ×4, first 2 shown]
	v_cmp_ngt_f32_e32 vcc_lo, 0xc2ce8ed0, v13
	v_mul_f32_e32 v74, 0x3fb8aa3b, v26
	v_fma_f32 v103, 0x3fb8aa3b, v16, -v73
	v_rndne_f32_e32 v104, v73
	v_cvt_i32_f32_e32 v96, v96
	v_fmac_f32_e32 v101, 0x32a5705f, v24
	v_sub_f32_e32 v62, v62, v102
	v_add_f32_e32 v61, v61, v99
	v_exp_f32_e32 v60, v60
	v_ldexp_f32 v56, v56, v94
	v_cndmask_b32_e32 v55, 0, v55, vcc_lo
	v_cmp_ngt_f32_e32 vcc_lo, 0xc2ce8ed0, v22
	v_fma_f32 v105, 0x3fb8aa3b, v26, -v74
	v_rndne_f32_e32 v106, v74
	v_cvt_i32_f32_e32 v98, v98
	v_fmac_f32_e32 v103, 0x32a5705f, v16
	v_sub_f32_e32 v73, v73, v104
	v_add_f32_e32 v62, v62, v101
	v_exp_f32_e32 v61, v61
	v_ldexp_f32 v58, v58, v96
	v_cndmask_b32_e32 v56, 0, v56, vcc_lo
	v_cmp_ngt_f32_e32 vcc_lo, 0xc2ce8ed0, v14
	v_cvt_i32_f32_e32 v100, v100
	v_fmac_f32_e32 v105, 0x32a5705f, v26
	v_sub_f32_e32 v74, v74, v106
	v_add_f32_e32 v73, v73, v103
	v_exp_f32_e32 v62, v62
	v_ldexp_f32 v60, v60, v98
	v_cndmask_b32_e32 v58, 0, v58, vcc_lo
	v_cmp_ngt_f32_e32 vcc_lo, 0xc2ce8ed0, v23
	v_cvt_i32_f32_e32 v102, v102
	v_add_f32_e32 v74, v74, v105
	v_exp_f32_e32 v73, v73
	v_ldexp_f32 v61, v61, v100
	v_cndmask_b32_e32 v60, 0, v60, vcc_lo
	v_cmp_ngt_f32_e32 vcc_lo, 0xc2ce8ed0, v15
	v_cvt_i32_f32_e32 v104, v104
	v_exp_f32_e32 v74, v74
	v_ldexp_f32 v62, v62, v102
	v_cvt_i32_f32_e32 v106, v106
	v_cndmask_b32_e32 v61, 0, v61, vcc_lo
	v_cmp_ngt_f32_e32 vcc_lo, 0xc2ce8ed0, v24
	v_ldexp_f32 v73, v73, v104
	v_cndmask_b32_e32 v62, 0, v62, vcc_lo
	v_cmp_ngt_f32_e32 vcc_lo, 0xc2ce8ed0, v16
	v_ldexp_f32 v74, v74, v106
	v_cndmask_b32_e32 v73, 0, v73, vcc_lo
	v_cmp_ngt_f32_e32 vcc_lo, 0xc2ce8ed0, v26
	v_cndmask_b32_e32 v74, 0, v74, vcc_lo
	v_cmp_nlt_f32_e32 vcc_lo, 0x42b17218, v9
	v_cndmask_b32_e32 v9, 0x7f800000, v17, vcc_lo
	v_cmp_nlt_f32_e32 vcc_lo, 0x42b17218, v18
	;; [unrolled: 2-line block ×3, first 2 shown]
	v_fmac_f32_e32 v17, v1, v9
	v_cndmask_b32_e32 v10, 0x7f800000, v44, vcc_lo
	v_cmp_nlt_f32_e32 vcc_lo, 0x42b17218, v19
	v_cvt_f16_f32_e32 v1, v9
	v_cndmask_b32_e32 v18, 0x7f800000, v45, vcc_lo
	v_cmp_nlt_f32_e32 vcc_lo, 0x42b17218, v11
	v_mul_u32_u24_sdwa v9, v1, v25 dst_sel:DWORD dst_unused:UNUSED_PAD src0_sel:WORD_0 src1_sel:DWORD
	v_fmac_f32_e32 v18, v2, v10
	v_cndmask_b32_e32 v11, 0x7f800000, v47, vcc_lo
	v_cmp_nlt_f32_e32 vcc_lo, 0x42b17218, v20
	v_cvt_f16_f32_e32 v2, v10
	v_pk_mul_f16 v64, v64, v9
	v_cndmask_b32_e32 v19, 0x7f800000, v48, vcc_lo
	v_cmp_nlt_f32_e32 vcc_lo, 0x42b17218, v12
	v_mul_u32_u24_sdwa v10, v2, v25 dst_sel:DWORD dst_unused:UNUSED_PAD src0_sel:WORD_0 src1_sel:DWORD
	v_fmac_f32_e32 v19, v3, v11
	v_cndmask_b32_e32 v12, 0x7f800000, v52, vcc_lo
	v_cmp_nlt_f32_e32 vcc_lo, 0x42b17218, v21
	v_cvt_f16_f32_e32 v3, v11
	v_pk_mul_f16 v63, v63, v10
	;; [unrolled: 8-line block ×6, first 2 shown]
	v_cndmask_b32_e32 v24, 0x7f800000, v74, vcc_lo
	v_mul_u32_u24_sdwa v15, v7, v25 dst_sel:DWORD dst_unused:UNUSED_PAD src0_sel:WORD_0 src1_sel:DWORD
	v_fmac_f32_e32 v24, v8, v16
	v_cvt_f16_f32_e32 v8, v16
	v_pk_mul_f16 v50, v50, v15
	v_mul_u32_u24_sdwa v16, v8, v25 dst_sel:DWORD dst_unused:UNUSED_PAD src0_sel:WORD_0 src1_sel:DWORD
	v_mov_b32_e32 v1, v17
	v_mov_b32_e32 v2, v18
	;; [unrolled: 1-line block ×4, first 2 shown]
	v_pk_mul_f16 v49, v49, v16
	v_mov_b32_e32 v9, v65
	v_mov_b32_e32 v5, v21
	v_mov_b32_e32 v6, v22
	v_mov_b32_e32 v7, v23
	v_mov_b32_e32 v8, v24
	v_mov_b32_e32 v10, v66
	v_mov_b32_e32 v11, v67
	v_mov_b32_e32 v12, v68
	v_mov_b32_e32 v13, v69
	v_mov_b32_e32 v14, v70
	v_mov_b32_e32 v15, v71
	v_mov_b32_e32 v16, v72
	s_mov_b32 s6, exec_lo
	v_cmpx_gt_i32_e64 s30, v42
	s_cbranch_execnz .LBB56_132
.LBB56_130:
	s_endpgm
.LBB56_131:
	v_mov_b32_e32 v17, v1
	v_mov_b32_e32 v18, v2
	;; [unrolled: 1-line block ×8, first 2 shown]
	s_mov_b32 s6, exec_lo
	v_cmpx_gt_i32_e64 s30, v42
	s_cbranch_execz .LBB56_130
.LBB56_132:
	s_load_dword s5, s[4:5], 0xd4
	v_mov_b32_e32 v42, 1.0
	s_waitcnt lgkmcnt(0)
	s_cmp_lg_u32 s5, 1
	s_cselect_b32 s8, -1, 0
	s_cmp_eq_u32 s5, 1
	s_cselect_b32 s7, -1, 0
	s_and_b32 vcc_lo, exec_lo, s8
	s_cbranch_vccnz .LBB56_134
; %bb.133:
	v_div_scale_f32 v25, null, v17, v17, 1.0
	v_rcp_f32_e32 v26, v25
	v_fma_f32 v42, -v25, v26, 1.0
	v_fmac_f32_e32 v26, v42, v26
	v_div_scale_f32 v42, vcc_lo, 1.0, v17, 1.0
	v_mul_f32_e32 v43, v42, v26
	v_fma_f32 v44, -v25, v43, v42
	v_fmac_f32_e32 v43, v44, v26
	v_fma_f32 v25, -v25, v43, v42
	v_div_fmas_f32 v25, v25, v26, v43
	v_div_fixup_f32 v42, v25, v17, 1.0
.LBB56_134:
	s_mul_i32 s6, s33, s30
	v_mov_b32_e32 v44, 0
	s_add_i32 s6, s6, s18
	v_cmp_eq_u32_e32 vcc_lo, 0, v0
	v_add_nc_u32_e32 v17, s6, v40
	v_mad_u64_u32 v[25:26], null, v17, s31, s[44:45]
	v_cvt_f32_f16_e32 v17, v64
	v_mul_f32_e32 v47, v42, v17
	v_mad_u64_u32 v[25:26], null, s5, v25, s[34:35]
	v_cvt_f32_f16_sdwa v26, v64 dst_sel:DWORD dst_unused:UNUSED_PAD src0_sel:WORD_1
	v_mul_f32_e32 v48, v42, v26
	v_lshl_add_u32 v43, v25, 6, v46
	v_lshlrev_b64 v[43:44], 2, v[43:44]
	v_add_co_u32 v42, s4, s24, v43
	v_add_co_ci_u32_e64 v43, null, s25, v44, s4
	s_and_b32 s4, vcc_lo, s8
	global_store_dwordx2 v[42:43], v[47:48], off
	s_and_saveexec_b32 s8, s4
	s_cbranch_execz .LBB56_136
; %bb.135:
	v_ashrrev_i32_e32 v26, 31, v25
	v_mov_b32_e32 v0, v9
	v_lshlrev_b64 v[25:26], 3, v[25:26]
	v_add_co_u32 v25, vcc_lo, s26, v25
	v_add_co_ci_u32_e64 v26, null, s27, v26, vcc_lo
	global_store_dwordx2 v[25:26], v[0:1], off
.LBB56_136:
	s_or_b32 exec_lo, exec_lo, s8
	v_cmp_gt_i32_e32 vcc_lo, s30, v41
	s_and_b32 exec_lo, exec_lo, vcc_lo
	s_cbranch_execz .LBB56_130
; %bb.137:
	v_cndmask_b32_e64 v9, 0, 1, s7
	v_mov_b32_e32 v17, 1.0
	s_andn2_b32 vcc_lo, exec_lo, s7
	s_cbranch_vccnz .LBB56_139
; %bb.138:
	v_div_scale_f32 v0, null, v18, v18, 1.0
	v_rcp_f32_e32 v1, v0
	v_fma_f32 v17, -v0, v1, 1.0
	v_fmac_f32_e32 v1, v17, v1
	v_div_scale_f32 v17, vcc_lo, 1.0, v18, 1.0
	v_mul_f32_e32 v25, v17, v1
	v_fma_f32 v26, -v0, v25, v17
	v_fmac_f32_e32 v25, v26, v1
	v_fma_f32 v0, -v0, v25, v17
	v_div_fmas_f32 v0, v0, v1, v25
	v_div_fixup_f32 v17, v0, v18, 1.0
.LBB56_139:
	v_add_nc_u32_e32 v0, s6, v38
	v_mov_b32_e32 v26, 0
	v_cvt_f32_f16_sdwa v18, v63 dst_sel:DWORD dst_unused:UNUSED_PAD src0_sel:WORD_1
	v_mad_u64_u32 v[0:1], null, v0, s31, s[44:45]
	v_mul_f32_e32 v41, v17, v18
	v_mad_u64_u32 v[0:1], null, s5, v0, s[34:35]
	v_cvt_f32_f16_e32 v1, v63
	v_mul_f32_e32 v40, v17, v1
	v_lshl_add_u32 v25, v0, 6, v46
	v_lshlrev_b64 v[25:26], 2, v[25:26]
	v_add_co_u32 v17, vcc_lo, s24, v25
	v_add_co_ci_u32_e64 v18, null, s25, v26, vcc_lo
	global_store_dwordx2 v[17:18], v[40:41], off
	s_and_saveexec_b32 s7, s4
	s_cbranch_execz .LBB56_141
; %bb.140:
	v_ashrrev_i32_e32 v1, 31, v0
	v_lshlrev_b64 v[0:1], 3, v[0:1]
	v_add_co_u32 v17, vcc_lo, s26, v0
	v_add_co_ci_u32_e64 v18, null, s27, v1, vcc_lo
	v_mov_b32_e32 v1, v10
	global_store_dwordx2 v[17:18], v[1:2], off
.LBB56_141:
	s_or_b32 exec_lo, exec_lo, s7
	v_cmp_gt_i32_e32 vcc_lo, s30, v39
	s_and_b32 exec_lo, exec_lo, vcc_lo
	s_cbranch_execz .LBB56_130
; %bb.142:
	v_cmp_ne_u32_e32 vcc_lo, 1, v9
	v_mov_b32_e32 v2, 1.0
	s_cbranch_vccnz .LBB56_144
; %bb.143:
	v_div_scale_f32 v0, null, v19, v19, 1.0
	v_rcp_f32_e32 v1, v0
	v_fma_f32 v2, -v0, v1, 1.0
	v_fmac_f32_e32 v1, v2, v1
	v_div_scale_f32 v2, vcc_lo, 1.0, v19, 1.0
	v_mul_f32_e32 v10, v2, v1
	v_fma_f32 v17, -v0, v10, v2
	v_fmac_f32_e32 v10, v17, v1
	v_fma_f32 v0, -v0, v10, v2
	v_div_fmas_f32 v0, v0, v1, v10
	v_div_fixup_f32 v2, v0, v19, 1.0
.LBB56_144:
	v_add_nc_u32_e32 v0, s6, v37
	v_mov_b32_e32 v18, 0
	v_cvt_f32_f16_sdwa v10, v59 dst_sel:DWORD dst_unused:UNUSED_PAD src0_sel:WORD_1
	v_mad_u64_u32 v[0:1], null, v0, s31, s[44:45]
	v_mad_u64_u32 v[0:1], null, s5, v0, s[34:35]
	v_cvt_f32_f16_e32 v1, v59
	v_mul_f32_e32 v1, v2, v1
	v_lshl_add_u32 v17, v0, 6, v46
	v_mul_f32_e32 v2, v2, v10
	v_lshlrev_b64 v[17:18], 2, v[17:18]
	v_add_co_u32 v17, vcc_lo, s24, v17
	v_add_co_ci_u32_e64 v18, null, s25, v18, vcc_lo
	global_store_dwordx2 v[17:18], v[1:2], off
	s_and_saveexec_b32 s7, s4
	s_cbranch_execz .LBB56_146
; %bb.145:
	v_ashrrev_i32_e32 v1, 31, v0
	v_mov_b32_e32 v2, v11
	v_lshlrev_b64 v[0:1], 3, v[0:1]
	v_add_co_u32 v0, vcc_lo, s26, v0
	v_add_co_ci_u32_e64 v1, null, s27, v1, vcc_lo
	global_store_dwordx2 v[0:1], v[2:3], off
.LBB56_146:
	s_or_b32 exec_lo, exec_lo, s7
	v_cmp_gt_i32_e32 vcc_lo, s30, v36
	s_and_b32 exec_lo, exec_lo, vcc_lo
	s_cbranch_execz .LBB56_130
; %bb.147:
	v_cmp_ne_u32_e32 vcc_lo, 1, v9
	v_mov_b32_e32 v2, 1.0
	s_cbranch_vccnz .LBB56_149
; %bb.148:
	v_div_scale_f32 v0, null, v20, v20, 1.0
	v_rcp_f32_e32 v1, v0
	v_fma_f32 v2, -v0, v1, 1.0
	v_fmac_f32_e32 v1, v2, v1
	v_div_scale_f32 v2, vcc_lo, 1.0, v20, 1.0
	v_mul_f32_e32 v3, v2, v1
	v_fma_f32 v10, -v0, v3, v2
	v_fmac_f32_e32 v3, v10, v1
	v_fma_f32 v0, -v0, v3, v2
	v_div_fmas_f32 v0, v0, v1, v3
	v_div_fixup_f32 v2, v0, v20, 1.0
.LBB56_149:
	v_add_nc_u32_e32 v0, s6, v34
	v_mov_b32_e32 v11, 0
	v_cvt_f32_f16_sdwa v3, v57 dst_sel:DWORD dst_unused:UNUSED_PAD src0_sel:WORD_1
	v_mad_u64_u32 v[0:1], null, v0, s31, s[44:45]
	v_mad_u64_u32 v[0:1], null, s5, v0, s[34:35]
	v_cvt_f32_f16_e32 v1, v57
	v_mul_f32_e32 v1, v2, v1
	v_lshl_add_u32 v10, v0, 6, v46
	v_mul_f32_e32 v2, v2, v3
	v_lshlrev_b64 v[10:11], 2, v[10:11]
	v_add_co_u32 v10, vcc_lo, s24, v10
	v_add_co_ci_u32_e64 v11, null, s25, v11, vcc_lo
	global_store_dwordx2 v[10:11], v[1:2], off
	s_and_saveexec_b32 s7, s4
	s_cbranch_execz .LBB56_151
; %bb.150:
	v_ashrrev_i32_e32 v1, 31, v0
	v_mov_b32_e32 v3, v12
	v_lshlrev_b64 v[0:1], 3, v[0:1]
	v_add_co_u32 v0, vcc_lo, s26, v0
	v_add_co_ci_u32_e64 v1, null, s27, v1, vcc_lo
	global_store_dwordx2 v[0:1], v[3:4], off
.LBB56_151:
	;; [unrolled: 44-line block ×5, first 2 shown]
	s_or_b32 exec_lo, exec_lo, s7
	v_cmp_gt_i32_e32 vcc_lo, s30, v28
	s_and_b32 exec_lo, exec_lo, vcc_lo
	s_cbranch_execz .LBB56_130
; %bb.167:
	v_cmp_ne_u32_e32 vcc_lo, 1, v9
	v_mov_b32_e32 v2, 1.0
	s_cbranch_vccnz .LBB56_169
; %bb.168:
	v_div_scale_f32 v0, null, v24, v24, 1.0
	v_rcp_f32_e32 v1, v0
	v_fma_f32 v2, -v0, v1, 1.0
	v_fmac_f32_e32 v1, v2, v1
	v_div_scale_f32 v2, vcc_lo, 1.0, v24, 1.0
	v_mul_f32_e32 v3, v2, v1
	v_fma_f32 v4, -v0, v3, v2
	v_fmac_f32_e32 v3, v4, v1
	v_fma_f32 v0, -v0, v3, v2
	v_div_fmas_f32 v0, v0, v1, v3
	v_div_fixup_f32 v2, v0, v24, 1.0
.LBB56_169:
	v_add_nc_u32_e32 v0, s6, v27
	v_mov_b32_e32 v4, 0
	v_cvt_f32_f16_sdwa v5, v49 dst_sel:DWORD dst_unused:UNUSED_PAD src0_sel:WORD_1
	v_mad_u64_u32 v[0:1], null, v0, s31, s[44:45]
	v_mad_u64_u32 v[0:1], null, s5, v0, s[34:35]
	v_cvt_f32_f16_e32 v1, v49
	v_mul_f32_e32 v1, v2, v1
	v_lshl_add_u32 v3, v0, 6, v46
	v_mul_f32_e32 v2, v2, v5
	v_lshlrev_b64 v[3:4], 2, v[3:4]
	v_add_co_u32 v3, vcc_lo, s24, v3
	v_add_co_ci_u32_e64 v4, null, s25, v4, vcc_lo
	global_store_dwordx2 v[3:4], v[1:2], off
	s_and_b32 exec_lo, exec_lo, s4
	s_cbranch_execz .LBB56_130
; %bb.170:
	v_ashrrev_i32_e32 v1, 31, v0
	v_mov_b32_e32 v7, v16
	v_lshlrev_b64 v[0:1], 3, v[0:1]
	v_add_co_u32 v0, vcc_lo, s26, v0
	v_add_co_ci_u32_e64 v1, null, s27, v1, vcc_lo
	global_store_dwordx2 v[0:1], v[7:8], off
	s_endpgm
	.section	.rodata,"a",@progbits
	.p2align	6, 0x0
	.amdhsa_kernel _ZL15flash_attn_tileILi64ELi64ELi32ELi1ELb0EEvPKcS1_S1_S1_S1_PKiPfP15HIP_vector_typeIfLj2EEffffjfiS5_IjLj3EEiiiiiiiiiiiliiliiiiil
		.amdhsa_group_segment_fixed_size 17408
		.amdhsa_private_segment_fixed_size 32
		.amdhsa_kernarg_size 464
		.amdhsa_user_sgpr_count 8
		.amdhsa_user_sgpr_private_segment_buffer 1
		.amdhsa_user_sgpr_dispatch_ptr 0
		.amdhsa_user_sgpr_queue_ptr 0
		.amdhsa_user_sgpr_kernarg_segment_ptr 1
		.amdhsa_user_sgpr_dispatch_id 0
		.amdhsa_user_sgpr_flat_scratch_init 1
		.amdhsa_user_sgpr_private_segment_size 0
		.amdhsa_wavefront_size32 1
		.amdhsa_uses_dynamic_stack 0
		.amdhsa_system_sgpr_private_segment_wavefront_offset 1
		.amdhsa_system_sgpr_workgroup_id_x 1
		.amdhsa_system_sgpr_workgroup_id_y 1
		.amdhsa_system_sgpr_workgroup_id_z 1
		.amdhsa_system_sgpr_workgroup_info 0
		.amdhsa_system_vgpr_workitem_id 1
		.amdhsa_next_free_vgpr 156
		.amdhsa_next_free_sgpr 52
		.amdhsa_reserve_vcc 1
		.amdhsa_reserve_flat_scratch 1
		.amdhsa_float_round_mode_32 0
		.amdhsa_float_round_mode_16_64 0
		.amdhsa_float_denorm_mode_32 3
		.amdhsa_float_denorm_mode_16_64 3
		.amdhsa_dx10_clamp 1
		.amdhsa_ieee_mode 1
		.amdhsa_fp16_overflow 0
		.amdhsa_workgroup_processor_mode 1
		.amdhsa_memory_ordered 1
		.amdhsa_forward_progress 1
		.amdhsa_shared_vgpr_count 0
		.amdhsa_exception_fp_ieee_invalid_op 0
		.amdhsa_exception_fp_denorm_src 0
		.amdhsa_exception_fp_ieee_div_zero 0
		.amdhsa_exception_fp_ieee_overflow 0
		.amdhsa_exception_fp_ieee_underflow 0
		.amdhsa_exception_fp_ieee_inexact 0
		.amdhsa_exception_int_div_zero 0
	.end_amdhsa_kernel
	.section	.text._ZL15flash_attn_tileILi64ELi64ELi32ELi1ELb0EEvPKcS1_S1_S1_S1_PKiPfP15HIP_vector_typeIfLj2EEffffjfiS5_IjLj3EEiiiiiiiiiiiliiliiiiil,"axG",@progbits,_ZL15flash_attn_tileILi64ELi64ELi32ELi1ELb0EEvPKcS1_S1_S1_S1_PKiPfP15HIP_vector_typeIfLj2EEffffjfiS5_IjLj3EEiiiiiiiiiiiliiliiiiil,comdat
.Lfunc_end56:
	.size	_ZL15flash_attn_tileILi64ELi64ELi32ELi1ELb0EEvPKcS1_S1_S1_S1_PKiPfP15HIP_vector_typeIfLj2EEffffjfiS5_IjLj3EEiiiiiiiiiiiliiliiiiil, .Lfunc_end56-_ZL15flash_attn_tileILi64ELi64ELi32ELi1ELb0EEvPKcS1_S1_S1_S1_PKiPfP15HIP_vector_typeIfLj2EEffffjfiS5_IjLj3EEiiiiiiiiiiiliiliiiiil
                                        ; -- End function
	.set _ZL15flash_attn_tileILi64ELi64ELi32ELi1ELb0EEvPKcS1_S1_S1_S1_PKiPfP15HIP_vector_typeIfLj2EEffffjfiS5_IjLj3EEiiiiiiiiiiiliiliiiiil.num_vgpr, 156
	.set _ZL15flash_attn_tileILi64ELi64ELi32ELi1ELb0EEvPKcS1_S1_S1_S1_PKiPfP15HIP_vector_typeIfLj2EEffffjfiS5_IjLj3EEiiiiiiiiiiiliiliiiiil.num_agpr, 0
	.set _ZL15flash_attn_tileILi64ELi64ELi32ELi1ELb0EEvPKcS1_S1_S1_S1_PKiPfP15HIP_vector_typeIfLj2EEffffjfiS5_IjLj3EEiiiiiiiiiiiliiliiiiil.numbered_sgpr, 52
	.set _ZL15flash_attn_tileILi64ELi64ELi32ELi1ELb0EEvPKcS1_S1_S1_S1_PKiPfP15HIP_vector_typeIfLj2EEffffjfiS5_IjLj3EEiiiiiiiiiiiliiliiiiil.num_named_barrier, 0
	.set _ZL15flash_attn_tileILi64ELi64ELi32ELi1ELb0EEvPKcS1_S1_S1_S1_PKiPfP15HIP_vector_typeIfLj2EEffffjfiS5_IjLj3EEiiiiiiiiiiiliiliiiiil.private_seg_size, 32
	.set _ZL15flash_attn_tileILi64ELi64ELi32ELi1ELb0EEvPKcS1_S1_S1_S1_PKiPfP15HIP_vector_typeIfLj2EEffffjfiS5_IjLj3EEiiiiiiiiiiiliiliiiiil.uses_vcc, 1
	.set _ZL15flash_attn_tileILi64ELi64ELi32ELi1ELb0EEvPKcS1_S1_S1_S1_PKiPfP15HIP_vector_typeIfLj2EEffffjfiS5_IjLj3EEiiiiiiiiiiiliiliiiiil.uses_flat_scratch, 1
	.set _ZL15flash_attn_tileILi64ELi64ELi32ELi1ELb0EEvPKcS1_S1_S1_S1_PKiPfP15HIP_vector_typeIfLj2EEffffjfiS5_IjLj3EEiiiiiiiiiiiliiliiiiil.has_dyn_sized_stack, 0
	.set _ZL15flash_attn_tileILi64ELi64ELi32ELi1ELb0EEvPKcS1_S1_S1_S1_PKiPfP15HIP_vector_typeIfLj2EEffffjfiS5_IjLj3EEiiiiiiiiiiiliiliiiiil.has_recursion, 0
	.set _ZL15flash_attn_tileILi64ELi64ELi32ELi1ELb0EEvPKcS1_S1_S1_S1_PKiPfP15HIP_vector_typeIfLj2EEffffjfiS5_IjLj3EEiiiiiiiiiiiliiliiiiil.has_indirect_call, 0
	.section	.AMDGPU.csdata,"",@progbits
; Kernel info:
; codeLenInByte = 61672
; TotalNumSgprs: 54
; NumVgprs: 156
; ScratchSize: 32
; MemoryBound: 0
; FloatMode: 240
; IeeeMode: 1
; LDSByteSize: 17408 bytes/workgroup (compile time only)
; SGPRBlocks: 0
; VGPRBlocks: 19
; NumSGPRsForWavesPerEU: 54
; NumVGPRsForWavesPerEU: 156
; Occupancy: 6
; WaveLimiterHint : 0
; COMPUTE_PGM_RSRC2:SCRATCH_EN: 1
; COMPUTE_PGM_RSRC2:USER_SGPR: 8
; COMPUTE_PGM_RSRC2:TRAP_HANDLER: 0
; COMPUTE_PGM_RSRC2:TGID_X_EN: 1
; COMPUTE_PGM_RSRC2:TGID_Y_EN: 1
; COMPUTE_PGM_RSRC2:TGID_Z_EN: 1
; COMPUTE_PGM_RSRC2:TIDIG_COMP_CNT: 1
	.section	.text._ZL33flash_attn_stream_k_fixup_uniformILi64ELi32ELi1EEvPfPK15HIP_vector_typeIfLj2EEiiiiiiS1_IjLj3EES5_S5_,"axG",@progbits,_ZL33flash_attn_stream_k_fixup_uniformILi64ELi32ELi1EEvPfPK15HIP_vector_typeIfLj2EEiiiiiiS1_IjLj3EES5_S5_,comdat
	.globl	_ZL33flash_attn_stream_k_fixup_uniformILi64ELi32ELi1EEvPfPK15HIP_vector_typeIfLj2EEiiiiiiS1_IjLj3EES5_S5_ ; -- Begin function _ZL33flash_attn_stream_k_fixup_uniformILi64ELi32ELi1EEvPfPK15HIP_vector_typeIfLj2EEiiiiiiS1_IjLj3EES5_S5_
	.p2align	8
	.type	_ZL33flash_attn_stream_k_fixup_uniformILi64ELi32ELi1EEvPfPK15HIP_vector_typeIfLj2EEiiiiiiS1_IjLj3EES5_S5_,@function
_ZL33flash_attn_stream_k_fixup_uniformILi64ELi32ELi1EEvPfPK15HIP_vector_typeIfLj2EEiiiiiiS1_IjLj3EES5_S5_: ; @_ZL33flash_attn_stream_k_fixup_uniformILi64ELi32ELi1EEvPfPK15HIP_vector_typeIfLj2EEiiiiiiS1_IjLj3EES5_S5_
; %bb.0:
	s_clause 0x2
	s_load_dwordx8 s[12:19], s[4:5], 0x1c
	s_load_dwordx4 s[20:23], s[4:5], 0x3c
	s_load_dwordx2 s[10:11], s[4:5], 0x10
	s_waitcnt lgkmcnt(0)
	s_mul_hi_u32 s0, s15, s6
	s_add_i32 s0, s6, s0
	s_lshr_b32 s0, s0, s16
	s_mul_i32 s1, s0, s17
	s_sub_i32 s2, s6, s1
	s_mul_hi_u32 s1, s2, s18
	s_add_i32 s1, s2, s1
	s_lshr_b32 s1, s1, s19
	s_mul_i32 s3, s1, s20
	s_sub_i32 s2, s2, s3
	;; [unrolled: 5-line block ×3, first 2 shown]
	s_lshl_b32 s2, s15, 5
	s_add_i32 s2, s2, s7
	s_cmp_lt_i32 s2, s10
	s_cselect_b32 s2, -1, 0
	s_add_i32 s3, s9, s8
	s_cmp_lt_i32 s3, s13
	s_cselect_b32 s3, -1, 0
	s_and_b32 s2, s2, s3
	s_andn2_b32 vcc_lo, exec_lo, s2
	s_cbranch_vccnz .LBB57_6
; %bb.1:
	s_mul_i32 s0, s0, s10
	s_mul_i32 s10, s1, s13
	s_add_i32 s0, s0, s7
	s_mul_i32 s0, s0, s11
	s_add_i32 s13, s0, s8
	s_load_dwordx4 s[0:3], s[4:5], 0x0
	s_add_i32 s4, s13, s10
	s_mul_i32 s5, s11, s15
	s_add_i32 s4, s4, s9
	s_lshl_b32 s5, s5, 11
	s_lshl_b32 s4, s4, 6
	s_add_i32 s8, s7, s8
	s_add_i32 s5, s5, s4
	s_mul_i32 s4, s14, s6
	v_or_b32_e32 v1, s5, v0
	s_add_i32 s9, s4, s14
	v_ashrrev_i32_e32 v2, 31, v1
	v_lshlrev_b64 v[1:2], 2, v[1:2]
	s_waitcnt lgkmcnt(0)
	v_add_co_u32 v1, vcc_lo, s0, v1
	v_add_co_ci_u32_e64 v2, null, s1, v2, vcc_lo
	s_lshl_b32 s0, s9, 5
	s_add_i32 s0, s8, s0
	global_load_dword v5, v[1:2], off
	s_sub_i32 s0, s0, 32
	s_ashr_i32 s1, s0, 31
	s_lshl_b64 s[0:1], s[0:1], 3
	s_add_u32 s0, s2, s0
	s_addc_u32 s1, s3, s1
	s_add_i32 s5, s9, -2
	s_load_dword s10, s[0:1], 0x4
	s_cmp_lt_i32 s5, s4
	s_cbranch_scc1 .LBB57_4
; %bb.2:
	s_lshl_b32 s16, s12, 7
	s_load_dword s11, s[0:1], 0x0
	s_ashr_i32 s17, s16, 31
	s_waitcnt lgkmcnt(0)
	v_mov_b32_e32 v6, s10
	s_lshl_b64 s[0:1], s[16:17], 2
	s_add_u32 s5, s2, s0
	s_addc_u32 s7, s3, s1
	s_add_i32 s6, s6, 1
	s_lshl_b32 s1, s8, 6
	s_mul_i32 s0, s14, s6
	s_lshl_b32 s6, s0, 11
	s_lshl_b32 s0, s0, 5
	s_add_i32 s1, s1, s6
	s_add_i32 s0, s8, s0
	v_or_b32_e32 v0, s1, v0
	s_lshl_b32 s1, s12, 5
	s_add_i32 s6, s9, -1
	s_add_i32 s0, s0, s1
	v_add_nc_u32_e32 v3, 0xfffff000, v0
	v_mov_b32_e32 v0, s11
	s_sub_i32 s0, s0, 64
.LBB57_3:                               ; =>This Inner Loop Header: Depth=1
	v_ashrrev_i32_e32 v4, 31, v3
	s_ashr_i32 s1, s0, 31
	s_lshl_b64 s[8:9], s[0:1], 3
	s_add_u32 s8, s2, s8
	v_lshlrev_b64 v[7:8], 2, v[3:4]
	s_addc_u32 s9, s3, s9
	v_add_nc_u32_e32 v3, 0xfffff800, v3
	s_add_i32 s6, s6, -1
	s_sub_i32 s0, s0, 32
	s_cmp_le_i32 s6, s4
	v_add_co_u32 v7, vcc_lo, s5, v7
	v_add_co_ci_u32_e64 v8, null, s7, v8, vcc_lo
	s_load_dwordx2 s[8:9], s[8:9], 0x0
	global_load_dword v4, v[7:8], off
	v_max_f32_e32 v7, v0, v0
	s_waitcnt lgkmcnt(0)
	v_max_f32_e64 v8, s8, s8
	v_max_f32_e32 v7, v7, v8
	v_sub_f32_e32 v8, s8, v7
	v_sub_f32_e32 v0, v0, v7
	v_mul_f32_e32 v9, 0x3fb8aa3b, v8
	v_mul_f32_e32 v12, 0x3fb8aa3b, v0
	v_cmp_ngt_f32_e32 vcc_lo, 0xc2ce8ed0, v8
	v_fma_f32 v10, 0x3fb8aa3b, v8, -v9
	v_rndne_f32_e32 v11, v9
	v_fma_f32 v13, 0x3fb8aa3b, v0, -v12
	v_rndne_f32_e32 v14, v12
	v_fmac_f32_e32 v10, 0x32a5705f, v8
	v_sub_f32_e32 v9, v9, v11
	v_fmac_f32_e32 v13, 0x32a5705f, v0
	v_cvt_i32_f32_e32 v11, v11
	v_add_f32_e32 v9, v9, v10
	v_sub_f32_e32 v10, v12, v14
	v_exp_f32_e32 v9, v9
	v_add_f32_e32 v10, v10, v13
	v_exp_f32_e32 v10, v10
	v_ldexp_f32 v9, v9, v11
	v_cvt_i32_f32_e32 v11, v14
	v_cndmask_b32_e32 v9, 0, v9, vcc_lo
	v_cmp_nlt_f32_e32 vcc_lo, 0x42b17218, v8
	v_ldexp_f32 v10, v10, v11
	v_mov_b32_e32 v11, v6
	v_cndmask_b32_e32 v9, 0x7f800000, v9, vcc_lo
	v_cmp_ngt_f32_e32 vcc_lo, 0xc2ce8ed0, v0
	v_cndmask_b32_e32 v10, 0, v10, vcc_lo
	v_cmp_le_f32_e32 vcc_lo, 0xc1a00000, v8
	v_cndmask_b32_e32 v8, 0, v9, vcc_lo
	v_cmp_nlt_f32_e32 vcc_lo, 0x42b17218, v0
	s_waitcnt vmcnt(1)
	v_mov_b32_e32 v9, v5
	v_cndmask_b32_e32 v5, 0x7f800000, v10, vcc_lo
	v_mul_f32_e32 v10, s9, v8
	v_cmp_le_f32_e32 vcc_lo, 0xc1a00000, v0
	v_mov_b32_e32 v0, v7
	v_mov_b32_e32 v6, v10
	v_cndmask_b32_e32 v12, 0, v5, vcc_lo
	v_fmac_f32_e32 v6, v11, v12
	s_waitcnt vmcnt(0)
	v_mul_f32_e32 v5, v4, v8
	v_fmac_f32_e32 v5, v9, v12
	s_cbranch_scc0 .LBB57_3
	s_branch .LBB57_5
.LBB57_4:
	s_waitcnt lgkmcnt(0)
	v_mov_b32_e32 v6, s10
.LBB57_5:
	s_waitcnt vmcnt(0)
	v_div_scale_f32 v0, null, v6, v6, v5
	v_rcp_f32_e32 v3, v0
	v_fma_f32 v4, -v0, v3, 1.0
	v_fmac_f32_e32 v3, v4, v3
	v_div_scale_f32 v4, vcc_lo, v5, v6, v5
	v_mul_f32_e32 v7, v4, v3
	v_fma_f32 v8, -v0, v7, v4
	v_fmac_f32_e32 v7, v8, v3
	v_fma_f32 v0, -v0, v7, v4
	v_div_fmas_f32 v0, v0, v3, v7
	v_div_fixup_f32 v0, v0, v6, v5
	global_store_dword v[1:2], v0, off
.LBB57_6:
	s_endpgm
	.section	.rodata,"a",@progbits
	.p2align	6, 0x0
	.amdhsa_kernel _ZL33flash_attn_stream_k_fixup_uniformILi64ELi32ELi1EEvPfPK15HIP_vector_typeIfLj2EEiiiiiiS1_IjLj3EES5_S5_
		.amdhsa_group_segment_fixed_size 0
		.amdhsa_private_segment_fixed_size 0
		.amdhsa_kernarg_size 76
		.amdhsa_user_sgpr_count 6
		.amdhsa_user_sgpr_private_segment_buffer 1
		.amdhsa_user_sgpr_dispatch_ptr 0
		.amdhsa_user_sgpr_queue_ptr 0
		.amdhsa_user_sgpr_kernarg_segment_ptr 1
		.amdhsa_user_sgpr_dispatch_id 0
		.amdhsa_user_sgpr_flat_scratch_init 0
		.amdhsa_user_sgpr_private_segment_size 0
		.amdhsa_wavefront_size32 1
		.amdhsa_uses_dynamic_stack 0
		.amdhsa_system_sgpr_private_segment_wavefront_offset 0
		.amdhsa_system_sgpr_workgroup_id_x 1
		.amdhsa_system_sgpr_workgroup_id_y 1
		.amdhsa_system_sgpr_workgroup_id_z 1
		.amdhsa_system_sgpr_workgroup_info 0
		.amdhsa_system_vgpr_workitem_id 0
		.amdhsa_next_free_vgpr 15
		.amdhsa_next_free_sgpr 24
		.amdhsa_reserve_vcc 1
		.amdhsa_reserve_flat_scratch 0
		.amdhsa_float_round_mode_32 0
		.amdhsa_float_round_mode_16_64 0
		.amdhsa_float_denorm_mode_32 3
		.amdhsa_float_denorm_mode_16_64 3
		.amdhsa_dx10_clamp 1
		.amdhsa_ieee_mode 1
		.amdhsa_fp16_overflow 0
		.amdhsa_workgroup_processor_mode 1
		.amdhsa_memory_ordered 1
		.amdhsa_forward_progress 1
		.amdhsa_shared_vgpr_count 0
		.amdhsa_exception_fp_ieee_invalid_op 0
		.amdhsa_exception_fp_denorm_src 0
		.amdhsa_exception_fp_ieee_div_zero 0
		.amdhsa_exception_fp_ieee_overflow 0
		.amdhsa_exception_fp_ieee_underflow 0
		.amdhsa_exception_fp_ieee_inexact 0
		.amdhsa_exception_int_div_zero 0
	.end_amdhsa_kernel
	.section	.text._ZL33flash_attn_stream_k_fixup_uniformILi64ELi32ELi1EEvPfPK15HIP_vector_typeIfLj2EEiiiiiiS1_IjLj3EES5_S5_,"axG",@progbits,_ZL33flash_attn_stream_k_fixup_uniformILi64ELi32ELi1EEvPfPK15HIP_vector_typeIfLj2EEiiiiiiS1_IjLj3EES5_S5_,comdat
.Lfunc_end57:
	.size	_ZL33flash_attn_stream_k_fixup_uniformILi64ELi32ELi1EEvPfPK15HIP_vector_typeIfLj2EEiiiiiiS1_IjLj3EES5_S5_, .Lfunc_end57-_ZL33flash_attn_stream_k_fixup_uniformILi64ELi32ELi1EEvPfPK15HIP_vector_typeIfLj2EEiiiiiiS1_IjLj3EES5_S5_
                                        ; -- End function
	.set _ZL33flash_attn_stream_k_fixup_uniformILi64ELi32ELi1EEvPfPK15HIP_vector_typeIfLj2EEiiiiiiS1_IjLj3EES5_S5_.num_vgpr, 15
	.set _ZL33flash_attn_stream_k_fixup_uniformILi64ELi32ELi1EEvPfPK15HIP_vector_typeIfLj2EEiiiiiiS1_IjLj3EES5_S5_.num_agpr, 0
	.set _ZL33flash_attn_stream_k_fixup_uniformILi64ELi32ELi1EEvPfPK15HIP_vector_typeIfLj2EEiiiiiiS1_IjLj3EES5_S5_.numbered_sgpr, 24
	.set _ZL33flash_attn_stream_k_fixup_uniformILi64ELi32ELi1EEvPfPK15HIP_vector_typeIfLj2EEiiiiiiS1_IjLj3EES5_S5_.num_named_barrier, 0
	.set _ZL33flash_attn_stream_k_fixup_uniformILi64ELi32ELi1EEvPfPK15HIP_vector_typeIfLj2EEiiiiiiS1_IjLj3EES5_S5_.private_seg_size, 0
	.set _ZL33flash_attn_stream_k_fixup_uniformILi64ELi32ELi1EEvPfPK15HIP_vector_typeIfLj2EEiiiiiiS1_IjLj3EES5_S5_.uses_vcc, 1
	.set _ZL33flash_attn_stream_k_fixup_uniformILi64ELi32ELi1EEvPfPK15HIP_vector_typeIfLj2EEiiiiiiS1_IjLj3EES5_S5_.uses_flat_scratch, 0
	.set _ZL33flash_attn_stream_k_fixup_uniformILi64ELi32ELi1EEvPfPK15HIP_vector_typeIfLj2EEiiiiiiS1_IjLj3EES5_S5_.has_dyn_sized_stack, 0
	.set _ZL33flash_attn_stream_k_fixup_uniformILi64ELi32ELi1EEvPfPK15HIP_vector_typeIfLj2EEiiiiiiS1_IjLj3EES5_S5_.has_recursion, 0
	.set _ZL33flash_attn_stream_k_fixup_uniformILi64ELi32ELi1EEvPfPK15HIP_vector_typeIfLj2EEiiiiiiS1_IjLj3EES5_S5_.has_indirect_call, 0
	.section	.AMDGPU.csdata,"",@progbits
; Kernel info:
; codeLenInByte = 828
; TotalNumSgprs: 26
; NumVgprs: 15
; ScratchSize: 0
; MemoryBound: 0
; FloatMode: 240
; IeeeMode: 1
; LDSByteSize: 0 bytes/workgroup (compile time only)
; SGPRBlocks: 0
; VGPRBlocks: 1
; NumSGPRsForWavesPerEU: 26
; NumVGPRsForWavesPerEU: 15
; Occupancy: 16
; WaveLimiterHint : 0
; COMPUTE_PGM_RSRC2:SCRATCH_EN: 0
; COMPUTE_PGM_RSRC2:USER_SGPR: 6
; COMPUTE_PGM_RSRC2:TRAP_HANDLER: 0
; COMPUTE_PGM_RSRC2:TGID_X_EN: 1
; COMPUTE_PGM_RSRC2:TGID_Y_EN: 1
; COMPUTE_PGM_RSRC2:TGID_Z_EN: 1
; COMPUTE_PGM_RSRC2:TIDIG_COMP_CNT: 0
	.section	.text._ZL33flash_attn_stream_k_fixup_generalILi64ELi32ELi1EEvPfPK15HIP_vector_typeIfLj2EEiiiiS1_IjLj3EES5_S5_S5_,"axG",@progbits,_ZL33flash_attn_stream_k_fixup_generalILi64ELi32ELi1EEvPfPK15HIP_vector_typeIfLj2EEiiiiS1_IjLj3EES5_S5_S5_,comdat
	.globl	_ZL33flash_attn_stream_k_fixup_generalILi64ELi32ELi1EEvPfPK15HIP_vector_typeIfLj2EEiiiiS1_IjLj3EES5_S5_S5_ ; -- Begin function _ZL33flash_attn_stream_k_fixup_generalILi64ELi32ELi1EEvPfPK15HIP_vector_typeIfLj2EEiiiiS1_IjLj3EES5_S5_S5_
	.p2align	8
	.type	_ZL33flash_attn_stream_k_fixup_generalILi64ELi32ELi1EEvPfPK15HIP_vector_typeIfLj2EEiiiiS1_IjLj3EES5_S5_S5_,@function
_ZL33flash_attn_stream_k_fixup_generalILi64ELi32ELi1EEvPfPK15HIP_vector_typeIfLj2EEiiiiS1_IjLj3EES5_S5_S5_: ; @_ZL33flash_attn_stream_k_fixup_generalILi64ELi32ELi1EEvPfPK15HIP_vector_typeIfLj2EEiiiiS1_IjLj3EES5_S5_S5_
; %bb.0:
	s_clause 0x1
	s_load_dwordx4 s[0:3], s[4:5], 0x10
	s_load_dword s9, s[4:5], 0x50
	s_mov_b32 s16, 0
	s_waitcnt lgkmcnt(0)
	s_mul_hi_i32 s17, s3, s6
	s_mul_i32 s18, s3, s6
	s_cmp_lg_u64 s[16:17], 0
	s_cbranch_scc0 .LBB58_21
; %bb.1:
	s_add_u32 s10, s9, 0
	s_addc_u32 s11, 0, 0
	s_xor_b64 s[10:11], s[10:11], 0
	v_cvt_f32_u32_e32 v1, s10
	v_cvt_f32_u32_e32 v2, s11
	s_sub_u32 s14, 0, s10
	s_subb_u32 s15, 0, s11
	v_fmamk_f32 v1, v2, 0x4f800000, v1
	v_rcp_f32_e32 v1, v1
	v_mul_f32_e32 v1, 0x5f7ffffc, v1
	v_mul_f32_e32 v2, 0x2f800000, v1
	v_trunc_f32_e32 v2, v2
	v_fmamk_f32 v1, v2, 0xcf800000, v1
	v_cvt_u32_f32_e32 v2, v2
	v_cvt_u32_f32_e32 v1, v1
	v_readfirstlane_b32 s12, v2
	v_readfirstlane_b32 s13, v1
	s_mul_i32 s19, s14, s12
	s_mul_hi_u32 s21, s14, s13
	s_mul_i32 s20, s15, s13
	s_add_i32 s19, s21, s19
	s_mul_i32 s22, s14, s13
	s_add_i32 s19, s19, s20
	s_mul_hi_u32 s21, s13, s22
	s_mul_i32 s24, s13, s19
	s_mul_hi_u32 s23, s12, s22
	s_mul_i32 s20, s12, s22
	s_mul_hi_u32 s22, s13, s19
	s_add_u32 s21, s21, s24
	s_addc_u32 s22, 0, s22
	s_mul_hi_u32 s25, s12, s19
	s_add_u32 s20, s21, s20
	s_mul_i32 s19, s12, s19
	s_addc_u32 s20, s22, s23
	s_addc_u32 s21, s25, 0
	s_add_u32 s19, s20, s19
	s_addc_u32 s20, 0, s21
	s_add_u32 s13, s13, s19
	s_cselect_b32 s19, -1, 0
	s_mul_hi_u32 s21, s14, s13
	s_cmp_lg_u32 s19, 0
	s_mul_i32 s19, s14, s13
	s_addc_u32 s12, s12, s20
	s_mul_i32 s15, s15, s13
	s_mul_i32 s14, s14, s12
	s_mul_hi_u32 s20, s13, s19
	s_add_i32 s14, s21, s14
	s_mul_hi_u32 s21, s12, s19
	s_add_i32 s14, s14, s15
	s_mul_i32 s15, s12, s19
	s_mul_i32 s23, s13, s14
	s_mul_hi_u32 s22, s13, s14
	s_add_u32 s20, s20, s23
	s_addc_u32 s22, 0, s22
	s_mul_hi_u32 s19, s12, s14
	s_add_u32 s15, s20, s15
	s_mul_i32 s14, s12, s14
	s_addc_u32 s15, s22, s21
	s_addc_u32 s19, s19, 0
	s_add_u32 s14, s15, s14
	s_addc_u32 s15, 0, s19
	s_add_u32 s19, s13, s14
	s_cselect_b32 s13, -1, 0
	s_cmp_lg_u32 s13, 0
	s_addc_u32 s20, s12, s15
	s_ashr_i32 s12, s17, 31
	s_add_u32 s14, s18, s12
	s_mov_b32 s13, s12
	s_addc_u32 s15, s17, s12
	s_xor_b64 s[14:15], s[14:15], s[12:13]
	s_mul_i32 s21, s14, s20
	s_mul_hi_u32 s22, s14, s19
	s_mul_hi_u32 s17, s14, s20
	;; [unrolled: 1-line block ×3, first 2 shown]
	s_mul_i32 s19, s15, s19
	s_add_u32 s21, s22, s21
	s_addc_u32 s17, 0, s17
	s_mul_hi_u32 s23, s15, s20
	s_add_u32 s19, s21, s19
	s_mul_i32 s20, s15, s20
	s_addc_u32 s17, s17, s24
	s_addc_u32 s19, s23, 0
	s_add_u32 s17, s17, s20
	s_addc_u32 s19, 0, s19
	s_mul_hi_u32 s20, s10, s17
	s_mul_i32 s21, s10, s19
	s_mul_i32 s22, s11, s17
	s_add_i32 s20, s20, s21
	s_mul_i32 s21, s10, s17
	s_add_i32 s20, s20, s22
	s_sub_i32 s22, s15, s20
	s_sub_u32 s14, s14, s21
	s_cselect_b32 s21, -1, 0
	s_cmp_lg_u32 s21, 0
	s_subb_u32 s22, s22, s11
	s_sub_u32 s23, s14, s10
	s_cselect_b32 s24, -1, 0
	s_cmp_lg_u32 s24, 0
	s_subb_u32 s22, s22, 0
	s_cmp_ge_u32 s22, s11
	s_cselect_b32 s24, -1, 0
	s_cmp_ge_u32 s23, s10
	s_cselect_b32 s23, -1, 0
	s_cmp_eq_u32 s22, s11
	s_cselect_b32 s22, s23, s24
	s_add_u32 s23, s17, 1
	s_addc_u32 s24, s19, 0
	s_add_u32 s25, s17, 2
	s_addc_u32 s26, s19, 0
	s_cmp_lg_u32 s22, 0
	s_cselect_b32 s22, s25, s23
	s_cselect_b32 s23, s26, s24
	s_cmp_lg_u32 s21, 0
	s_subb_u32 s15, s15, s20
	s_cmp_ge_u32 s15, s11
	s_cselect_b32 s20, -1, 0
	s_cmp_ge_u32 s14, s10
	s_cselect_b32 s10, -1, 0
	s_cmp_eq_u32 s15, s11
	s_cselect_b32 s10, s10, s20
	s_cmp_lg_u32 s10, 0
	s_cselect_b32 s11, s23, s19
	s_cselect_b32 s10, s22, s17
	s_xor_b64 s[12:13], s[12:13], 0
	s_xor_b64 s[10:11], s[10:11], s[12:13]
	s_sub_u32 s10, s10, s12
	s_load_dwordx4 s[12:15], s[4:5], 0x44
	s_andn2_b32 vcc_lo, exec_lo, s16
	s_cbranch_vccnz .LBB58_3
.LBB58_2:
	v_cvt_f32_u32_e32 v1, s9
	s_sub_i32 s11, 0, s9
	v_rcp_iflag_f32_e32 v1, v1
	v_mul_f32_e32 v1, 0x4f7ffffe, v1
	v_cvt_u32_f32_e32 v1, v1
	v_readfirstlane_b32 s10, v1
	s_mul_i32 s11, s11, s10
	s_mul_hi_u32 s11, s10, s11
	s_add_i32 s10, s10, s11
	s_mul_hi_u32 s10, s18, s10
	s_mul_i32 s11, s10, s9
	s_waitcnt lgkmcnt(0)
	s_add_i32 s15, s10, 1
	s_sub_i32 s11, s18, s11
	s_sub_i32 s16, s11, s9
	s_cmp_ge_u32 s11, s9
	s_cselect_b32 s10, s15, s10
	s_cselect_b32 s11, s16, s11
	s_add_i32 s15, s10, 1
	s_cmp_ge_u32 s11, s9
	s_cselect_b32 s10, s15, s10
.LBB58_3:
	s_add_i32 s11, s6, 1
	s_mov_b32 s16, 0
	s_mul_hi_i32 s17, s3, s11
	s_mul_i32 s11, s3, s11
	s_cmp_lg_u64 s[16:17], 0
	s_cbranch_scc0 .LBB58_22
; %bb.4:
	s_add_u32 s18, s9, 0
	s_addc_u32 s19, 0, 0
	s_xor_b64 s[18:19], s[18:19], 0
	v_cvt_f32_u32_e32 v1, s18
	v_cvt_f32_u32_e32 v2, s19
	s_sub_u32 s21, 0, s18
	s_subb_u32 s22, 0, s19
	v_fmamk_f32 v1, v2, 0x4f800000, v1
	v_rcp_f32_e32 v1, v1
	v_mul_f32_e32 v1, 0x5f7ffffc, v1
	v_mul_f32_e32 v2, 0x2f800000, v1
	v_trunc_f32_e32 v2, v2
	v_fmamk_f32 v1, v2, 0xcf800000, v1
	v_cvt_u32_f32_e32 v2, v2
	v_cvt_u32_f32_e32 v1, v1
	s_waitcnt lgkmcnt(0)
	v_readfirstlane_b32 s15, v2
	v_readfirstlane_b32 s20, v1
	s_mul_i32 s23, s21, s15
	s_mul_hi_u32 s25, s21, s20
	s_mul_i32 s24, s22, s20
	s_add_i32 s23, s25, s23
	s_mul_i32 s26, s21, s20
	s_add_i32 s23, s23, s24
	s_mul_hi_u32 s25, s20, s26
	s_mul_i32 s28, s20, s23
	s_mul_hi_u32 s27, s15, s26
	s_mul_i32 s24, s15, s26
	s_mul_hi_u32 s26, s20, s23
	s_add_u32 s25, s25, s28
	s_addc_u32 s26, 0, s26
	s_mul_hi_u32 s29, s15, s23
	s_add_u32 s24, s25, s24
	s_mul_i32 s23, s15, s23
	s_addc_u32 s24, s26, s27
	s_addc_u32 s25, s29, 0
	s_add_u32 s23, s24, s23
	s_addc_u32 s24, 0, s25
	s_add_u32 s20, s20, s23
	s_cselect_b32 s23, -1, 0
	s_mul_hi_u32 s25, s21, s20
	s_cmp_lg_u32 s23, 0
	s_mul_i32 s23, s21, s20
	s_addc_u32 s15, s15, s24
	s_mul_i32 s22, s22, s20
	s_mul_i32 s21, s21, s15
	s_mul_hi_u32 s24, s20, s23
	s_add_i32 s21, s25, s21
	s_mul_hi_u32 s25, s15, s23
	s_add_i32 s21, s21, s22
	s_mul_i32 s22, s15, s23
	s_mul_i32 s27, s20, s21
	s_mul_hi_u32 s26, s20, s21
	s_add_u32 s24, s24, s27
	s_addc_u32 s26, 0, s26
	s_mul_hi_u32 s23, s15, s21
	s_add_u32 s22, s24, s22
	s_mul_i32 s21, s15, s21
	s_addc_u32 s22, s26, s25
	s_addc_u32 s23, s23, 0
	s_add_u32 s21, s22, s21
	s_addc_u32 s22, 0, s23
	s_add_u32 s24, s20, s21
	s_cselect_b32 s20, -1, 0
	s_cmp_lg_u32 s20, 0
	s_addc_u32 s15, s15, s22
	s_ashr_i32 s20, s17, 31
	s_add_u32 s22, s11, s20
	s_mov_b32 s21, s20
	s_addc_u32 s23, s17, s20
	s_xor_b64 s[22:23], s[22:23], s[20:21]
	s_mul_i32 s25, s22, s15
	s_mul_hi_u32 s26, s22, s24
	s_mul_hi_u32 s17, s22, s15
	;; [unrolled: 1-line block ×3, first 2 shown]
	s_mul_i32 s24, s23, s24
	s_add_u32 s25, s26, s25
	s_addc_u32 s17, 0, s17
	s_mul_hi_u32 s27, s23, s15
	s_add_u32 s24, s25, s24
	s_mul_i32 s15, s23, s15
	s_addc_u32 s17, s17, s28
	s_addc_u32 s24, s27, 0
	s_add_u32 s15, s17, s15
	s_addc_u32 s17, 0, s24
	s_mul_hi_u32 s24, s18, s15
	s_mul_i32 s25, s18, s17
	s_mul_i32 s26, s19, s15
	s_add_i32 s24, s24, s25
	s_mul_i32 s25, s18, s15
	s_add_i32 s24, s24, s26
	s_sub_i32 s26, s23, s24
	s_sub_u32 s22, s22, s25
	s_cselect_b32 s25, -1, 0
	s_cmp_lg_u32 s25, 0
	s_subb_u32 s26, s26, s19
	s_sub_u32 s27, s22, s18
	s_cselect_b32 s28, -1, 0
	s_cmp_lg_u32 s28, 0
	s_subb_u32 s26, s26, 0
	s_cmp_ge_u32 s26, s19
	s_cselect_b32 s28, -1, 0
	s_cmp_ge_u32 s27, s18
	s_cselect_b32 s27, -1, 0
	s_cmp_eq_u32 s26, s19
	s_cselect_b32 s26, s27, s28
	s_add_u32 s27, s15, 1
	s_addc_u32 s28, s17, 0
	s_add_u32 s29, s15, 2
	s_addc_u32 s30, s17, 0
	s_cmp_lg_u32 s26, 0
	s_cselect_b32 s26, s29, s27
	s_cselect_b32 s27, s30, s28
	s_cmp_lg_u32 s25, 0
	s_subb_u32 s23, s23, s24
	s_cmp_ge_u32 s23, s19
	s_cselect_b32 s24, -1, 0
	s_cmp_ge_u32 s22, s18
	s_cselect_b32 s18, -1, 0
	s_cmp_eq_u32 s23, s19
	s_cselect_b32 s18, s18, s24
	s_cmp_lg_u32 s18, 0
	s_cselect_b32 s19, s27, s17
	s_cselect_b32 s18, s26, s15
	s_xor_b64 s[20:21], s[20:21], 0
	s_xor_b64 s[18:19], s[18:19], s[20:21]
	s_sub_u32 s18, s18, s20
	s_andn2_b32 vcc_lo, exec_lo, s16
	s_cbranch_vccnz .LBB58_6
.LBB58_5:
	v_cvt_f32_u32_e32 v1, s9
	s_sub_i32 s16, 0, s9
	v_rcp_iflag_f32_e32 v1, v1
	v_mul_f32_e32 v1, 0x4f7ffffe, v1
	v_cvt_u32_f32_e32 v1, v1
	s_waitcnt lgkmcnt(0)
	v_readfirstlane_b32 s15, v1
	s_mul_i32 s16, s16, s15
	s_mul_hi_u32 s16, s15, s16
	s_add_i32 s15, s15, s16
	s_mul_hi_u32 s15, s11, s15
	s_mul_i32 s16, s15, s9
	s_sub_i32 s11, s11, s16
	s_add_i32 s16, s15, 1
	s_sub_i32 s17, s11, s9
	s_cmp_ge_u32 s11, s9
	s_cselect_b32 s15, s16, s15
	s_cselect_b32 s11, s17, s11
	s_add_i32 s16, s15, 1
	s_cmp_ge_u32 s11, s9
	s_cselect_b32 s18, s16, s15
.LBB58_6:
	s_cmp_eq_u32 s10, s18
	s_waitcnt lgkmcnt(0)
	s_mul_hi_u32 s11, s10, s12
	s_cselect_b32 s15, -1, 0
	s_add_i32 s11, s11, s10
	s_lshr_b32 s11, s11, s13
	s_mul_i32 s16, s11, s14
	s_cmp_eq_u32 s16, s10
	s_mul_hi_u32 s16, s18, s12
	s_cselect_b32 s17, -1, 0
	s_add_i32 s16, s16, s18
	s_lshr_b32 s16, s16, s13
	s_cmp_eq_u32 s11, s16
	s_mul_i32 s16, s16, s14
	s_cselect_b32 s19, -1, 0
	s_cmp_lg_u32 s16, s18
	s_cselect_b32 s16, -1, 0
	s_or_b32 s15, s15, s17
	s_and_b32 s16, s19, s16
	s_or_b32 s15, s15, s16
	s_and_b32 vcc_lo, exec_lo, s15
	s_cbranch_vccnz .LBB58_24
; %bb.7:
	s_load_dwordx8 s[20:27], s[4:5], 0x20
	s_waitcnt lgkmcnt(0)
	s_mul_hi_u32 s15, s10, s20
	s_add_i32 s15, s15, s10
	s_lshr_b32 s20, s15, s21
	s_load_dword s15, s[4:5], 0x40
	s_mul_i32 s16, s20, s22
	s_sub_i32 s16, s10, s16
	s_mul_hi_u32 s17, s16, s23
	s_add_i32 s17, s16, s17
	s_lshr_b32 s22, s17, s24
	s_mul_i32 s17, s22, s25
	s_sub_i32 s16, s16, s17
	s_mul_hi_u32 s17, s16, s26
	s_add_i32 s17, s16, s17
	s_lshr_b32 s23, s17, s27
	s_waitcnt lgkmcnt(0)
	s_mul_i32 s15, s23, s15
	s_sub_i32 s15, s16, s15
	s_mul_hi_u32 s16, s15, s12
	s_add_i32 s15, s15, s16
	s_lshr_b32 s24, s15, s13
	s_lshl_b32 s15, s24, 5
	s_add_i32 s15, s15, s7
	s_cmp_lt_i32 s15, s0
	s_cselect_b32 s15, -1, 0
	s_add_i32 s16, s23, s8
	s_cmp_lt_i32 s16, s2
	s_cselect_b32 s16, -1, 0
	s_and_b32 s15, s15, s16
	s_andn2_b32 vcc_lo, exec_lo, s15
	s_cbranch_vccnz .LBB58_24
; %bb.8:
	s_load_dwordx4 s[16:19], s[4:5], 0x0
	s_mov_b32 s4, 0
	s_lshl_b32 s26, s9, 7
	s_mov_b32 s27, s4
	s_add_i32 s15, s7, s8
	s_lshl_b64 s[26:27], s[26:27], 2
	s_mul_i32 s0, s20, s0
	s_mul_i32 s22, s22, s2
	v_cvt_f32_u32_e32 v4, s9
	v_rcp_iflag_f32_e32 v4, v4
	s_waitcnt lgkmcnt(0)
	s_add_u32 s20, s18, s26
	s_addc_u32 s21, s19, s27
	s_add_i32 s0, s0, s7
	v_mul_f32_e32 v4, 0x4f7ffffe, v4
	s_mul_i32 s0, s0, s1
	s_mul_i32 s1, s1, s24
	s_add_i32 s0, s0, s8
	s_lshl_b32 s1, s1, 11
	s_add_i32 s0, s0, s22
	v_cvt_u32_f32_e32 v4, v4
	s_add_i32 s0, s0, s23
	s_lshl_b32 s0, s0, 6
	s_add_i32 s1, s1, s0
	s_lshl_b32 s0, s6, 5
	v_or_b32_e32 v1, s1, v0
	s_add_i32 s0, s0, s15
	v_lshl_or_b32 v0, s15, 6, v0
	s_ashr_i32 s1, s0, 31
	v_ashrrev_i32_e32 v2, 31, v1
	s_lshl_b64 s[0:1], s[0:1], 3
	s_add_u32 s0, s18, s0
	s_addc_u32 s1, s19, s1
	v_lshlrev_b64 v[1:2], 2, v[1:2]
	s_load_dwordx2 s[0:1], s[0:1], 0x0
	s_add_i32 s8, s6, -1
	s_sub_i32 s2, 0, s9
	v_add_co_u32 v1, vcc_lo, s16, v1
	v_add_co_ci_u32_e64 v2, null, s17, v2, vcc_lo
	global_load_dword v3, v[1:2], off
	s_waitcnt lgkmcnt(0)
	v_mov_b32_e32 v5, s1
	v_mov_b32_e32 v6, s0
.LBB58_9:                               ; =>This Inner Loop Header: Depth=1
	s_mul_hi_i32 s5, s8, s3
	s_mul_i32 s6, s8, s3
	s_cmp_lg_u64 s[4:5], 0
	s_mov_b32 s7, -1
                                        ; implicit-def: $sgpr0_sgpr1
	s_cbranch_scc0 .LBB58_11
; %bb.10:                               ;   in Loop: Header=BB58_9 Depth=1
	s_add_u32 s0, s9, 0
	s_addc_u32 s1, 0, 0
	s_xor_b64 s[0:1], s[0:1], 0
	v_cvt_f32_u32_e32 v7, s0
	v_cvt_f32_u32_e32 v8, s1
	s_sub_u32 s17, 0, s0
	s_subb_u32 s22, 0, s1
	v_fmac_f32_e32 v7, 0x4f800000, v8
	v_rcp_f32_e32 v7, v7
	v_mul_f32_e32 v7, 0x5f7ffffc, v7
	v_mul_f32_e32 v8, 0x2f800000, v7
	v_trunc_f32_e32 v8, v8
	v_fmac_f32_e32 v7, 0xcf800000, v8
	v_cvt_u32_f32_e32 v8, v8
	v_cvt_u32_f32_e32 v7, v7
	v_readfirstlane_b32 s7, v8
	v_readfirstlane_b32 s16, v7
	s_mul_i32 s23, s17, s7
	s_mul_hi_u32 s25, s17, s16
	s_mul_i32 s24, s22, s16
	s_add_i32 s23, s25, s23
	s_mul_i32 s26, s17, s16
	s_add_i32 s23, s23, s24
	s_mul_hi_u32 s25, s16, s26
	s_mul_i32 s28, s16, s23
	s_mul_hi_u32 s27, s7, s26
	s_mul_i32 s24, s7, s26
	s_mul_hi_u32 s26, s16, s23
	s_add_u32 s25, s25, s28
	s_addc_u32 s26, 0, s26
	s_mul_hi_u32 s29, s7, s23
	s_add_u32 s24, s25, s24
	s_mul_i32 s23, s7, s23
	s_addc_u32 s24, s26, s27
	s_addc_u32 s25, s29, 0
	s_add_u32 s23, s24, s23
	s_addc_u32 s24, 0, s25
	s_add_u32 s16, s16, s23
	s_cselect_b32 s23, -1, 0
	s_mul_hi_u32 s25, s17, s16
	s_cmp_lg_u32 s23, 0
	s_mul_i32 s23, s17, s16
	s_addc_u32 s7, s7, s24
	s_mul_i32 s22, s22, s16
	s_mul_i32 s17, s17, s7
	s_mul_hi_u32 s24, s16, s23
	s_add_i32 s17, s25, s17
	s_mul_hi_u32 s25, s7, s23
	s_add_i32 s17, s17, s22
	s_mul_i32 s22, s7, s23
	s_mul_i32 s27, s16, s17
	s_mul_hi_u32 s26, s16, s17
	s_add_u32 s24, s24, s27
	s_addc_u32 s26, 0, s26
	s_mul_hi_u32 s23, s7, s17
	s_add_u32 s22, s24, s22
	s_mul_i32 s17, s7, s17
	s_addc_u32 s22, s26, s25
	s_addc_u32 s23, s23, 0
	s_add_u32 s17, s22, s17
	s_addc_u32 s22, 0, s23
	s_add_u32 s24, s16, s17
	s_cselect_b32 s16, -1, 0
	s_cmp_lg_u32 s16, 0
	s_addc_u32 s7, s7, s22
	s_ashr_i32 s16, s5, 31
	s_add_u32 s22, s6, s16
	s_mov_b32 s17, s16
	s_addc_u32 s23, s5, s16
	s_xor_b64 s[22:23], s[22:23], s[16:17]
	s_mul_i32 s25, s22, s7
	s_mul_hi_u32 s26, s22, s24
	s_mul_hi_u32 s5, s22, s7
	;; [unrolled: 1-line block ×3, first 2 shown]
	s_mul_i32 s24, s23, s24
	s_add_u32 s25, s26, s25
	s_addc_u32 s5, 0, s5
	s_mul_hi_u32 s27, s23, s7
	s_add_u32 s24, s25, s24
	s_mul_i32 s7, s23, s7
	s_addc_u32 s5, s5, s28
	s_addc_u32 s24, s27, 0
	s_add_u32 s5, s5, s7
	s_addc_u32 s7, 0, s24
	s_mul_hi_u32 s24, s0, s5
	s_mul_i32 s25, s0, s7
	s_mul_i32 s26, s1, s5
	s_add_i32 s24, s24, s25
	s_mul_i32 s25, s0, s5
	s_add_i32 s24, s24, s26
	s_sub_i32 s26, s23, s24
	s_sub_u32 s22, s22, s25
	s_cselect_b32 s25, -1, 0
	s_cmp_lg_u32 s25, 0
	s_subb_u32 s26, s26, s1
	s_sub_u32 s27, s22, s0
	s_cselect_b32 s28, -1, 0
	s_cmp_lg_u32 s28, 0
	s_subb_u32 s26, s26, 0
	s_cmp_ge_u32 s26, s1
	s_cselect_b32 s28, -1, 0
	s_cmp_ge_u32 s27, s0
	s_cselect_b32 s27, -1, 0
	s_cmp_eq_u32 s26, s1
	s_cselect_b32 s26, s27, s28
	s_add_u32 s27, s5, 1
	s_addc_u32 s28, s7, 0
	s_add_u32 s29, s5, 2
	s_addc_u32 s30, s7, 0
	s_cmp_lg_u32 s26, 0
	s_cselect_b32 s26, s29, s27
	s_cselect_b32 s27, s30, s28
	s_cmp_lg_u32 s25, 0
	s_subb_u32 s23, s23, s24
	s_cmp_ge_u32 s23, s1
	s_cselect_b32 s24, -1, 0
	s_cmp_ge_u32 s22, s0
	s_cselect_b32 s0, -1, 0
	s_cmp_eq_u32 s23, s1
	s_cselect_b32 s0, s0, s24
	s_cmp_lg_u32 s0, 0
	s_cselect_b32 s1, s27, s7
	s_cselect_b32 s0, s26, s5
	s_xor_b64 s[16:17], s[16:17], 0
	s_mov_b32 s7, 0
	s_xor_b64 s[0:1], s[0:1], s[16:17]
	s_sub_u32 s0, s0, s16
.LBB58_11:                              ;   in Loop: Header=BB58_9 Depth=1
	s_andn2_b32 vcc_lo, exec_lo, s7
	s_cbranch_vccnz .LBB58_13
; %bb.12:                               ;   in Loop: Header=BB58_9 Depth=1
	v_readfirstlane_b32 s0, v4
	s_mul_i32 s1, s2, s0
	s_mul_hi_u32 s1, s0, s1
	s_add_i32 s0, s0, s1
	s_mul_hi_u32 s0, s6, s0
	s_mul_i32 s1, s0, s9
	s_add_i32 s5, s0, 1
	s_sub_i32 s1, s6, s1
	s_sub_i32 s6, s1, s9
	s_cmp_ge_u32 s1, s9
	s_cselect_b32 s0, s5, s0
	s_cselect_b32 s1, s6, s1
	s_add_i32 s5, s0, 1
	s_cmp_ge_u32 s1, s9
	s_cselect_b32 s0, s5, s0
.LBB58_13:                              ;   in Loop: Header=BB58_9 Depth=1
	s_cmp_lg_u32 s10, s0
	s_mov_b32 s6, -1
                                        ; implicit-def: $sgpr5
                                        ; implicit-def: $vgpr8
                                        ; implicit-def: $vgpr7
                                        ; implicit-def: $vgpr9
                                        ; implicit-def: $sgpr1
                                        ; implicit-def: $sgpr16
	s_cbranch_scc0 .LBB58_18
; %bb.14:                               ;   in Loop: Header=BB58_9 Depth=1
	s_add_i32 s1, s8, s9
	s_mov_b32 s7, s4
	s_lshl_b32 s1, s1, 5
	s_mov_b32 s16, s10
	s_add_i32 s6, s1, s15
	s_mul_hi_u32 s1, s0, s12
	s_lshl_b64 s[6:7], s[6:7], 3
	s_add_u32 s6, s18, s6
	s_addc_u32 s7, s19, s7
	s_add_i32 s1, s1, s0
	s_lshr_b32 s1, s1, s13
	s_mul_i32 s5, s1, s14
	s_cmp_eq_u32 s5, s0
	s_cselect_b32 s5, -1, 0
	s_cmp_lt_u32 s1, s11
	s_cselect_b32 s1, -1, 0
	s_or_b32 s1, s1, s5
	s_mov_b32 s5, -1
	s_and_b32 vcc_lo, exec_lo, s1
	s_mov_b32 s1, s8
	s_cbranch_vccnz .LBB58_16
; %bb.15:                               ;   in Loop: Header=BB58_9 Depth=1
	s_add_i32 s1, s8, -1
	s_mov_b32 s5, 0
	s_mov_b32 s16, s0
.LBB58_16:                              ;   in Loop: Header=BB58_9 Depth=1
	v_lshl_add_u32 v7, s8, 11, v0
	s_load_dwordx2 s[6:7], s[6:7], 0x0
	v_ashrrev_i32_e32 v8, 31, v7
	v_lshlrev_b64 v[7:8], 2, v[7:8]
	v_add_co_u32 v7, vcc_lo, s20, v7
	v_add_co_ci_u32_e64 v8, null, s21, v8, vcc_lo
	s_waitcnt lgkmcnt(0)
	v_max_f32_e64 v9, s6, s6
	global_load_dword v8, v[7:8], off
	v_max_f32_e32 v7, v6, v6
	v_max_f32_e32 v7, v7, v9
	v_sub_f32_e32 v9, s6, v7
	v_sub_f32_e32 v10, v6, v7
	v_mul_f32_e32 v11, 0x3fb8aa3b, v9
	v_mul_f32_e32 v12, 0x3fb8aa3b, v10
	v_cmp_ngt_f32_e32 vcc_lo, 0xc2ce8ed0, v9
	v_fma_f32 v13, 0x3fb8aa3b, v9, -v11
	v_rndne_f32_e32 v14, v11
	v_fma_f32 v15, 0x3fb8aa3b, v10, -v12
	v_rndne_f32_e32 v16, v12
	v_fmac_f32_e32 v13, 0x32a5705f, v9
	v_sub_f32_e32 v11, v11, v14
	v_fmac_f32_e32 v15, 0x32a5705f, v10
	v_sub_f32_e32 v12, v12, v16
	v_add_f32_e32 v11, v11, v13
	v_cvt_i32_f32_e32 v13, v14
	v_add_f32_e32 v12, v12, v15
	v_cvt_i32_f32_e32 v14, v16
	v_exp_f32_e32 v11, v11
	v_exp_f32_e32 v12, v12
	v_ldexp_f32 v11, v11, v13
	v_ldexp_f32 v12, v12, v14
	v_cndmask_b32_e32 v11, 0, v11, vcc_lo
	v_cmp_ngt_f32_e32 vcc_lo, 0xc2ce8ed0, v10
	v_cndmask_b32_e32 v12, 0, v12, vcc_lo
	v_cmp_nlt_f32_e32 vcc_lo, 0x42b17218, v9
	v_cndmask_b32_e32 v11, 0x7f800000, v11, vcc_lo
	v_cmp_nlt_f32_e32 vcc_lo, 0x42b17218, v10
	v_cndmask_b32_e32 v12, 0x7f800000, v12, vcc_lo
	v_cmp_le_f32_e32 vcc_lo, 0xc1a00000, v9
	v_cndmask_b32_e32 v9, 0, v11, vcc_lo
	v_cmp_le_f32_e32 vcc_lo, 0xc1a00000, v10
	v_cndmask_b32_e32 v10, 0, v12, vcc_lo
	s_waitcnt vmcnt(0)
	v_mul_f32_e32 v8, v8, v9
	v_mul_f32_e32 v9, s7, v9
	v_fmac_f32_e32 v8, v3, v10
	v_fmac_f32_e32 v9, v5, v10
	s_cbranch_execz .LBB58_19
.LBB58_17:                              ;   in Loop: Header=BB58_9 Depth=1
	s_andn2_b32 vcc_lo, exec_lo, s5
	s_cbranch_vccnz .LBB58_20
	s_branch .LBB58_23
.LBB58_18:                              ;   in Loop: Header=BB58_9 Depth=1
	s_andn2_b32 vcc_lo, exec_lo, s6
	s_cbranch_vccnz .LBB58_17
.LBB58_19:                              ;   in Loop: Header=BB58_9 Depth=1
	v_mov_b32_e32 v9, v5
	v_mov_b32_e32 v7, v6
	s_waitcnt vmcnt(0)
	v_mov_b32_e32 v8, v3
	s_add_i32 s1, s8, -1
	s_mov_b32 s16, s10
	s_cbranch_execz .LBB58_23
.LBB58_20:                              ;   in Loop: Header=BB58_9 Depth=1
	v_mov_b32_e32 v5, v9
	v_mov_b32_e32 v6, v7
	s_waitcnt vmcnt(0)
	v_mov_b32_e32 v3, v8
	s_mov_b32 s10, s16
	s_mov_b32 s8, s1
	s_branch .LBB58_9
.LBB58_21:
                                        ; implicit-def: $sgpr10_sgpr11
	s_load_dwordx4 s[12:15], s[4:5], 0x44
	s_branch .LBB58_2
.LBB58_22:
                                        ; implicit-def: $sgpr18_sgpr19
	s_branch .LBB58_5
.LBB58_23:
	v_div_scale_f32 v0, null, v9, v9, v8
	s_waitcnt vmcnt(0)
	v_rcp_f32_e32 v3, v0
	v_fma_f32 v4, -v0, v3, 1.0
	v_fmac_f32_e32 v3, v4, v3
	v_div_scale_f32 v4, vcc_lo, v8, v9, v8
	v_mul_f32_e32 v5, v4, v3
	v_fma_f32 v6, -v0, v5, v4
	v_fmac_f32_e32 v5, v6, v3
	v_fma_f32 v0, -v0, v5, v4
	v_div_fmas_f32 v0, v0, v3, v5
	v_div_fixup_f32 v0, v0, v9, v8
	global_store_dword v[1:2], v0, off
.LBB58_24:
	s_endpgm
	.section	.rodata,"a",@progbits
	.p2align	6, 0x0
	.amdhsa_kernel _ZL33flash_attn_stream_k_fixup_generalILi64ELi32ELi1EEvPfPK15HIP_vector_typeIfLj2EEiiiiS1_IjLj3EES5_S5_S5_
		.amdhsa_group_segment_fixed_size 0
		.amdhsa_private_segment_fixed_size 0
		.amdhsa_kernarg_size 336
		.amdhsa_user_sgpr_count 6
		.amdhsa_user_sgpr_private_segment_buffer 1
		.amdhsa_user_sgpr_dispatch_ptr 0
		.amdhsa_user_sgpr_queue_ptr 0
		.amdhsa_user_sgpr_kernarg_segment_ptr 1
		.amdhsa_user_sgpr_dispatch_id 0
		.amdhsa_user_sgpr_flat_scratch_init 0
		.amdhsa_user_sgpr_private_segment_size 0
		.amdhsa_wavefront_size32 1
		.amdhsa_uses_dynamic_stack 0
		.amdhsa_system_sgpr_private_segment_wavefront_offset 0
		.amdhsa_system_sgpr_workgroup_id_x 1
		.amdhsa_system_sgpr_workgroup_id_y 1
		.amdhsa_system_sgpr_workgroup_id_z 1
		.amdhsa_system_sgpr_workgroup_info 0
		.amdhsa_system_vgpr_workitem_id 0
		.amdhsa_next_free_vgpr 17
		.amdhsa_next_free_sgpr 31
		.amdhsa_reserve_vcc 1
		.amdhsa_reserve_flat_scratch 0
		.amdhsa_float_round_mode_32 0
		.amdhsa_float_round_mode_16_64 0
		.amdhsa_float_denorm_mode_32 3
		.amdhsa_float_denorm_mode_16_64 3
		.amdhsa_dx10_clamp 1
		.amdhsa_ieee_mode 1
		.amdhsa_fp16_overflow 0
		.amdhsa_workgroup_processor_mode 1
		.amdhsa_memory_ordered 1
		.amdhsa_forward_progress 1
		.amdhsa_shared_vgpr_count 0
		.amdhsa_exception_fp_ieee_invalid_op 0
		.amdhsa_exception_fp_denorm_src 0
		.amdhsa_exception_fp_ieee_div_zero 0
		.amdhsa_exception_fp_ieee_overflow 0
		.amdhsa_exception_fp_ieee_underflow 0
		.amdhsa_exception_fp_ieee_inexact 0
		.amdhsa_exception_int_div_zero 0
	.end_amdhsa_kernel
	.section	.text._ZL33flash_attn_stream_k_fixup_generalILi64ELi32ELi1EEvPfPK15HIP_vector_typeIfLj2EEiiiiS1_IjLj3EES5_S5_S5_,"axG",@progbits,_ZL33flash_attn_stream_k_fixup_generalILi64ELi32ELi1EEvPfPK15HIP_vector_typeIfLj2EEiiiiS1_IjLj3EES5_S5_S5_,comdat
.Lfunc_end58:
	.size	_ZL33flash_attn_stream_k_fixup_generalILi64ELi32ELi1EEvPfPK15HIP_vector_typeIfLj2EEiiiiS1_IjLj3EES5_S5_S5_, .Lfunc_end58-_ZL33flash_attn_stream_k_fixup_generalILi64ELi32ELi1EEvPfPK15HIP_vector_typeIfLj2EEiiiiS1_IjLj3EES5_S5_S5_
                                        ; -- End function
	.set _ZL33flash_attn_stream_k_fixup_generalILi64ELi32ELi1EEvPfPK15HIP_vector_typeIfLj2EEiiiiS1_IjLj3EES5_S5_S5_.num_vgpr, 17
	.set _ZL33flash_attn_stream_k_fixup_generalILi64ELi32ELi1EEvPfPK15HIP_vector_typeIfLj2EEiiiiS1_IjLj3EES5_S5_S5_.num_agpr, 0
	.set _ZL33flash_attn_stream_k_fixup_generalILi64ELi32ELi1EEvPfPK15HIP_vector_typeIfLj2EEiiiiS1_IjLj3EES5_S5_S5_.numbered_sgpr, 31
	.set _ZL33flash_attn_stream_k_fixup_generalILi64ELi32ELi1EEvPfPK15HIP_vector_typeIfLj2EEiiiiS1_IjLj3EES5_S5_S5_.num_named_barrier, 0
	.set _ZL33flash_attn_stream_k_fixup_generalILi64ELi32ELi1EEvPfPK15HIP_vector_typeIfLj2EEiiiiS1_IjLj3EES5_S5_S5_.private_seg_size, 0
	.set _ZL33flash_attn_stream_k_fixup_generalILi64ELi32ELi1EEvPfPK15HIP_vector_typeIfLj2EEiiiiS1_IjLj3EES5_S5_S5_.uses_vcc, 1
	.set _ZL33flash_attn_stream_k_fixup_generalILi64ELi32ELi1EEvPfPK15HIP_vector_typeIfLj2EEiiiiS1_IjLj3EES5_S5_S5_.uses_flat_scratch, 0
	.set _ZL33flash_attn_stream_k_fixup_generalILi64ELi32ELi1EEvPfPK15HIP_vector_typeIfLj2EEiiiiS1_IjLj3EES5_S5_S5_.has_dyn_sized_stack, 0
	.set _ZL33flash_attn_stream_k_fixup_generalILi64ELi32ELi1EEvPfPK15HIP_vector_typeIfLj2EEiiiiS1_IjLj3EES5_S5_S5_.has_recursion, 0
	.set _ZL33flash_attn_stream_k_fixup_generalILi64ELi32ELi1EEvPfPK15HIP_vector_typeIfLj2EEiiiiS1_IjLj3EES5_S5_S5_.has_indirect_call, 0
	.section	.AMDGPU.csdata,"",@progbits
; Kernel info:
; codeLenInByte = 2936
; TotalNumSgprs: 33
; NumVgprs: 17
; ScratchSize: 0
; MemoryBound: 0
; FloatMode: 240
; IeeeMode: 1
; LDSByteSize: 0 bytes/workgroup (compile time only)
; SGPRBlocks: 0
; VGPRBlocks: 2
; NumSGPRsForWavesPerEU: 33
; NumVGPRsForWavesPerEU: 17
; Occupancy: 16
; WaveLimiterHint : 0
; COMPUTE_PGM_RSRC2:SCRATCH_EN: 0
; COMPUTE_PGM_RSRC2:USER_SGPR: 6
; COMPUTE_PGM_RSRC2:TRAP_HANDLER: 0
; COMPUTE_PGM_RSRC2:TGID_X_EN: 1
; COMPUTE_PGM_RSRC2:TGID_Y_EN: 1
; COMPUTE_PGM_RSRC2:TGID_Z_EN: 1
; COMPUTE_PGM_RSRC2:TIDIG_COMP_CNT: 0
	.section	.text._ZL15flash_attn_tileILi64ELi64ELi16ELi1ELb0EEvPKcS1_S1_S1_S1_PKiPfP15HIP_vector_typeIfLj2EEffffjfiS5_IjLj3EEiiiiiiiiiiiliiliiiiil,"axG",@progbits,_ZL15flash_attn_tileILi64ELi64ELi16ELi1ELb0EEvPKcS1_S1_S1_S1_PKiPfP15HIP_vector_typeIfLj2EEffffjfiS5_IjLj3EEiiiiiiiiiiiliiliiiiil,comdat
	.globl	_ZL15flash_attn_tileILi64ELi64ELi16ELi1ELb0EEvPKcS1_S1_S1_S1_PKiPfP15HIP_vector_typeIfLj2EEffffjfiS5_IjLj3EEiiiiiiiiiiiliiliiiiil ; -- Begin function _ZL15flash_attn_tileILi64ELi64ELi16ELi1ELb0EEvPKcS1_S1_S1_S1_PKiPfP15HIP_vector_typeIfLj2EEffffjfiS5_IjLj3EEiiiiiiiiiiiliiliiiiil
	.p2align	8
	.type	_ZL15flash_attn_tileILi64ELi64ELi16ELi1ELb0EEvPKcS1_S1_S1_S1_PKiPfP15HIP_vector_typeIfLj2EEffffjfiS5_IjLj3EEiiiiiiiiiiiliiliiiiil,@function
_ZL15flash_attn_tileILi64ELi64ELi16ELi1ELb0EEvPKcS1_S1_S1_S1_PKiPfP15HIP_vector_typeIfLj2EEffffjfiS5_IjLj3EEiiiiiiiiiiiliiliiiiil: ; @_ZL15flash_attn_tileILi64ELi64ELi16ELi1ELb0EEvPKcS1_S1_S1_S1_PKiPfP15HIP_vector_typeIfLj2EEffffjfiS5_IjLj3EEiiiiiiiiiiiliiliiiiil
; %bb.0:
	s_add_u32 s6, s6, s11
	s_addc_u32 s7, s7, 0
	s_setreg_b32 hwreg(HW_REG_FLAT_SCR_LO), s6
	s_setreg_b32 hwreg(HW_REG_FLAT_SCR_HI), s7
	s_clause 0x1
	s_load_dwordx4 s[28:31], s[4:5], 0x5c
	s_load_dwordx2 s[48:49], s[4:5], 0x80
	s_add_u32 s0, s0, s11
	s_addc_u32 s1, s1, 0
	s_mov_b32 s34, s9
	s_load_dwordx2 s[50:51], s[4:5], 0xb8
	s_mov_b64 s[46:47], 0
	s_waitcnt lgkmcnt(0)
	v_cvt_f32_u32_e32 v2, s31
	s_sub_i32 s7, 0, s31
	v_rcp_iflag_f32_e32 v2, v2
	v_mul_f32_e32 v2, 0x4f7ffffe, v2
	v_cvt_u32_f32_e32 v2, v2
	v_readfirstlane_b32 s6, v2
	s_mul_i32 s7, s7, s6
	s_mul_hi_u32 s7, s6, s7
	s_add_i32 s6, s6, s7
	s_mul_hi_u32 s6, s10, s6
	s_mul_i32 s7, s6, s31
	s_add_i32 s9, s6, 1
	s_sub_i32 s7, s10, s7
	s_sub_i32 s11, s7, s31
	s_cmp_ge_u32 s7, s31
	s_cselect_b32 s6, s9, s6
	s_cselect_b32 s7, s11, s7
	s_add_i32 s9, s6, 1
	s_cmp_ge_u32 s7, s31
	s_cselect_b32 s33, s9, s6
	s_abs_i32 s6, s49
	s_abs_i32 s12, s31
	v_cvt_f32_u32_e32 v2, s6
	s_sub_i32 s9, 0, s6
	s_mul_i32 s11, s33, s31
	s_sub_i32 s44, s10, s11
	v_rcp_iflag_f32_e32 v2, v2
	v_mul_f32_e32 v2, 0x4f7ffffe, v2
	v_cvt_u32_f32_e32 v2, v2
	v_readfirstlane_b32 s7, v2
	s_mul_i32 s9, s9, s7
	s_mul_hi_u32 s9, s7, s9
	s_add_i32 s7, s7, s9
	s_xor_b32 s9, s31, s49
	s_mul_hi_u32 s7, s12, s7
	s_ashr_i32 s9, s9, 31
	s_mul_i32 s10, s7, s6
	s_add_i32 s11, s7, 1
	s_sub_i32 s10, s12, s10
	s_sub_i32 s12, s10, s6
	s_cmp_ge_u32 s10, s6
	s_cselect_b32 s7, s11, s7
	s_cselect_b32 s10, s12, s10
	s_add_i32 s11, s7, 1
	s_cmp_ge_u32 s10, s6
	s_load_dwordx16 s[12:27], s[4:5], 0x0
	s_cselect_b32 s6, s11, s7
	s_abs_i32 s49, s44
	s_xor_b32 s6, s6, s9
	s_sub_i32 s10, s6, s9
	s_abs_i32 s35, s10
	v_cvt_f32_u32_e32 v2, s35
	s_sub_i32 s7, 0, s35
	v_rcp_iflag_f32_e32 v2, v2
	v_mul_f32_e32 v2, 0x4f7ffffe, v2
	v_cvt_u32_f32_e32 v2, v2
	v_readfirstlane_b32 s6, v2
	s_mul_i32 s7, s7, s6
	s_mul_hi_u32 s7, s6, s7
	s_add_i32 s6, s6, s7
	s_waitcnt lgkmcnt(0)
	s_cmp_eq_u64 s[18:19], 0
	s_cbranch_scc1 .LBB59_2
; %bb.1:
	s_abs_i32 s7, s50
	s_abs_i32 s38, s33
	v_cvt_f32_u32_e32 v2, s7
	s_sub_i32 s11, 0, s7
	s_load_dwordx2 s[36:37], s[4:5], 0xc8
	v_rcp_iflag_f32_e32 v2, v2
	v_mul_f32_e32 v2, 0x4f7ffffe, v2
	v_cvt_u32_f32_e32 v2, v2
	v_readfirstlane_b32 s9, v2
	s_mul_i32 s11, s11, s9
	s_mul_hi_u32 s11, s9, s11
	s_add_i32 s9, s9, s11
	s_ashr_i32 s11, s33, 31
	s_mul_hi_u32 s9, s38, s9
	s_mul_i32 s9, s9, s7
	s_sub_i32 s9, s38, s9
	s_sub_i32 s38, s9, s7
	s_cmp_ge_u32 s9, s7
	s_cselect_b32 s9, s38, s9
	s_sub_i32 s38, s9, s7
	s_cmp_ge_u32 s9, s7
	s_cselect_b32 s7, s38, s9
	s_xor_b32 s7, s7, s11
	s_sub_i32 s7, s7, s11
	s_ashr_i32 s9, s7, 31
	s_waitcnt lgkmcnt(0)
	s_mul_hi_u32 s11, s36, s7
	s_mul_i32 s9, s36, s9
	s_add_i32 s9, s11, s9
	s_mul_i32 s11, s37, s7
	s_mul_i32 s7, s36, s7
	s_add_i32 s9, s9, s11
	s_add_u32 s46, s18, s7
	s_addc_u32 s47, s19, s9
.LBB59_2:
	s_clause 0x1
	s_load_dwordx4 s[36:39], s[4:5], 0x40
	s_load_dword s7, s[4:5], 0x50
	v_mov_b32_e32 v51, 1.0
	s_mul_hi_u32 s18, s49, s6
	s_waitcnt lgkmcnt(0)
	v_cmp_le_f32_e64 s9, s37, 0
	s_and_b32 vcc_lo, exec_lo, s9
	s_cbranch_vccnz .LBB59_4
; %bb.3:
	v_sub_co_u32 v3, vcc_lo, s44, s7
	v_mov_b32_e32 v2, s38
	s_add_i32 s6, s44, 1
	v_lshlrev_b32_e32 v3, 1, v3
	v_cndmask_b32_e32 v2, s39, v2, vcc_lo
	v_or_b32_e32 v3, 1, v3
	v_cndmask_b32_e64 v3, v3, s6, vcc_lo
	v_cmp_neq_f32_e32 vcc_lo, 1.0, v2
	s_mov_b32 s6, 0x3e76c4e1
	v_cvt_f32_i32_e32 v3, v3
	v_cndmask_b32_e32 v4, 1.0, v3, vcc_lo
	v_cmp_neq_f32_e32 vcc_lo, 0, v4
	v_cndmask_b32_e32 v5, 1.0, v2, vcc_lo
	v_frexp_mant_f32_e64 v2, |v5|
	v_cmp_eq_f32_e64 s9, 0, v5
	v_cmp_gt_f32_e32 vcc_lo, 0x3f2aaaab, v2
	v_cndmask_b32_e64 v3, 1.0, 2.0, vcc_lo
	v_mul_f32_e32 v2, v2, v3
	v_add_f32_e32 v3, 1.0, v2
	v_add_f32_e32 v7, -1.0, v2
	v_rcp_f32_e32 v6, v3
	v_add_f32_e32 v9, -1.0, v3
	v_sub_f32_e32 v2, v2, v9
	v_mul_f32_e32 v8, v7, v6
	v_mul_f32_e32 v10, v3, v8
	v_fma_f32 v3, v8, v3, -v10
	v_fmac_f32_e32 v3, v8, v2
	v_add_f32_e32 v2, v10, v3
	v_sub_f32_e32 v9, v7, v2
	v_sub_f32_e32 v10, v2, v10
	;; [unrolled: 1-line block ×5, first 2 shown]
	v_add_f32_e32 v2, v3, v2
	v_add_f32_e32 v2, v9, v2
	v_mul_f32_e32 v2, v6, v2
	v_add_f32_e32 v6, v8, v2
	v_sub_f32_e32 v3, v6, v8
	v_mul_f32_e32 v7, v6, v6
	v_sub_f32_e32 v8, v2, v3
	v_fma_f32 v2, v6, v6, -v7
	v_add_f32_e32 v3, v8, v8
	v_fmac_f32_e32 v2, v6, v3
	v_add_f32_e32 v9, v7, v2
	v_fmaak_f32 v3, s6, v9, 0x3e91f4c4
	v_sub_f32_e32 v7, v9, v7
	v_mul_f32_e32 v14, v6, v9
	v_fmaak_f32 v3, v9, v3, 0x3ecccdef
	v_sub_f32_e32 v7, v2, v7
	v_fma_f32 v15, v9, v6, -v14
	v_mul_f32_e32 v10, v9, v3
	v_fmac_f32_e32 v15, v9, v8
	v_ldexp_f32 v8, v8, 1
	v_fma_f32 v11, v9, v3, -v10
	v_fmac_f32_e32 v15, v7, v6
	v_fmac_f32_e32 v11, v7, v3
	v_cvt_f64_f32_e64 v[2:3], |v5|
	v_add_f32_e32 v12, v10, v11
	v_sub_f32_e32 v10, v12, v10
	v_add_f32_e32 v13, 0x3f2aaaaa, v12
	v_sub_f32_e32 v10, v11, v10
	v_add_f32_e32 v11, 0xbf2aaaaa, v13
	v_add_f32_e32 v10, 0x31739010, v10
	v_sub_f32_e32 v11, v12, v11
	v_frexp_exp_i32_f64_e32 v2, v[2:3]
	v_add_f32_e32 v9, v10, v11
	v_add_f32_e32 v10, v14, v15
	;; [unrolled: 1-line block ×3, first 2 shown]
	v_sub_f32_e32 v12, v10, v14
	v_sub_f32_e32 v3, v13, v7
	v_mul_f32_e32 v11, v10, v7
	v_sub_f32_e32 v12, v15, v12
	v_add_f32_e32 v3, v9, v3
	v_fma_f32 v9, v10, v7, -v11
	v_subrev_co_ci_u32_e64 v2, null, 0, v2, vcc_lo
	v_fmac_f32_e32 v9, v10, v3
	v_ldexp_f32 v3, v6, 1
	v_cvt_f32_i32_e32 v2, v2
	v_fmac_f32_e32 v9, v12, v7
	v_add_f32_e32 v6, v11, v9
	v_add_f32_e32 v7, v3, v6
	v_sub_f32_e32 v10, v6, v11
	v_mul_f32_e32 v11, 0x3f317218, v2
	v_sub_f32_e32 v3, v7, v3
	v_sub_f32_e32 v9, v9, v10
	v_fma_f32 v10, 0x3f317218, v2, -v11
	v_sub_f32_e32 v3, v6, v3
	v_add_f32_e32 v6, v8, v9
	v_fmamk_f32 v2, v2, 0xb102e308, v10
	v_add_f32_e32 v3, v6, v3
	v_add_f32_e32 v6, v11, v2
	;; [unrolled: 1-line block ×3, first 2 shown]
	v_sub_f32_e32 v11, v6, v11
	v_add_f32_e32 v9, v6, v8
	v_sub_f32_e32 v7, v8, v7
	v_sub_f32_e32 v2, v2, v11
	;; [unrolled: 1-line block ×6, first 2 shown]
	v_add_f32_e32 v8, v2, v3
	v_sub_f32_e32 v6, v6, v12
	v_add_f32_e32 v6, v7, v6
	v_sub_f32_e32 v7, v8, v2
	;; [unrolled: 2-line block ×3, first 2 shown]
	v_sub_f32_e32 v3, v3, v7
	v_add_f32_e32 v10, v9, v6
	v_sub_f32_e32 v2, v2, v8
	v_sub_f32_e32 v7, v10, v9
	v_add_f32_e32 v2, v3, v2
	v_sub_f32_e32 v3, v6, v7
	v_add_f32_e32 v2, v2, v3
	v_add_f32_e32 v3, v10, v2
	v_sub_f32_e32 v6, v3, v10
	v_mul_f32_e32 v7, v4, v3
	v_sub_f32_e32 v2, v2, v6
	v_fma_f32 v3, v4, v3, -v7
	v_cmp_class_f32_e64 vcc_lo, v7, 0x204
	v_fmac_f32_e32 v3, v4, v2
	v_add_f32_e32 v2, v7, v3
	v_cndmask_b32_e32 v6, v2, v7, vcc_lo
	v_sub_f32_e32 v2, v2, v7
	v_cmp_eq_f32_e32 vcc_lo, 0x42b17218, v6
	v_sub_f32_e32 v2, v3, v2
	v_cndmask_b32_e64 v8, 0, 0x37000000, vcc_lo
	v_cmp_neq_f32_e64 vcc_lo, 0x7f800000, |v6|
	v_sub_f32_e32 v9, v6, v8
	v_cndmask_b32_e32 v2, 0, v2, vcc_lo
	v_trunc_f32_e32 v6, v4
	v_mul_f32_e32 v10, 0x3fb8aa3b, v9
	v_cmp_ngt_f32_e32 vcc_lo, 0xc2ce8ed0, v9
	v_add_f32_e32 v2, v8, v2
	v_fma_f32 v11, 0x3fb8aa3b, v9, -v10
	v_rndne_f32_e32 v12, v10
	v_fmamk_f32 v11, v9, 0x32a5705f, v11
	v_sub_f32_e32 v10, v10, v12
	v_cvt_i32_f32_e32 v7, v12
	v_add_f32_e32 v10, v10, v11
	v_exp_f32_e32 v10, v10
	v_ldexp_f32 v3, v10, v7
	v_mul_f32_e32 v7, 0.5, v4
	v_cndmask_b32_e32 v3, 0, v3, vcc_lo
	v_cmp_nlt_f32_e32 vcc_lo, 0x42b17218, v9
	v_trunc_f32_e32 v10, v7
	v_cndmask_b32_e32 v3, 0x7f800000, v3, vcc_lo
	v_cmp_eq_f32_e32 vcc_lo, v6, v4
	v_cmp_neq_f32_e64 s6, v10, v7
	v_fma_f32 v2, v3, v2, v3
	v_cmp_class_f32_e64 s7, v3, 0x204
	s_and_b32 s6, vcc_lo, s6
	v_cndmask_b32_e64 v6, 1.0, v5, s6
	v_cndmask_b32_e64 v2, v2, v3, s7
	v_cmp_gt_f32_e64 s7, 0, v4
	v_bfi_b32 v2, 0x7fffffff, v2, v6
	s_xor_b32 s7, s7, s9
	v_cndmask_b32_e64 v6, 0, v5, s6
	v_cndmask_b32_e64 v3, 0x7f800000, 0, s7
	v_cmp_class_f32_e64 s6, v5, 0x204
	v_cndmask_b32_e32 v4, 0x7fc00000, v2, vcc_lo
	v_cmp_gt_f32_e32 vcc_lo, 0, v5
	v_bfi_b32 v3, 0x7fffffff, v3, v6
	v_cndmask_b32_e32 v2, v2, v4, vcc_lo
	s_or_b32 vcc_lo, s9, s6
	v_cndmask_b32_e32 v2, v2, v3, vcc_lo
	v_cmp_o_f32_e32 vcc_lo, v5, v5
	v_cndmask_b32_e32 v51, 0x7fc00000, v2, vcc_lo
.LBB59_4:
	v_lshlrev_b32_e32 v43, 2, v1
	s_lshl_b32 s19, s8, 4
	s_load_dwordx4 s[40:43], s[4:5], 0x70
	s_ashr_i32 s45, s44, 31
	s_ashr_i32 s37, s10, 31
	v_or_b32_e32 v41, 1, v43
	v_or_b32_e32 v40, 2, v43
	v_add_nc_u32_e32 v45, s19, v43
	v_or_b32_e32 v38, 3, v43
	v_lshlrev_b32_e32 v57, 9, v1
	v_add_nc_u32_e32 v44, s19, v41
	v_add_nc_u32_e32 v42, s19, v40
	v_mul_hi_u32 v2, v45, s28
	v_add_nc_u32_e32 v39, s19, v38
	v_mov_b32_e32 v91, 0
	v_mul_hi_u32 v3, v44, s28
	v_mul_hi_u32 v4, v42, s28
	;; [unrolled: 1-line block ×3, first 2 shown]
	v_add_nc_u32_e32 v2, v45, v2
	s_waitcnt lgkmcnt(0)
	s_mul_i32 s6, s33, s42
	v_add_nc_u32_e32 v3, v44, v3
	v_add_nc_u32_e32 v4, v42, v4
	v_lshrrev_b32_e32 v2, s29, v2
	v_add_nc_u32_e32 v5, v39, v5
	s_mul_i32 s7, s44, s41
	v_lshrrev_b32_e32 v3, s29, v3
	v_lshrrev_b32_e32 v4, s29, v4
	v_mul_lo_u32 v2, v2, s30
	v_lshrrev_b32_e32 v5, s29, v5
	s_ashr_i32 s9, s6, 31
	v_mul_lo_u32 v6, v3, s30
	v_mul_lo_u32 v4, v4, s30
	s_add_u32 s6, s12, s6
	v_mul_lo_u32 v5, v5, s30
	s_addc_u32 s9, s13, s9
	s_ashr_i32 s10, s7, 31
	s_add_u32 s11, s6, s7
	v_sub_nc_u32_e32 v56, v45, v2
	v_sub_nc_u32_e32 v13, v44, v6
	s_addc_u32 s9, s9, s10
	s_ashr_i32 s41, s40, 31
	v_sub_nc_u32_e32 v14, v42, v4
	s_lshr_b64 s[6:7], s[40:41], 2
	v_sub_nc_u32_e32 v15, v39, v5
	v_mad_u64_u32 v[2:3], null, s6, v56, 0
	v_mad_u64_u32 v[4:5], null, s6, v13, 0
	;; [unrolled: 1-line block ×4, first 2 shown]
	s_lshr_b32 s6, s41, 2
	v_lshlrev_b32_e32 v6, 3, v0
	v_mad_u64_u32 v[11:12], null, s6, v56, v[3:4]
	v_mov_b32_e32 v3, v5
	v_mov_b32_e32 v5, v8
	;; [unrolled: 1-line block ×3, first 2 shown]
	s_cmp_eq_u64 s[22:23], 0
	v_mad_u64_u32 v[12:13], null, s6, v13, v[3:4]
	v_mad_u64_u32 v[13:14], null, s6, v14, v[5:6]
	v_mov_b32_e32 v3, v11
	v_mad_u64_u32 v[10:11], null, s6, v15, v[8:9]
	v_add_co_u32 v14, s7, s11, v6
	v_mov_b32_e32 v5, v12
	v_mov_b32_e32 v8, v13
	v_lshlrev_b64 v[2:3], 2, v[2:3]
	v_add_co_ci_u32_e64 v16, null, s9, 0, s7
	v_lshlrev_b64 v[4:5], 2, v[4:5]
	v_lshlrev_b64 v[7:8], 2, v[7:8]
	;; [unrolled: 1-line block ×3, first 2 shown]
	v_add_co_u32 v2, vcc_lo, v14, v2
	v_add_co_ci_u32_e64 v3, null, v16, v3, vcc_lo
	v_add_co_u32 v4, vcc_lo, v14, v4
	v_add_co_ci_u32_e64 v5, null, v16, v5, vcc_lo
	;; [unrolled: 2-line block ×3, first 2 shown]
	v_add_co_u32 v9, vcc_lo, v14, v9
	global_load_dwordx2 v[2:3], v[2:3], off
	v_add_co_ci_u32_e64 v10, null, v16, v10, vcc_lo
	s_clause 0x2
	global_load_dwordx2 v[4:5], v[4:5], off
	global_load_dwordx2 v[7:8], v[7:8], off
	;; [unrolled: 1-line block ×3, first 2 shown]
	v_lshl_or_b32 v11, v0, 2, 0x5800
	s_mov_b32 s7, 0
	v_add_nc_u32_e32 v12, v11, v57
	v_lshl_add_u32 v13, v41, 7, v11
	v_lshl_add_u32 v14, v40, 7, v11
	;; [unrolled: 1-line block ×3, first 2 shown]
	s_waitcnt vmcnt(3)
	v_fma_mixlo_f16 v3, s36, v3, 0
	v_fma_mixlo_f16 v2, s36, v2, 0
	s_waitcnt vmcnt(2)
	v_fma_mixlo_f16 v5, s36, v5, 0
	s_waitcnt vmcnt(1)
	;; [unrolled: 2-line block ×3, first 2 shown]
	v_fma_mixlo_f16 v10, s36, v10, 0
	v_lshlrev_b32_e32 v3, 16, v3
	v_fma_mixlo_f16 v4, s36, v4, 0
	v_lshlrev_b32_e32 v5, 16, v5
	;; [unrolled: 2-line block ×4, first 2 shown]
	v_or_b32_sdwa v2, v3, v2 dst_sel:DWORD dst_unused:UNUSED_PAD src0_sel:DWORD src1_sel:WORD_0
	v_or_b32_sdwa v3, v5, v4 dst_sel:DWORD dst_unused:UNUSED_PAD src0_sel:DWORD src1_sel:WORD_0
	;; [unrolled: 1-line block ×4, first 2 shown]
	ds_write_b32 v12, v2
	ds_write_b32 v13, v3
	;; [unrolled: 1-line block ×4, first 2 shown]
	s_waitcnt lgkmcnt(0)
	s_barrier
	buffer_gl0_inv
	s_cbranch_scc1 .LBB59_6
; %bb.5:
	s_load_dword s6, s[4:5], 0xd0
	s_waitcnt lgkmcnt(0)
	s_mul_i32 s6, s6, s33
	s_add_i32 s6, s6, s8
	s_lshl_b64 s[6:7], s[6:7], 2
	s_add_u32 s6, s22, s6
	s_addc_u32 s7, s23, s7
	s_load_dword s48, s[6:7], 0x0
.LBB59_6:
	s_clause 0x2
	s_load_dwordx2 s[6:7], s[4:5], 0x8c
	s_load_dwordx4 s[8:11], s[4:5], 0x98
	s_load_dwordx2 s[38:39], s[4:5], 0xa8
	s_ashr_i32 s13, s33, 31
	s_ashr_i32 s36, s51, 1
	s_mul_i32 s23, s18, s35
	v_lshrrev_b32_e32 v59, 3, v0
	v_lshlrev_b32_e32 v47, 2, v0
	v_mul_u32_u24_e32 v58, 0x90, v0
	v_or_b32_e32 v54, 1, v45
	v_or_b32_e32 v53, 2, v45
	;; [unrolled: 1-line block ×3, first 2 shown]
	v_mbcnt_lo_u32_b32 v46, -1, 0
	s_waitcnt lgkmcnt(0)
	s_ashr_i32 s12, s6, 2
	s_ashr_i32 s22, s10, 2
	s_mul_hi_u32 s6, s8, s33
	s_mul_i32 s10, s8, s13
	s_mul_i32 s9, s9, s33
	s_add_i32 s6, s6, s10
	s_mul_i32 s8, s8, s33
	s_add_i32 s6, s6, s9
	s_add_u32 s8, s14, s8
	s_addc_u32 s6, s15, s6
	s_sub_i32 s10, s49, s23
	s_xor_b32 s9, s45, s37
	s_add_i32 s14, s18, 1
	s_sub_i32 s15, s10, s35
	s_cmp_ge_u32 s10, s35
	s_mul_i32 s13, s38, s13
	s_cselect_b32 s14, s14, s18
	s_cselect_b32 s10, s15, s10
	s_add_i32 s15, s14, 1
	s_cmp_ge_u32 s10, s35
	s_mul_i32 s18, s38, s33
	s_cselect_b32 s10, s15, s14
	s_mul_hi_u32 s14, s38, s33
	s_xor_b32 s10, s10, s9
	s_mul_i32 s15, s39, s33
	s_sub_i32 s10, s10, s9
	s_mul_i32 s7, s10, s7
	s_mul_i32 s10, s10, s11
	s_ashr_i32 s9, s7, 31
	s_add_u32 s8, s8, s7
	s_addc_u32 s9, s6, s9
	s_add_i32 s6, s14, s13
	s_add_i32 s6, s6, s15
	s_add_u32 s7, s16, s18
	s_addc_u32 s6, s17, s6
	s_ashr_i32 s11, s10, 31
	s_add_u32 s23, s7, s10
	s_addc_u32 s35, s6, s11
	s_lshl_b32 s18, s34, 7
	s_add_i32 s10, s48, 0xffffff80
	s_cmp_ge_i32 s18, s10
	s_cbranch_scc1 .LBB59_43
; %bb.7:
	v_add_nc_u32_e32 v8, v59, v43
	s_lshl_b32 s6, s12, 4
	s_cmp_lg_u64 s[46:47], 0
	v_mul_hi_u32 v9, s28, v52
	s_cselect_b32 s11, -1, 0
	v_mul_lo_u32 v2, s12, v8
	v_mul_lo_u32 v7, s22, v8
	s_lshl_b32 s7, s22, 4
	v_mul_hi_u32 v3, s28, v54
	v_mul_hi_u32 v5, s28, v53
	v_and_b32_e32 v11, 28, v47
	v_add_nc_u32_e32 v13, v52, v9
	v_lshl_add_u32 v74, v1, 10, 0x4800
	v_add_nc_u32_e32 v4, s6, v2
	v_add_nc_u32_e32 v24, s7, v7
	v_lshlrev_b32_e32 v22, 2, v11
	v_add_nc_u32_e32 v10, v54, v3
	v_add_nc_u32_e32 v5, v53, v5
	v_add_nc_u32_e32 v9, s6, v4
	v_add_nc_u32_e32 v26, s7, v24
	v_lshrrev_b32_e32 v13, s29, v13
	v_lshrrev_b32_e32 v10, s29, v10
	;; [unrolled: 1-line block ×3, first 2 shown]
	v_add_nc_u32_e32 v12, s6, v9
	v_add_nc_u32_e32 v28, s7, v26
	v_mul_lo_u32 v25, v13, s30
	v_mul_lo_u32 v17, v10, s30
	;; [unrolled: 1-line block ×3, first 2 shown]
	v_add_nc_u32_e32 v14, s6, v12
	v_add_nc_u32_e32 v30, s7, v28
	v_mad_u32_u24 v61, 0x90, v8, v22
	v_ashrrev_i32_e32 v3, 31, v2
	v_ashrrev_i32_e32 v5, 31, v4
	v_add_nc_u32_e32 v16, s6, v14
	v_add_nc_u32_e32 v32, s7, v30
	v_sub_nc_u32_e32 v27, v54, v17
	v_sub_nc_u32_e32 v25, v52, v25
	v_sub_nc_u32_e32 v23, v53, v23
	v_add_nc_u32_e32 v18, s6, v16
	v_add_nc_u32_e32 v34, s7, v32
	v_ashrrev_i32_e32 v10, 31, v9
	v_ashrrev_i32_e32 v13, 31, v12
	;; [unrolled: 1-line block ×3, first 2 shown]
	v_add_nc_u32_e32 v20, s6, v18
	v_add_nc_u32_e32 v36, s7, v34
	v_ashrrev_i32_e32 v17, 31, v16
	v_ashrrev_i32_e32 v19, 31, v18
	v_mul_lo_u32 v70, v27, s36
	v_ashrrev_i32_e32 v21, 31, v20
	v_lshl_or_b32 v72, v8, 7, v22
	v_mul_lo_u32 v73, v25, s36
	v_ashrrev_i32_e32 v8, 31, v7
	v_ashrrev_i32_e32 v25, 31, v24
	;; [unrolled: 1-line block ×8, first 2 shown]
	v_mul_lo_u32 v69, v56, s36
	v_mul_lo_u32 v71, v23, s36
	v_lshlrev_b64 v[2:3], 2, v[2:3]
	v_lshlrev_b32_e32 v82, 2, v11
	v_lshlrev_b64 v[4:5], 2, v[4:5]
	v_lshlrev_b64 v[10:11], 2, v[9:10]
	;; [unrolled: 1-line block ×15, first 2 shown]
	v_mov_b32_e32 v55, 0
	v_add_nc_u32_e32 v60, 0x5800, v57
	v_add_nc_u32_e32 v62, 0x900, v61
	;; [unrolled: 1-line block ×15, first 2 shown]
	v_mov_b32_e32 v97, 0xfeffffff
	v_add_nc_u32_e32 v83, v74, v6
	v_mbcnt_lo_u32_b32 v84, -1, 0
	v_mov_b32_e32 v85, 0x10001
	v_mov_b32_e32 v48, 0
	;; [unrolled: 1-line block ×11, first 2 shown]
	s_add_u32 s6, s4, 0xd0
	s_addc_u32 s7, s5, 0
.LBB59_8:                               ; =>This Inner Loop Header: Depth=1
	s_mul_hi_i32 s15, s18, s12
	s_mul_i32 s14, s18, s12
	s_lshl_b64 s[14:15], s[14:15], 2
	s_add_u32 s13, s8, s14
	s_addc_u32 s14, s9, s15
	v_add_co_u32 v6, vcc_lo, s13, v2
	v_add_co_ci_u32_e64 v7, null, s14, v3, vcc_lo
	v_add_co_u32 v8, vcc_lo, s13, v4
	v_add_co_ci_u32_e64 v9, null, s14, v5, vcc_lo
	v_add_co_u32 v6, vcc_lo, v6, v82
	v_add_co_ci_u32_e64 v7, null, 0, v7, vcc_lo
	v_add_co_u32 v90, vcc_lo, v8, v82
	v_add_co_ci_u32_e64 v91, null, 0, v9, vcc_lo
	v_add_co_u32 v88, vcc_lo, s13, v10
	s_clause 0x1
	global_load_dwordx4 v[6:9], v[6:7], off
	global_load_dwordx4 v[99:102], v[90:91], off
	v_add_co_ci_u32_e64 v91, null, s14, v11, vcc_lo
	v_add_co_u32 v93, vcc_lo, s13, v12
	v_add_co_ci_u32_e64 v98, null, s14, v13, vcc_lo
	v_add_co_u32 v90, vcc_lo, v88, v82
	;; [unrolled: 2-line block ×11, first 2 shown]
	v_add_co_ci_u32_e64 v125, null, 0, v103, vcc_lo
	s_clause 0x5
	global_load_dwordx4 v[104:107], v[90:91], off
	global_load_dwordx4 v[108:111], v[108:109], off
	;; [unrolled: 1-line block ×6, first 2 shown]
	v_mov_b32_e32 v103, 0
	v_mov_b32_e32 v98, 0
	;; [unrolled: 1-line block ×6, first 2 shown]
	s_andn2_b32 vcc_lo, exec_lo, s11
	s_waitcnt vmcnt(7)
	ds_write_b128 v61, v[6:9]
	s_waitcnt vmcnt(6)
	ds_write_b128 v62, v[99:102]
	;; [unrolled: 2-line block ×8, first 2 shown]
	s_waitcnt lgkmcnt(0)
	s_barrier
	buffer_gl0_inv
	ds_read_b128 v[108:111], v58
	ds_read_b128 v[112:115], v60
	ds_read_b128 v[116:119], v60 offset:128
	ds_read_b128 v[128:131], v58 offset:4608
	ds_read_b128 v[120:123], v60 offset:256
	ds_read_b128 v[124:127], v60 offset:384
	ds_read_b128 v[132:135], v58 offset:9216
	ds_read_b128 v[136:139], v58 offset:13824
	s_waitcnt lgkmcnt(6)
	;;#ASMSTART
	v_dot2_f32_f16 v103, v108, v112, v103
	;;#ASMEND
	;;#ASMSTART
	v_dot2_f32_f16 v103, v109, v113, v103
	;;#ASMEND
	;; [unrolled: 3-line block ×4, first 2 shown]
	s_waitcnt lgkmcnt(5)
	;;#ASMSTART
	v_dot2_f32_f16 v98, v108, v116, v98
	;;#ASMEND
	;;#ASMSTART
	v_dot2_f32_f16 v98, v109, v117, v98
	;;#ASMEND
	;; [unrolled: 3-line block ×4, first 2 shown]
	s_waitcnt lgkmcnt(3)
	;;#ASMSTART
	v_dot2_f32_f16 v88, v108, v120, v88
	;;#ASMEND
	;;#ASMSTART
	v_dot2_f32_f16 v88, v109, v121, v88
	;;#ASMEND
	v_mov_b32_e32 v8, 0
	;;#ASMSTART
	v_dot2_f32_f16 v88, v110, v122, v88
	;;#ASMEND
	;;#ASMSTART
	v_dot2_f32_f16 v88, v111, v123, v88
	;;#ASMEND
	s_waitcnt lgkmcnt(2)
	;;#ASMSTART
	v_dot2_f32_f16 v8, v108, v124, v8
	;;#ASMEND
	;;#ASMSTART
	v_dot2_f32_f16 v8, v109, v125, v8
	;;#ASMEND
	v_mov_b32_e32 v105, 0
	;;#ASMSTART
	v_dot2_f32_f16 v8, v110, v126, v8
	;;#ASMEND
	;;#ASMSTART
	v_dot2_f32_f16 v8, v111, v127, v8
	;;#ASMEND
	;; [unrolled: 3-line block ×4, first 2 shown]
	v_mov_b32_e32 v100, 0
	;;#ASMSTART
	v_dot2_f32_f16 v105, v130, v114, v105
	;;#ASMEND
	;;#ASMSTART
	v_dot2_f32_f16 v105, v131, v115, v105
	;;#ASMEND
	;; [unrolled: 3-line block ×8, first 2 shown]
	v_mov_b32_e32 v9, 0
	;;#ASMSTART
	v_dot2_f32_f16 v93, v130, v122, v93
	;;#ASMEND
	;;#ASMSTART
	v_dot2_f32_f16 v93, v131, v123, v93
	;;#ASMEND
	;; [unrolled: 3-line block ×4, first 2 shown]
	v_mov_b32_e32 v106, 0
	;;#ASMSTART
	v_dot2_f32_f16 v9, v130, v126, v9
	;;#ASMEND
	;;#ASMSTART
	v_dot2_f32_f16 v9, v131, v127, v9
	;;#ASMEND
	s_waitcnt lgkmcnt(1)
	;;#ASMSTART
	v_dot2_f32_f16 v106, v132, v112, v106
	;;#ASMEND
	;;#ASMSTART
	v_dot2_f32_f16 v106, v133, v113, v106
	;;#ASMEND
	v_mov_b32_e32 v102, 0
	;;#ASMSTART
	v_dot2_f32_f16 v106, v134, v114, v106
	;;#ASMEND
	;;#ASMSTART
	v_dot2_f32_f16 v106, v135, v115, v106
	;;#ASMEND
	;;#ASMSTART
	v_dot2_f32_f16 v102, v132, v116, v102
	;;#ASMEND
	;;#ASMSTART
	v_dot2_f32_f16 v102, v133, v117, v102
	;;#ASMEND
	v_mov_b32_e32 v99, 0
	;;#ASMSTART
	v_dot2_f32_f16 v102, v134, v118, v102
	;;#ASMEND
	;;#ASMSTART
	v_dot2_f32_f16 v102, v135, v119, v102
	;;#ASMEND
	;; [unrolled: 3-line block ×8, first 2 shown]
	v_mov_b32_e32 v107, 0
	;;#ASMSTART
	v_dot2_f32_f16 v90, v134, v126, v90
	;;#ASMEND
	;;#ASMSTART
	v_dot2_f32_f16 v90, v135, v127, v90
	;;#ASMEND
	s_waitcnt lgkmcnt(0)
	;;#ASMSTART
	v_dot2_f32_f16 v107, v136, v112, v107
	;;#ASMEND
	;;#ASMSTART
	v_dot2_f32_f16 v107, v137, v113, v107
	;;#ASMEND
	v_mov_b32_e32 v104, 0
	;;#ASMSTART
	v_dot2_f32_f16 v107, v138, v114, v107
	;;#ASMEND
	;;#ASMSTART
	v_dot2_f32_f16 v107, v139, v115, v107
	;;#ASMEND
	;; [unrolled: 3-line block ×4, first 2 shown]
	v_mov_b32_e32 v101, 0
	;;#ASMSTART
	v_dot2_f32_f16 v104, v138, v118, v104
	;;#ASMEND
	;;#ASMSTART
	v_dot2_f32_f16 v104, v139, v119, v104
	;;#ASMEND
	;; [unrolled: 3-line block ×10, first 2 shown]
	ds_read_b128 v[108:111], v58 offset:16
	ds_read_b128 v[112:115], v60 offset:16
	ds_read_b128 v[116:119], v60 offset:144
	ds_read_b128 v[120:123], v60 offset:272
	ds_read_b128 v[124:127], v60 offset:400
	ds_read_b128 v[128:131], v58 offset:4624
	ds_read_b128 v[132:135], v58 offset:9232
	ds_read_b128 v[136:139], v58 offset:13840
	s_waitcnt lgkmcnt(6)
	;;#ASMSTART
	v_dot2_f32_f16 v103, v108, v112, v103
	;;#ASMEND
	;;#ASMSTART
	v_dot2_f32_f16 v103, v109, v113, v103
	;;#ASMEND
	;;#ASMSTART
	v_dot2_f32_f16 v103, v110, v114, v103
	;;#ASMEND
	;;#ASMSTART
	v_dot2_f32_f16 v103, v111, v115, v103
	;;#ASMEND
	s_waitcnt lgkmcnt(5)
	;;#ASMSTART
	v_dot2_f32_f16 v98, v108, v116, v98
	;;#ASMEND
	;;#ASMSTART
	v_dot2_f32_f16 v98, v109, v117, v98
	;;#ASMEND
	;;#ASMSTART
	v_dot2_f32_f16 v98, v110, v118, v98
	;;#ASMEND
	;;#ASMSTART
	v_dot2_f32_f16 v98, v111, v119, v98
	;;#ASMEND
	;; [unrolled: 13-line block ×5, first 2 shown]
	;;#ASMSTART
	v_dot2_f32_f16 v100, v128, v116, v100
	;;#ASMEND
	;;#ASMSTART
	v_dot2_f32_f16 v100, v129, v117, v100
	;;#ASMEND
	;; [unrolled: 3-line block ×12, first 2 shown]
	s_waitcnt lgkmcnt(1)
	;;#ASMSTART
	v_dot2_f32_f16 v106, v132, v112, v106
	;;#ASMEND
	;;#ASMSTART
	v_dot2_f32_f16 v106, v133, v113, v106
	;;#ASMEND
	;;#ASMSTART
	v_dot2_f32_f16 v106, v134, v114, v106
	;;#ASMEND
	;;#ASMSTART
	v_dot2_f32_f16 v106, v135, v115, v106
	;;#ASMEND
	;;#ASMSTART
	v_dot2_f32_f16 v102, v132, v116, v102
	;;#ASMEND
	;;#ASMSTART
	v_dot2_f32_f16 v102, v133, v117, v102
	;;#ASMEND
	;;#ASMSTART
	v_dot2_f32_f16 v102, v134, v118, v102
	;;#ASMEND
	;;#ASMSTART
	v_dot2_f32_f16 v102, v135, v119, v102
	;;#ASMEND
	;;#ASMSTART
	v_dot2_f32_f16 v99, v132, v120, v99
	;;#ASMEND
	;;#ASMSTART
	v_dot2_f32_f16 v99, v133, v121, v99
	;;#ASMEND
	;;#ASMSTART
	v_dot2_f32_f16 v99, v134, v122, v99
	;;#ASMEND
	;;#ASMSTART
	v_dot2_f32_f16 v99, v135, v123, v99
	;;#ASMEND
	;;#ASMSTART
	v_dot2_f32_f16 v90, v132, v124, v90
	;;#ASMEND
	;;#ASMSTART
	v_dot2_f32_f16 v90, v133, v125, v90
	;;#ASMEND
	;;#ASMSTART
	v_dot2_f32_f16 v90, v134, v126, v90
	;;#ASMEND
	;;#ASMSTART
	v_dot2_f32_f16 v90, v135, v127, v90
	;;#ASMEND
	s_waitcnt lgkmcnt(0)
	;;#ASMSTART
	v_dot2_f32_f16 v107, v136, v112, v107
	;;#ASMEND
	;;#ASMSTART
	v_dot2_f32_f16 v107, v137, v113, v107
	;;#ASMEND
	;; [unrolled: 3-line block ×16, first 2 shown]
	ds_read_b128 v[108:111], v58 offset:32
	ds_read_b128 v[112:115], v60 offset:32
	;; [unrolled: 1-line block ×8, first 2 shown]
	s_waitcnt lgkmcnt(6)
	;;#ASMSTART
	v_dot2_f32_f16 v103, v108, v112, v103
	;;#ASMEND
	;;#ASMSTART
	v_dot2_f32_f16 v103, v109, v113, v103
	;;#ASMEND
	;;#ASMSTART
	v_dot2_f32_f16 v103, v110, v114, v103
	;;#ASMEND
	;;#ASMSTART
	v_dot2_f32_f16 v103, v111, v115, v103
	;;#ASMEND
	s_waitcnt lgkmcnt(5)
	;;#ASMSTART
	v_dot2_f32_f16 v98, v108, v116, v98
	;;#ASMEND
	;;#ASMSTART
	v_dot2_f32_f16 v98, v109, v117, v98
	;;#ASMEND
	;;#ASMSTART
	v_dot2_f32_f16 v98, v110, v118, v98
	;;#ASMEND
	;;#ASMSTART
	v_dot2_f32_f16 v98, v111, v119, v98
	;;#ASMEND
	;; [unrolled: 13-line block ×5, first 2 shown]
	;;#ASMSTART
	v_dot2_f32_f16 v100, v128, v116, v100
	;;#ASMEND
	;;#ASMSTART
	v_dot2_f32_f16 v100, v129, v117, v100
	;;#ASMEND
	;; [unrolled: 3-line block ×12, first 2 shown]
	s_waitcnt lgkmcnt(1)
	;;#ASMSTART
	v_dot2_f32_f16 v106, v132, v112, v106
	;;#ASMEND
	;;#ASMSTART
	v_dot2_f32_f16 v106, v133, v113, v106
	;;#ASMEND
	;; [unrolled: 3-line block ×16, first 2 shown]
	s_waitcnt lgkmcnt(0)
	;;#ASMSTART
	v_dot2_f32_f16 v107, v136, v112, v107
	;;#ASMEND
	;;#ASMSTART
	v_dot2_f32_f16 v107, v137, v113, v107
	;;#ASMEND
	;;#ASMSTART
	v_dot2_f32_f16 v107, v138, v114, v107
	;;#ASMEND
	;;#ASMSTART
	v_dot2_f32_f16 v107, v139, v115, v107
	;;#ASMEND
	;;#ASMSTART
	v_dot2_f32_f16 v104, v136, v116, v104
	;;#ASMEND
	;;#ASMSTART
	v_dot2_f32_f16 v104, v137, v117, v104
	;;#ASMEND
	;;#ASMSTART
	v_dot2_f32_f16 v104, v138, v118, v104
	;;#ASMEND
	;;#ASMSTART
	v_dot2_f32_f16 v104, v139, v119, v104
	;;#ASMEND
	;;#ASMSTART
	v_dot2_f32_f16 v101, v136, v120, v101
	;;#ASMEND
	;;#ASMSTART
	v_dot2_f32_f16 v101, v137, v121, v101
	;;#ASMEND
	;;#ASMSTART
	v_dot2_f32_f16 v101, v138, v122, v101
	;;#ASMEND
	;;#ASMSTART
	v_dot2_f32_f16 v101, v139, v123, v101
	;;#ASMEND
	;;#ASMSTART
	v_dot2_f32_f16 v91, v136, v124, v91
	;;#ASMEND
	;;#ASMSTART
	v_dot2_f32_f16 v91, v137, v125, v91
	;;#ASMEND
	;;#ASMSTART
	v_dot2_f32_f16 v91, v138, v126, v91
	;;#ASMEND
	;;#ASMSTART
	v_dot2_f32_f16 v91, v139, v127, v91
	;;#ASMEND
	ds_read_b128 v[108:111], v58 offset:48
	ds_read_b128 v[112:115], v60 offset:48
	;; [unrolled: 1-line block ×8, first 2 shown]
	s_waitcnt lgkmcnt(6)
	;;#ASMSTART
	v_dot2_f32_f16 v103, v108, v112, v103
	;;#ASMEND
	;;#ASMSTART
	v_dot2_f32_f16 v103, v109, v113, v103
	;;#ASMEND
	;;#ASMSTART
	v_dot2_f32_f16 v103, v110, v114, v103
	;;#ASMEND
	;;#ASMSTART
	v_dot2_f32_f16 v103, v111, v115, v103
	;;#ASMEND
	s_waitcnt lgkmcnt(5)
	;;#ASMSTART
	v_dot2_f32_f16 v98, v108, v116, v98
	;;#ASMEND
	;;#ASMSTART
	v_dot2_f32_f16 v98, v109, v117, v98
	;;#ASMEND
	;;#ASMSTART
	v_dot2_f32_f16 v98, v110, v118, v98
	;;#ASMEND
	;;#ASMSTART
	v_dot2_f32_f16 v98, v111, v119, v98
	;;#ASMEND
	;; [unrolled: 13-line block ×5, first 2 shown]
	;;#ASMSTART
	v_dot2_f32_f16 v100, v128, v116, v100
	;;#ASMEND
	;;#ASMSTART
	v_dot2_f32_f16 v100, v129, v117, v100
	;;#ASMEND
	;; [unrolled: 3-line block ×12, first 2 shown]
	s_waitcnt lgkmcnt(1)
	;;#ASMSTART
	v_dot2_f32_f16 v106, v132, v112, v106
	;;#ASMEND
	;;#ASMSTART
	v_dot2_f32_f16 v106, v133, v113, v106
	;;#ASMEND
	;; [unrolled: 3-line block ×16, first 2 shown]
	s_waitcnt lgkmcnt(0)
	;;#ASMSTART
	v_dot2_f32_f16 v107, v136, v112, v107
	;;#ASMEND
	;;#ASMSTART
	v_dot2_f32_f16 v107, v137, v113, v107
	;;#ASMEND
	;;#ASMSTART
	v_dot2_f32_f16 v107, v138, v114, v107
	;;#ASMEND
	;;#ASMSTART
	v_dot2_f32_f16 v107, v139, v115, v107
	;;#ASMEND
	;;#ASMSTART
	v_dot2_f32_f16 v104, v136, v116, v104
	;;#ASMEND
	;;#ASMSTART
	v_dot2_f32_f16 v104, v137, v117, v104
	;;#ASMEND
	;;#ASMSTART
	v_dot2_f32_f16 v104, v138, v118, v104
	;;#ASMEND
	;;#ASMSTART
	v_dot2_f32_f16 v104, v139, v119, v104
	;;#ASMEND
	;;#ASMSTART
	v_dot2_f32_f16 v101, v136, v120, v101
	;;#ASMEND
	;;#ASMSTART
	v_dot2_f32_f16 v101, v137, v121, v101
	;;#ASMEND
	;;#ASMSTART
	v_dot2_f32_f16 v101, v138, v122, v101
	;;#ASMEND
	;;#ASMSTART
	v_dot2_f32_f16 v101, v139, v123, v101
	;;#ASMEND
	;;#ASMSTART
	v_dot2_f32_f16 v91, v136, v124, v91
	;;#ASMEND
	;;#ASMSTART
	v_dot2_f32_f16 v91, v137, v125, v91
	;;#ASMEND
	;;#ASMSTART
	v_dot2_f32_f16 v91, v138, v126, v91
	;;#ASMEND
	;;#ASMSTART
	v_dot2_f32_f16 v91, v139, v127, v91
	;;#ASMEND
	ds_read_b128 v[108:111], v58 offset:64
	ds_read_b128 v[112:115], v60 offset:64
	;; [unrolled: 1-line block ×8, first 2 shown]
	s_waitcnt lgkmcnt(6)
	;;#ASMSTART
	v_dot2_f32_f16 v103, v108, v112, v103
	;;#ASMEND
	;;#ASMSTART
	v_dot2_f32_f16 v103, v109, v113, v103
	;;#ASMEND
	;;#ASMSTART
	v_dot2_f32_f16 v103, v110, v114, v103
	;;#ASMEND
	;;#ASMSTART
	v_dot2_f32_f16 v103, v111, v115, v103
	;;#ASMEND
	s_waitcnt lgkmcnt(5)
	;;#ASMSTART
	v_dot2_f32_f16 v98, v108, v116, v98
	;;#ASMEND
	;;#ASMSTART
	v_dot2_f32_f16 v98, v109, v117, v98
	;;#ASMEND
	;;#ASMSTART
	v_dot2_f32_f16 v98, v110, v118, v98
	;;#ASMEND
	;;#ASMSTART
	v_dot2_f32_f16 v98, v111, v119, v98
	;;#ASMEND
	;; [unrolled: 13-line block ×5, first 2 shown]
	;;#ASMSTART
	v_dot2_f32_f16 v100, v128, v116, v100
	;;#ASMEND
	;;#ASMSTART
	v_dot2_f32_f16 v100, v129, v117, v100
	;;#ASMEND
	;;#ASMSTART
	v_dot2_f32_f16 v100, v130, v118, v100
	;;#ASMEND
	;;#ASMSTART
	v_dot2_f32_f16 v100, v131, v119, v100
	;;#ASMEND
	;;#ASMSTART
	v_dot2_f32_f16 v93, v128, v120, v93
	;;#ASMEND
	;;#ASMSTART
	v_dot2_f32_f16 v93, v129, v121, v93
	;;#ASMEND
	;;#ASMSTART
	v_dot2_f32_f16 v93, v130, v122, v93
	;;#ASMEND
	;;#ASMSTART
	v_dot2_f32_f16 v93, v131, v123, v93
	;;#ASMEND
	;;#ASMSTART
	v_dot2_f32_f16 v9, v128, v124, v9
	;;#ASMEND
	;;#ASMSTART
	v_dot2_f32_f16 v9, v129, v125, v9
	;;#ASMEND
	;;#ASMSTART
	v_dot2_f32_f16 v9, v130, v126, v9
	;;#ASMEND
	;;#ASMSTART
	v_dot2_f32_f16 v9, v131, v127, v9
	;;#ASMEND
	s_waitcnt lgkmcnt(1)
	;;#ASMSTART
	v_dot2_f32_f16 v106, v132, v112, v106
	;;#ASMEND
	;;#ASMSTART
	v_dot2_f32_f16 v106, v133, v113, v106
	;;#ASMEND
	;; [unrolled: 3-line block ×16, first 2 shown]
	s_waitcnt lgkmcnt(0)
	;;#ASMSTART
	v_dot2_f32_f16 v107, v136, v112, v107
	;;#ASMEND
	;;#ASMSTART
	v_dot2_f32_f16 v107, v137, v113, v107
	;;#ASMEND
	;; [unrolled: 3-line block ×16, first 2 shown]
	ds_read_b128 v[108:111], v58 offset:80
	ds_read_b128 v[112:115], v60 offset:80
	ds_read_b128 v[116:119], v60 offset:208
	ds_read_b128 v[120:123], v60 offset:336
	ds_read_b128 v[124:127], v60 offset:464
	ds_read_b128 v[128:131], v58 offset:4688
	ds_read_b128 v[132:135], v58 offset:9296
	ds_read_b128 v[136:139], v58 offset:13904
	s_waitcnt lgkmcnt(6)
	;;#ASMSTART
	v_dot2_f32_f16 v103, v108, v112, v103
	;;#ASMEND
	;;#ASMSTART
	v_dot2_f32_f16 v103, v109, v113, v103
	;;#ASMEND
	;;#ASMSTART
	v_dot2_f32_f16 v103, v110, v114, v103
	;;#ASMEND
	;;#ASMSTART
	v_dot2_f32_f16 v103, v111, v115, v103
	;;#ASMEND
	s_waitcnt lgkmcnt(5)
	;;#ASMSTART
	v_dot2_f32_f16 v98, v108, v116, v98
	;;#ASMEND
	;;#ASMSTART
	v_dot2_f32_f16 v98, v109, v117, v98
	;;#ASMEND
	;;#ASMSTART
	v_dot2_f32_f16 v98, v110, v118, v98
	;;#ASMEND
	;;#ASMSTART
	v_dot2_f32_f16 v98, v111, v119, v98
	;;#ASMEND
	;; [unrolled: 13-line block ×5, first 2 shown]
	;;#ASMSTART
	v_dot2_f32_f16 v100, v128, v116, v100
	;;#ASMEND
	;;#ASMSTART
	v_dot2_f32_f16 v100, v129, v117, v100
	;;#ASMEND
	;; [unrolled: 3-line block ×12, first 2 shown]
	s_waitcnt lgkmcnt(1)
	;;#ASMSTART
	v_dot2_f32_f16 v106, v132, v112, v106
	;;#ASMEND
	;;#ASMSTART
	v_dot2_f32_f16 v106, v133, v113, v106
	;;#ASMEND
	;; [unrolled: 3-line block ×16, first 2 shown]
	s_waitcnt lgkmcnt(0)
	;;#ASMSTART
	v_dot2_f32_f16 v107, v136, v112, v107
	;;#ASMEND
	;;#ASMSTART
	v_dot2_f32_f16 v107, v137, v113, v107
	;;#ASMEND
	;; [unrolled: 3-line block ×16, first 2 shown]
	ds_read_b128 v[108:111], v58 offset:96
	ds_read_b128 v[112:115], v60 offset:96
	;; [unrolled: 1-line block ×8, first 2 shown]
	s_waitcnt lgkmcnt(6)
	;;#ASMSTART
	v_dot2_f32_f16 v103, v108, v112, v103
	;;#ASMEND
	;;#ASMSTART
	v_dot2_f32_f16 v103, v109, v113, v103
	;;#ASMEND
	;;#ASMSTART
	v_dot2_f32_f16 v103, v110, v114, v103
	;;#ASMEND
	;;#ASMSTART
	v_dot2_f32_f16 v103, v111, v115, v103
	;;#ASMEND
	s_waitcnt lgkmcnt(5)
	;;#ASMSTART
	v_dot2_f32_f16 v98, v108, v116, v98
	;;#ASMEND
	;;#ASMSTART
	v_dot2_f32_f16 v98, v109, v117, v98
	;;#ASMEND
	;;#ASMSTART
	v_dot2_f32_f16 v98, v110, v118, v98
	;;#ASMEND
	;;#ASMSTART
	v_dot2_f32_f16 v98, v111, v119, v98
	;;#ASMEND
	s_waitcnt lgkmcnt(4)
	;;#ASMSTART
	v_dot2_f32_f16 v88, v108, v120, v88
	;;#ASMEND
	;;#ASMSTART
	v_dot2_f32_f16 v88, v109, v121, v88
	;;#ASMEND
	;;#ASMSTART
	v_dot2_f32_f16 v88, v110, v122, v88
	;;#ASMEND
	;;#ASMSTART
	v_dot2_f32_f16 v88, v111, v123, v88
	;;#ASMEND
	s_waitcnt lgkmcnt(3)
	;;#ASMSTART
	v_dot2_f32_f16 v8, v108, v124, v8
	;;#ASMEND
	;;#ASMSTART
	v_dot2_f32_f16 v8, v109, v125, v8
	;;#ASMEND
	;;#ASMSTART
	v_dot2_f32_f16 v8, v110, v126, v8
	;;#ASMEND
	;;#ASMSTART
	v_dot2_f32_f16 v8, v111, v127, v8
	;;#ASMEND
	s_waitcnt lgkmcnt(2)
	;;#ASMSTART
	v_dot2_f32_f16 v105, v128, v112, v105
	;;#ASMEND
	;;#ASMSTART
	v_dot2_f32_f16 v105, v129, v113, v105
	;;#ASMEND
	;;#ASMSTART
	v_dot2_f32_f16 v105, v130, v114, v105
	;;#ASMEND
	;;#ASMSTART
	v_dot2_f32_f16 v105, v131, v115, v105
	;;#ASMEND
	;;#ASMSTART
	v_dot2_f32_f16 v100, v128, v116, v100
	;;#ASMEND
	;;#ASMSTART
	v_dot2_f32_f16 v100, v129, v117, v100
	;;#ASMEND
	;; [unrolled: 3-line block ×12, first 2 shown]
	s_waitcnt lgkmcnt(1)
	;;#ASMSTART
	v_dot2_f32_f16 v106, v132, v112, v106
	;;#ASMEND
	;;#ASMSTART
	v_dot2_f32_f16 v106, v133, v113, v106
	;;#ASMEND
	;; [unrolled: 3-line block ×16, first 2 shown]
	s_waitcnt lgkmcnt(0)
	;;#ASMSTART
	v_dot2_f32_f16 v107, v136, v112, v107
	;;#ASMEND
	;;#ASMSTART
	v_dot2_f32_f16 v107, v137, v113, v107
	;;#ASMEND
	;;#ASMSTART
	v_dot2_f32_f16 v107, v138, v114, v107
	;;#ASMEND
	;;#ASMSTART
	v_dot2_f32_f16 v107, v139, v115, v107
	;;#ASMEND
	;;#ASMSTART
	v_dot2_f32_f16 v104, v136, v116, v104
	;;#ASMEND
	;;#ASMSTART
	v_dot2_f32_f16 v104, v137, v117, v104
	;;#ASMEND
	;;#ASMSTART
	v_dot2_f32_f16 v104, v138, v118, v104
	;;#ASMEND
	;;#ASMSTART
	v_dot2_f32_f16 v104, v139, v119, v104
	;;#ASMEND
	;;#ASMSTART
	v_dot2_f32_f16 v101, v136, v120, v101
	;;#ASMEND
	;;#ASMSTART
	v_dot2_f32_f16 v101, v137, v121, v101
	;;#ASMEND
	;;#ASMSTART
	v_dot2_f32_f16 v101, v138, v122, v101
	;;#ASMEND
	;;#ASMSTART
	v_dot2_f32_f16 v101, v139, v123, v101
	;;#ASMEND
	;;#ASMSTART
	v_dot2_f32_f16 v91, v136, v124, v91
	;;#ASMEND
	;;#ASMSTART
	v_dot2_f32_f16 v91, v137, v125, v91
	;;#ASMEND
	;;#ASMSTART
	v_dot2_f32_f16 v91, v138, v126, v91
	;;#ASMEND
	;;#ASMSTART
	v_dot2_f32_f16 v91, v139, v127, v91
	;;#ASMEND
	ds_read_b128 v[109:112], v58 offset:112
	ds_read_b128 v[117:120], v60 offset:112
	;; [unrolled: 1-line block ×8, first 2 shown]
	s_waitcnt lgkmcnt(6)
	;;#ASMSTART
	v_dot2_f32_f16 v103, v109, v117, v103
	;;#ASMEND
	;;#ASMSTART
	v_dot2_f32_f16 v103, v110, v118, v103
	;;#ASMEND
	;;#ASMSTART
	v_dot2_f32_f16 v103, v111, v119, v103
	;;#ASMEND
	;;#ASMSTART
	v_dot2_f32_f16 v103, v112, v120, v103
	;;#ASMEND
	s_waitcnt lgkmcnt(5)
	;;#ASMSTART
	v_dot2_f32_f16 v98, v109, v121, v98
	;;#ASMEND
	;;#ASMSTART
	v_dot2_f32_f16 v98, v110, v122, v98
	;;#ASMEND
	;;#ASMSTART
	v_dot2_f32_f16 v98, v111, v123, v98
	;;#ASMEND
	;;#ASMSTART
	v_dot2_f32_f16 v98, v112, v124, v98
	;;#ASMEND
	;; [unrolled: 13-line block ×4, first 2 shown]
	;;#ASMSTART
	v_dot2_f32_f16 v105, v133, v117, v105
	;;#ASMEND
	;;#ASMSTART
	v_dot2_f32_f16 v105, v134, v118, v105
	;;#ASMEND
	;;#ASMSTART
	v_dot2_f32_f16 v105, v135, v119, v105
	;;#ASMEND
	;;#ASMSTART
	v_dot2_f32_f16 v105, v136, v120, v105
	;;#ASMEND
	;;#ASMSTART
	v_dot2_f32_f16 v100, v133, v121, v100
	;;#ASMEND
	;;#ASMSTART
	v_dot2_f32_f16 v100, v134, v122, v100
	;;#ASMEND
	;;#ASMSTART
	v_dot2_f32_f16 v100, v135, v123, v100
	;;#ASMEND
	;;#ASMSTART
	v_dot2_f32_f16 v100, v136, v124, v100
	;;#ASMEND
	;;#ASMSTART
	v_dot2_f32_f16 v93, v133, v125, v93
	;;#ASMEND
	;;#ASMSTART
	v_dot2_f32_f16 v93, v134, v126, v93
	;;#ASMEND
	;;#ASMSTART
	v_dot2_f32_f16 v93, v135, v127, v93
	;;#ASMEND
	;;#ASMSTART
	v_dot2_f32_f16 v93, v136, v128, v93
	;;#ASMEND
	;;#ASMSTART
	v_dot2_f32_f16 v9, v133, v129, v9
	;;#ASMEND
	;;#ASMSTART
	v_dot2_f32_f16 v9, v134, v130, v9
	;;#ASMEND
	;;#ASMSTART
	v_dot2_f32_f16 v9, v135, v131, v9
	;;#ASMEND
	;;#ASMSTART
	v_dot2_f32_f16 v9, v136, v132, v9
	;;#ASMEND
	s_waitcnt lgkmcnt(1)
	;;#ASMSTART
	v_dot2_f32_f16 v106, v137, v117, v106
	;;#ASMEND
	;;#ASMSTART
	v_dot2_f32_f16 v106, v138, v118, v106
	;;#ASMEND
	;; [unrolled: 3-line block ×11, first 2 shown]
	v_add_nc_u32_e32 v116, s18, v0
	;;#ASMSTART
	v_dot2_f32_f16 v99, v140, v128, v99
	;;#ASMEND
	;;#ASMSTART
	v_dot2_f32_f16 v90, v137, v129, v90
	;;#ASMEND
	;; [unrolled: 3-line block ×5, first 2 shown]
	s_waitcnt lgkmcnt(0)
	;;#ASMSTART
	v_dot2_f32_f16 v107, v141, v117, v107
	;;#ASMEND
	;;#ASMSTART
	v_dot2_f32_f16 v107, v142, v118, v107
	;;#ASMEND
	v_add_nc_u32_e32 v6, v116, v69
	;;#ASMSTART
	v_dot2_f32_f16 v107, v143, v119, v107
	;;#ASMEND
	;;#ASMSTART
	v_dot2_f32_f16 v107, v144, v120, v107
	;;#ASMEND
	;; [unrolled: 3-line block ×7, first 2 shown]
	v_mov_b32_e32 v108, 0
	v_ashrrev_i32_e32 v7, 31, v6
	;;#ASMSTART
	v_dot2_f32_f16 v101, v142, v126, v101
	;;#ASMEND
	;;#ASMSTART
	v_dot2_f32_f16 v101, v143, v127, v101
	;;#ASMEND
	;; [unrolled: 3-line block ×7, first 2 shown]
	s_cbranch_vccnz .LBB59_10
; %bb.9:                                ;   in Loop: Header=BB59_8 Depth=1
	v_lshlrev_b64 v[108:109], 1, v[6:7]
	v_add_co_u32 v108, vcc_lo, s46, v108
	v_add_co_ci_u32_e64 v109, null, s47, v109, vcc_lo
	global_load_ushort v108, v[108:109], off
	s_waitcnt vmcnt(0)
	v_cvt_f32_f16_e32 v108, v108
	v_mul_f32_e32 v108, v51, v108
.LBB59_10:                              ;   in Loop: Header=BB59_8 Depth=1
	v_mov_b32_e32 v109, 0
	v_mov_b32_e32 v111, 0
	s_andn2_b32 vcc_lo, exec_lo, s11
	s_cbranch_vccnz .LBB59_12
; %bb.11:                               ;   in Loop: Header=BB59_8 Depth=1
	v_lshlrev_b64 v[110:111], 1, v[6:7]
	v_add_co_u32 v110, vcc_lo, s46, v110
	v_add_co_ci_u32_e64 v111, null, s47, v111, vcc_lo
	global_load_ushort v110, v[110:111], off offset:64
	s_waitcnt vmcnt(0)
	v_cvt_f32_f16_e32 v110, v110
	v_mul_f32_e32 v111, v51, v110
.LBB59_12:                              ;   in Loop: Header=BB59_8 Depth=1
	s_andn2_b32 vcc_lo, exec_lo, s11
	s_cbranch_vccnz .LBB59_14
; %bb.13:                               ;   in Loop: Header=BB59_8 Depth=1
	v_lshlrev_b64 v[109:110], 1, v[6:7]
	v_add_co_u32 v109, vcc_lo, s46, v109
	v_add_co_ci_u32_e64 v110, null, s47, v110, vcc_lo
	global_load_ushort v109, v[109:110], off offset:128
	s_waitcnt vmcnt(0)
	v_cvt_f32_f16_e32 v109, v109
	v_mul_f32_e32 v109, v51, v109
.LBB59_14:                              ;   in Loop: Header=BB59_8 Depth=1
	v_mov_b32_e32 v110, 0
	v_mov_b32_e32 v112, 0
	s_andn2_b32 vcc_lo, exec_lo, s11
	s_cbranch_vccnz .LBB59_16
; %bb.15:                               ;   in Loop: Header=BB59_8 Depth=1
	v_lshlrev_b64 v[6:7], 1, v[6:7]
	v_add_co_u32 v6, vcc_lo, s46, v6
	v_add_co_ci_u32_e64 v7, null, s47, v7, vcc_lo
	global_load_ushort v6, v[6:7], off offset:192
	s_waitcnt vmcnt(0)
	v_cvt_f32_f16_e32 v6, v6
	v_mul_f32_e32 v112, v51, v6
.LBB59_16:                              ;   in Loop: Header=BB59_8 Depth=1
	v_add_f32_e32 v103, v103, v108
	v_add_f32_e32 v105, v105, v111
	v_xor_b32_e32 v6, 16, v84
	v_add_f32_e32 v106, v106, v109
	v_add_f32_e32 v107, v107, v112
	;; [unrolled: 1-line block ×4, first 2 shown]
	v_cmp_gt_i32_e32 vcc_lo, 32, v6
	v_add_f32_e32 v109, 0x40051340, v106
	v_max3_f32 v7, v97, v7, v108
	v_cndmask_b32_e32 v6, v84, v6, vcc_lo
	v_add_f32_e32 v108, 0x40051340, v107
	v_lshlrev_b32_e32 v115, 2, v6
	v_max3_f32 v6, v7, v109, v108
	v_xor_b32_e32 v108, 8, v84
	ds_bpermute_b32 v7, v115, v6
	v_cmp_gt_i32_e32 vcc_lo, 32, v108
	v_cndmask_b32_e32 v108, v84, v108, vcc_lo
	v_lshlrev_b32_e32 v113, 2, v108
	v_xor_b32_e32 v108, 4, v84
	v_cmp_gt_i32_e32 vcc_lo, 32, v108
	s_waitcnt lgkmcnt(0)
	v_max_f32_e32 v7, v7, v7
	v_cndmask_b32_e32 v108, v84, v108, vcc_lo
	v_max_f32_e32 v6, v6, v7
	v_lshlrev_b32_e32 v111, 2, v108
	v_xor_b32_e32 v108, 2, v84
	ds_bpermute_b32 v7, v113, v6
	v_cmp_gt_i32_e32 vcc_lo, 32, v108
	v_cndmask_b32_e32 v108, v84, v108, vcc_lo
	v_lshlrev_b32_e32 v109, 2, v108
	v_xor_b32_e32 v108, 1, v84
	v_cmp_gt_i32_e32 vcc_lo, 32, v108
	s_waitcnt lgkmcnt(0)
	v_max_f32_e32 v7, v7, v7
	v_cndmask_b32_e32 v108, v84, v108, vcc_lo
	v_max_f32_e32 v6, v6, v7
	s_andn2_b32 vcc_lo, exec_lo, s11
	v_lshlrev_b32_e32 v108, 2, v108
	ds_bpermute_b32 v7, v111, v6
	s_waitcnt lgkmcnt(0)
	v_max_f32_e32 v7, v7, v7
	v_max_f32_e32 v6, v6, v7
	ds_bpermute_b32 v7, v109, v6
	s_waitcnt lgkmcnt(0)
	v_max_f32_e32 v7, v7, v7
	v_max_f32_e32 v119, v6, v7
	v_add_nc_u32_e32 v6, v116, v70
	ds_bpermute_b32 v120, v108, v119
	v_ashrrev_i32_e32 v7, 31, v6
	s_cbranch_vccnz .LBB59_18
; %bb.17:                               ;   in Loop: Header=BB59_8 Depth=1
	v_lshlrev_b64 v[117:118], 1, v[6:7]
	v_add_co_u32 v117, vcc_lo, s46, v117
	v_add_co_ci_u32_e64 v118, null, s47, v118, vcc_lo
	global_load_ushort v110, v[117:118], off
	s_waitcnt vmcnt(0)
	v_cvt_f32_f16_e32 v110, v110
	v_mul_f32_e32 v110, v51, v110
.LBB59_18:                              ;   in Loop: Header=BB59_8 Depth=1
	v_mov_b32_e32 v117, 0
	v_mov_b32_e32 v118, 0
	s_andn2_b32 vcc_lo, exec_lo, s11
	s_cbranch_vccnz .LBB59_20
; %bb.19:                               ;   in Loop: Header=BB59_8 Depth=1
	v_lshlrev_b64 v[121:122], 1, v[6:7]
	v_add_co_u32 v121, vcc_lo, s46, v121
	v_add_co_ci_u32_e64 v122, null, s47, v122, vcc_lo
	global_load_ushort v112, v[121:122], off offset:64
	s_waitcnt vmcnt(0)
	v_cvt_f32_f16_e32 v112, v112
	v_mul_f32_e32 v118, v51, v112
.LBB59_20:                              ;   in Loop: Header=BB59_8 Depth=1
	s_andn2_b32 vcc_lo, exec_lo, s11
	s_cbranch_vccnz .LBB59_22
; %bb.21:                               ;   in Loop: Header=BB59_8 Depth=1
	v_lshlrev_b64 v[121:122], 1, v[6:7]
	v_add_co_u32 v121, vcc_lo, s46, v121
	v_add_co_ci_u32_e64 v122, null, s47, v122, vcc_lo
	global_load_ushort v112, v[121:122], off offset:128
	s_waitcnt vmcnt(0)
	v_cvt_f32_f16_e32 v112, v112
	v_mul_f32_e32 v117, v51, v112
.LBB59_22:                              ;   in Loop: Header=BB59_8 Depth=1
	v_mov_b32_e32 v114, 0
	v_mov_b32_e32 v121, 0
	s_andn2_b32 vcc_lo, exec_lo, s11
	s_cbranch_vccnz .LBB59_24
; %bb.23:                               ;   in Loop: Header=BB59_8 Depth=1
	v_lshlrev_b64 v[6:7], 1, v[6:7]
	v_add_co_u32 v6, vcc_lo, s46, v6
	v_add_co_ci_u32_e64 v7, null, s47, v7, vcc_lo
	global_load_ushort v6, v[6:7], off offset:192
	s_waitcnt vmcnt(0)
	v_cvt_f32_f16_e32 v6, v6
	v_mul_f32_e32 v121, v51, v6
.LBB59_24:                              ;   in Loop: Header=BB59_8 Depth=1
	v_add_f32_e32 v112, v98, v110
	v_add_f32_e32 v110, v100, v118
	;; [unrolled: 1-line block ×4, first 2 shown]
	s_andn2_b32 vcc_lo, exec_lo, s11
	v_add_f32_e32 v6, 0x40051340, v112
	v_add_f32_e32 v7, 0x40051340, v110
	;; [unrolled: 1-line block ×3, first 2 shown]
	v_max3_f32 v6, v96, v6, v7
	v_add_f32_e32 v7, 0x40051340, v98
	v_max3_f32 v6, v6, v102, v7
	ds_bpermute_b32 v7, v115, v6
	s_waitcnt lgkmcnt(0)
	v_max_f32_e32 v7, v7, v7
	v_max_f32_e32 v6, v6, v7
	ds_bpermute_b32 v7, v113, v6
	s_waitcnt lgkmcnt(0)
	v_max_f32_e32 v7, v7, v7
	v_max_f32_e32 v6, v6, v7
	;; [unrolled: 4-line block ×4, first 2 shown]
	v_add_nc_u32_e32 v6, v116, v71
	ds_bpermute_b32 v118, v108, v104
	v_ashrrev_i32_e32 v7, 31, v6
	s_cbranch_vccnz .LBB59_26
; %bb.25:                               ;   in Loop: Header=BB59_8 Depth=1
	v_lshlrev_b64 v[121:122], 1, v[6:7]
	v_add_co_u32 v121, vcc_lo, s46, v121
	v_add_co_ci_u32_e64 v122, null, s47, v122, vcc_lo
	global_load_ushort v102, v[121:122], off
	s_waitcnt vmcnt(0)
	v_cvt_f32_f16_e32 v102, v102
	v_mul_f32_e32 v114, v51, v102
.LBB59_26:                              ;   in Loop: Header=BB59_8 Depth=1
	v_mov_b32_e32 v121, 0
	v_mov_b32_e32 v102, 0
	s_andn2_b32 vcc_lo, exec_lo, s11
	s_cbranch_vccnz .LBB59_28
; %bb.27:                               ;   in Loop: Header=BB59_8 Depth=1
	v_lshlrev_b64 v[122:123], 1, v[6:7]
	v_add_co_u32 v122, vcc_lo, s46, v122
	v_add_co_ci_u32_e64 v123, null, s47, v123, vcc_lo
	global_load_ushort v102, v[122:123], off offset:64
	s_waitcnt vmcnt(0)
	v_cvt_f32_f16_e32 v102, v102
	v_mul_f32_e32 v102, v51, v102
.LBB59_28:                              ;   in Loop: Header=BB59_8 Depth=1
	s_andn2_b32 vcc_lo, exec_lo, s11
	s_cbranch_vccnz .LBB59_30
; %bb.29:                               ;   in Loop: Header=BB59_8 Depth=1
	v_lshlrev_b64 v[121:122], 1, v[6:7]
	v_add_co_u32 v121, vcc_lo, s46, v121
	v_add_co_ci_u32_e64 v122, null, s47, v122, vcc_lo
	global_load_ushort v117, v[121:122], off offset:128
	s_waitcnt vmcnt(0)
	v_cvt_f32_f16_e32 v117, v117
	v_mul_f32_e32 v121, v51, v117
.LBB59_30:                              ;   in Loop: Header=BB59_8 Depth=1
	v_mov_b32_e32 v117, 0
	v_mov_b32_e32 v122, 0
	s_andn2_b32 vcc_lo, exec_lo, s11
	s_cbranch_vccnz .LBB59_32
; %bb.31:                               ;   in Loop: Header=BB59_8 Depth=1
	v_lshlrev_b64 v[6:7], 1, v[6:7]
	v_add_co_u32 v6, vcc_lo, s46, v6
	v_add_co_ci_u32_e64 v7, null, s47, v7, vcc_lo
	global_load_ushort v6, v[6:7], off offset:192
	s_waitcnt vmcnt(0)
	v_cvt_f32_f16_e32 v6, v6
	v_mul_f32_e32 v122, v51, v6
.LBB59_32:                              ;   in Loop: Header=BB59_8 Depth=1
	v_add_f32_e32 v114, v88, v114
	v_add_f32_e32 v102, v93, v102
	;; [unrolled: 1-line block ×4, first 2 shown]
	s_andn2_b32 vcc_lo, exec_lo, s11
	v_add_f32_e32 v6, 0x40051340, v114
	v_add_f32_e32 v7, 0x40051340, v102
	v_add_f32_e32 v88, 0x40051340, v99
	v_max3_f32 v6, v95, v6, v7
	v_add_f32_e32 v7, 0x40051340, v93
	v_max3_f32 v6, v6, v88, v7
	ds_bpermute_b32 v7, v115, v6
	s_waitcnt lgkmcnt(0)
	v_max_f32_e32 v7, v7, v7
	v_max_f32_e32 v6, v6, v7
	ds_bpermute_b32 v7, v113, v6
	s_waitcnt lgkmcnt(0)
	v_max_f32_e32 v7, v7, v7
	v_max_f32_e32 v6, v6, v7
	ds_bpermute_b32 v7, v111, v6
	s_waitcnt lgkmcnt(0)
	v_max_f32_e32 v7, v7, v7
	v_max_f32_e32 v6, v6, v7
	ds_bpermute_b32 v7, v109, v6
	s_waitcnt lgkmcnt(0)
	v_max_f32_e32 v7, v7, v7
	v_max_f32_e32 v88, v6, v7
	v_add_nc_u32_e32 v6, v116, v73
	ds_bpermute_b32 v121, v108, v88
	v_ashrrev_i32_e32 v7, 31, v6
	s_cbranch_vccnz .LBB59_34
; %bb.33:                               ;   in Loop: Header=BB59_8 Depth=1
	v_lshlrev_b64 v[116:117], 1, v[6:7]
	v_add_co_u32 v116, vcc_lo, s46, v116
	v_add_co_ci_u32_e64 v117, null, s47, v117, vcc_lo
	global_load_ushort v101, v[116:117], off
	s_waitcnt vmcnt(0)
	v_cvt_f32_f16_e32 v101, v101
	v_mul_f32_e32 v117, v51, v101
.LBB59_34:                              ;   in Loop: Header=BB59_8 Depth=1
	v_mov_b32_e32 v101, 0
	v_mov_b32_e32 v116, 0
	s_andn2_b32 vcc_lo, exec_lo, s11
	s_cbranch_vccnz .LBB59_36
; %bb.35:                               ;   in Loop: Header=BB59_8 Depth=1
	v_lshlrev_b64 v[122:123], 1, v[6:7]
	v_add_co_u32 v122, vcc_lo, s46, v122
	v_add_co_ci_u32_e64 v123, null, s47, v123, vcc_lo
	global_load_ushort v116, v[122:123], off offset:64
	s_waitcnt vmcnt(0)
	v_cvt_f32_f16_e32 v116, v116
	v_mul_f32_e32 v116, v51, v116
.LBB59_36:                              ;   in Loop: Header=BB59_8 Depth=1
	s_andn2_b32 vcc_lo, exec_lo, s11
	s_cbranch_vccnz .LBB59_38
; %bb.37:                               ;   in Loop: Header=BB59_8 Depth=1
	v_lshlrev_b64 v[122:123], 1, v[6:7]
	v_add_co_u32 v122, vcc_lo, s46, v122
	v_add_co_ci_u32_e64 v123, null, s47, v123, vcc_lo
	global_load_ushort v101, v[122:123], off offset:128
	s_waitcnt vmcnt(0)
	v_cvt_f32_f16_e32 v101, v101
	v_mul_f32_e32 v101, v51, v101
.LBB59_38:                              ;   in Loop: Header=BB59_8 Depth=1
	s_andn2_b32 vcc_lo, exec_lo, s11
	s_cbranch_vccnz .LBB59_40
; %bb.39:                               ;   in Loop: Header=BB59_8 Depth=1
	v_lshlrev_b64 v[6:7], 1, v[6:7]
	v_add_co_u32 v6, vcc_lo, s46, v6
	v_add_co_ci_u32_e64 v7, null, s47, v7, vcc_lo
	global_load_ushort v6, v[6:7], off offset:192
	s_waitcnt vmcnt(0)
	v_cvt_f32_f16_e32 v6, v6
	v_mul_f32_e32 v6, v51, v6
	s_branch .LBB59_41
.LBB59_40:                              ;   in Loop: Header=BB59_8 Depth=1
	v_mov_b32_e32 v6, 0
.LBB59_41:                              ;   in Loop: Header=BB59_8 Depth=1
	v_add_f32_e32 v117, v8, v117
	v_add_f32_e32 v116, v9, v116
	;; [unrolled: 1-line block ×4, first 2 shown]
	s_mul_hi_i32 s15, s18, s22
	v_add_f32_e32 v6, 0x40051340, v117
	v_add_f32_e32 v7, 0x40051340, v116
	;; [unrolled: 1-line block ×4, first 2 shown]
	s_mul_i32 s14, s18, s22
	v_max_f32_e32 v8, v119, v119
	v_max3_f32 v122, v94, v6, v7
	s_lshl_b64 s[14:15], s[14:15], 2
	s_waitcnt lgkmcnt(0)
	v_max_f32_e32 v7, v121, v121
	s_add_u32 s13, s23, s14
	s_addc_u32 s14, s35, s15
	v_max3_f32 v9, v122, v9, v90
	v_max_f32_e32 v6, v120, v120
	s_barrier
	buffer_gl0_inv
	ds_bpermute_b32 v90, v115, v9
	v_add_co_u32 v115, vcc_lo, s13, v22
	v_add_co_ci_u32_e64 v120, null, s14, v23, vcc_lo
	v_add_co_u32 v121, vcc_lo, s13, v24
	v_add_co_ci_u32_e64 v122, null, s14, v25, vcc_lo
	;; [unrolled: 2-line block ×5, first 2 shown]
	s_waitcnt lgkmcnt(0)
	v_max_f32_e32 v90, v90, v90
	v_max_f32_e32 v88, v88, v88
	v_max_f32_e32 v6, v8, v6
	v_max_f32_e32 v104, v104, v104
	v_max_f32_e32 v9, v9, v90
	v_add_co_u32 v90, vcc_lo, s13, v32
	v_add_co_ci_u32_e64 v137, null, s14, v33, vcc_lo
	v_add_co_u32 v138, vcc_lo, s13, v34
	ds_bpermute_b32 v113, v113, v9
	v_add_co_ci_u32_e64 v141, null, s14, v35, vcc_lo
	v_add_co_u32 v142, vcc_lo, s13, v36
	v_add_co_ci_u32_e64 v145, null, s14, v37, vcc_lo
	v_add_co_u32 v119, vcc_lo, v115, v82
	;; [unrolled: 2-line block ×9, first 2 shown]
	v_add_co_ci_u32_e64 v148, null, 0, v145, vcc_lo
	s_clause 0x7
	global_load_dwordx4 v[119:122], v[119:120], off
	global_load_dwordx4 v[123:126], v[123:124], off
	;; [unrolled: 1-line block ×8, first 2 shown]
	s_waitcnt lgkmcnt(0)
	v_max_f32_e32 v113, v113, v113
	v_max_f32_e32 v8, v88, v7
	v_sub_f32_e32 v88, v103, v6
	v_sub_f32_e32 v103, v105, v6
	;; [unrolled: 1-line block ×3, first 2 shown]
	v_max_f32_e32 v9, v9, v113
	v_sub_f32_e32 v97, v97, v6
	v_cmp_ngt_f32_e32 vcc_lo, 0xc2ce8ed0, v88
	v_mul_f32_e32 v107, 0x3fb8aa3b, v103
	v_sub_f32_e32 v93, v93, v8
	ds_bpermute_b32 v111, v111, v9
	v_mul_f32_e32 v113, 0x3fb8aa3b, v97
	v_fma_f32 v151, 0x3fb8aa3b, v103, -v107
	v_rndne_f32_e32 v152, v107
	v_fma_f32 v157, 0x3fb8aa3b, v97, -v113
	v_rndne_f32_e32 v158, v113
	v_fmac_f32_e32 v151, 0x32a5705f, v103
	v_fmac_f32_e32 v157, 0x32a5705f, v97
	v_sub_f32_e32 v113, v113, v158
	s_waitcnt lgkmcnt(0)
	v_max_f32_e32 v90, v111, v111
	v_max_f32_e32 v111, v118, v118
	;; [unrolled: 1-line block ×4, first 2 shown]
	v_sub_f32_e32 v104, v106, v6
	v_mul_f32_e32 v106, 0x3fb8aa3b, v88
	v_mul_f32_e32 v111, 0x3fb8aa3b, v105
	ds_bpermute_b32 v90, v109, v9
	v_sub_f32_e32 v112, v112, v7
	v_mul_f32_e32 v109, 0x3fb8aa3b, v104
	v_fma_f32 v115, 0x3fb8aa3b, v88, -v106
	v_rndne_f32_e32 v118, v106
	v_fma_f32 v155, 0x3fb8aa3b, v105, -v111
	v_rndne_f32_e32 v156, v111
	v_fma_f32 v153, 0x3fb8aa3b, v104, -v109
	v_fmac_f32_e32 v115, 0x32a5705f, v88
	v_sub_f32_e32 v106, v106, v118
	v_rndne_f32_e32 v154, v109
	v_cvt_i32_f32_e32 v118, v118
	v_fmac_f32_e32 v153, 0x32a5705f, v104
	v_fmac_f32_e32 v155, 0x32a5705f, v105
	v_add_f32_e32 v106, v106, v115
	v_sub_f32_e32 v111, v111, v156
	v_cvt_i32_f32_e32 v115, v154
	v_sub_f32_e32 v110, v110, v7
	v_sub_f32_e32 v100, v100, v7
	v_exp_f32_e32 v106, v106
	s_waitcnt lgkmcnt(0)
	v_max_f32_e32 v90, v90, v90
	v_add_f32_e32 v111, v111, v155
	v_sub_f32_e32 v98, v98, v7
	v_sub_f32_e32 v96, v96, v7
	v_max_f32_e32 v9, v9, v90
	v_sub_f32_e32 v90, v107, v152
	v_exp_f32_e32 v111, v111
	v_ldexp_f32 v106, v106, v118
	ds_bpermute_b32 v107, v108, v9
	v_add_f32_e32 v90, v90, v151
	v_sub_f32_e32 v108, v109, v154
	v_cvt_i32_f32_e32 v109, v152
	v_cndmask_b32_e32 v106, 0, v106, vcc_lo
	v_cmp_nlt_f32_e32 vcc_lo, 0x42b17218, v88
	v_exp_f32_e32 v90, v90
	v_add_f32_e32 v108, v108, v153
	v_mul_f32_e32 v153, 0x3fb8aa3b, v98
	v_exp_f32_e32 v118, v108
	v_cndmask_b32_e32 v108, 0x7f800000, v106, vcc_lo
	v_cmp_ngt_f32_e32 vcc_lo, 0xc2ce8ed0, v103
	v_fma_f32 v154, 0x3fb8aa3b, v98, -v153
	v_ldexp_f32 v90, v90, v109
	v_rndne_f32_e32 v155, v153
	s_waitcnt lgkmcnt(0)
	v_max_f32_e32 v88, v107, v107
	v_cndmask_b32_e32 v90, 0, v90, vcc_lo
	v_cmp_nlt_f32_e32 vcc_lo, 0x42b17218, v103
	v_ldexp_f32 v106, v118, v115
	v_add_f32_e32 v103, v113, v157
	v_max_f32_e32 v9, v9, v88
	v_fmac_f32_e32 v154, 0x32a5705f, v98
	v_cndmask_b32_e32 v109, 0x7f800000, v90, vcc_lo
	v_cmp_ngt_f32_e32 vcc_lo, 0xc2ce8ed0, v104
	v_cvt_i32_f32_e32 v90, v156
	v_sub_f32_e32 v157, v99, v8
	v_sub_f32_e32 v116, v116, v9
	;; [unrolled: 1-line block ×3, first 2 shown]
	v_cndmask_b32_e32 v88, 0, v106, vcc_lo
	v_cmp_nlt_f32_e32 vcc_lo, 0x42b17218, v104
	v_cvt_i32_f32_e32 v104, v158
	v_mul_f32_e32 v158, 0x3fb8aa3b, v157
	v_sub_f32_e32 v91, v91, v9
	v_sub_f32_e32 v94, v94, v9
	v_cndmask_b32_e32 v107, 0x7f800000, v88, vcc_lo
	v_ldexp_f32 v88, v111, v90
	v_exp_f32_e32 v90, v103
	v_mul_f32_e32 v103, 0x3fb8aa3b, v112
	v_cmp_ngt_f32_e32 vcc_lo, 0xc2ce8ed0, v105
	v_mul_f32_e32 v162, 0x3fb8aa3b, v91
	v_cvt_f16_f32_e32 v118, v109
	v_cvt_f16_f32_e32 v115, v108
	v_fma_f32 v106, 0x3fb8aa3b, v112, -v103
	v_cndmask_b32_e32 v88, 0, v88, vcc_lo
	v_rndne_f32_e32 v111, v103
	v_cmp_nlt_f32_e32 vcc_lo, 0x42b17218, v105
	v_ldexp_f32 v90, v90, v104
	v_fmac_f32_e32 v106, 0x32a5705f, v112
	v_mul_f32_e32 v104, 0x3fb8aa3b, v110
	v_sub_f32_e32 v103, v103, v111
	v_cndmask_b32_e32 v88, 0x7f800000, v88, vcc_lo
	v_cmp_ngt_f32_e32 vcc_lo, 0xc2ce8ed0, v97
	v_fma_f32 v164, 0x3fb8aa3b, v91, -v162
	v_fma_f32 v105, 0x3fb8aa3b, v110, -v104
	v_add_f32_e32 v103, v103, v106
	v_rndne_f32_e32 v113, v104
	v_cndmask_b32_e32 v90, 0, v90, vcc_lo
	v_cmp_nlt_f32_e32 vcc_lo, 0x42b17218, v97
	v_fmac_f32_e32 v105, 0x32a5705f, v110
	v_rndne_f32_e32 v165, v162
	v_sub_f32_e32 v97, v104, v113
	v_cvt_i32_f32_e32 v104, v111
	v_cndmask_b32_e32 v106, 0x7f800000, v90, vcc_lo
	v_exp_f32_e32 v90, v103
	v_mul_f32_e32 v103, 0x3fb8aa3b, v100
	v_add_f32_e32 v97, v97, v105
	v_cmp_ngt_f32_e32 vcc_lo, 0xc2ce8ed0, v112
	v_cvt_i32_f32_e32 v113, v113
	v_fmac_f32_e32 v164, 0x32a5705f, v91
	v_fma_f32 v105, 0x3fb8aa3b, v100, -v103
	v_rndne_f32_e32 v111, v103
	v_exp_f32_e32 v97, v97
	v_sub_f32_e32 v162, v162, v165
	v_ldexp_f32 v90, v90, v104
	v_fmac_f32_e32 v105, 0x32a5705f, v100
	v_sub_f32_e32 v103, v103, v111
	v_cvt_i32_f32_e32 v111, v111
	v_cvt_f16_f32_e32 v151, v107
	v_cndmask_b32_e32 v90, 0, v90, vcc_lo
	v_cmp_nlt_f32_e32 vcc_lo, 0x42b17218, v112
	v_add_f32_e32 v103, v103, v105
	v_sub_f32_e32 v105, v153, v155
	v_mul_f32_e32 v153, 0x3fb8aa3b, v96
	v_cvt_f16_f32_e32 v152, v88
	v_cndmask_b32_e32 v104, 0x7f800000, v90, vcc_lo
	v_ldexp_f32 v90, v97, v113
	v_exp_f32_e32 v97, v103
	v_add_f32_e32 v103, v105, v154
	v_cmp_ngt_f32_e32 vcc_lo, 0xc2ce8ed0, v110
	v_fma_f32 v112, 0x3fb8aa3b, v96, -v153
	v_rndne_f32_e32 v113, v153
	v_exp_f32_e32 v103, v103
	v_cndmask_b32_e32 v90, 0, v90, vcc_lo
	v_cmp_nlt_f32_e32 vcc_lo, 0x42b17218, v110
	v_fmac_f32_e32 v112, 0x32a5705f, v96
	v_sub_f32_e32 v153, v153, v113
	v_ldexp_f32 v97, v97, v111
	v_cvt_f16_f32_e32 v110, v104
	v_cndmask_b32_e32 v105, 0x7f800000, v90, vcc_lo
	v_cvt_i32_f32_e32 v90, v155
	v_cmp_ngt_f32_e32 vcc_lo, 0xc2ce8ed0, v100
	v_add_f32_e32 v111, v153, v112
	v_pack_b32_f16 v110, v115, v110
	v_cvt_f16_f32_e32 v112, v105
	v_ldexp_f32 v90, v103, v90
	v_cndmask_b32_e32 v97, 0, v97, vcc_lo
	v_cmp_ngt_f32_e32 vcc_lo, 0xc2ce8ed0, v98
	v_exp_f32_e32 v111, v111
	v_pack_b32_f16 v112, v118, v112
	v_cndmask_b32_e32 v90, 0, v90, vcc_lo
	v_cmp_nlt_f32_e32 vcc_lo, 0x42b17218, v100
	v_sub_f32_e32 v100, v114, v8
	v_cndmask_b32_e32 v103, 0x7f800000, v97, vcc_lo
	v_cvt_i32_f32_e32 v97, v113
	v_cmp_nlt_f32_e32 vcc_lo, 0x42b17218, v98
	v_sub_f32_e32 v98, v102, v8
	v_mul_f32_e32 v102, 0x3fb8aa3b, v100
	v_cvt_f16_f32_e32 v114, v103
	v_ldexp_f32 v97, v111, v97
	v_cndmask_b32_e32 v90, 0x7f800000, v90, vcc_lo
	v_mul_f32_e32 v111, 0x3fb8aa3b, v98
	v_fma_f32 v113, 0x3fb8aa3b, v100, -v102
	v_rndne_f32_e32 v154, v102
	v_cmp_ngt_f32_e32 vcc_lo, 0xc2ce8ed0, v96
	v_cvt_f16_f32_e32 v153, v90
	v_fma_f32 v155, 0x3fb8aa3b, v98, -v111
	v_rndne_f32_e32 v156, v111
	v_fmac_f32_e32 v113, 0x32a5705f, v100
	v_sub_f32_e32 v99, v102, v154
	v_cndmask_b32_e32 v97, 0, v97, vcc_lo
	v_fmac_f32_e32 v155, 0x32a5705f, v98
	v_sub_f32_e32 v111, v111, v156
	v_cmp_nlt_f32_e32 vcc_lo, 0x42b17218, v96
	v_add_f32_e32 v96, v99, v113
	v_fma_f32 v99, 0x3fb8aa3b, v157, -v158
	v_mul_f32_e32 v113, 0x3fb8aa3b, v93
	v_cvt_i32_f32_e32 v154, v154
	v_cndmask_b32_e32 v102, 0x7f800000, v97, vcc_lo
	v_add_f32_e32 v97, v111, v155
	v_rndne_f32_e32 v111, v158
	v_exp_f32_e32 v96, v96
	v_fmac_f32_e32 v99, 0x32a5705f, v157
	v_rndne_f32_e32 v159, v113
	v_exp_f32_e32 v97, v97
	v_sub_f32_e32 v155, v158, v111
	v_fma_f32 v158, 0x3fb8aa3b, v93, -v113
	v_cvt_i32_f32_e32 v156, v156
	v_cmp_ngt_f32_e32 vcc_lo, 0xc2ce8ed0, v100
	v_sub_f32_e32 v113, v113, v159
	v_add_f32_e32 v99, v155, v99
	v_sub_f32_e32 v155, v95, v8
	v_ldexp_f32 v95, v96, v154
	v_fmac_f32_e32 v158, 0x32a5705f, v93
	v_ldexp_f32 v96, v97, v156
	v_exp_f32_e32 v97, v99
	v_cvt_i32_f32_e32 v111, v111
	v_cndmask_b32_e32 v95, 0, v95, vcc_lo
	v_cmp_ngt_f32_e32 vcc_lo, 0xc2ce8ed0, v98
	v_add_f32_e32 v99, v113, v158
	v_pack_b32_f16 v114, v151, v114
	v_cndmask_b32_e32 v96, 0, v96, vcc_lo
	v_cmp_nlt_f32_e32 vcc_lo, 0x42b17218, v100
	v_exp_f32_e32 v113, v99
	v_cndmask_b32_e32 v99, 0x7f800000, v95, vcc_lo
	v_cmp_nlt_f32_e32 vcc_lo, 0x42b17218, v98
	v_ldexp_f32 v95, v97, v111
	v_sub_f32_e32 v97, v117, v9
	v_cvt_f16_f32_e32 v111, v99
	v_cndmask_b32_e32 v100, 0x7f800000, v96, vcc_lo
	v_cmp_ngt_f32_e32 vcc_lo, 0xc2ce8ed0, v157
	v_cvt_i32_f32_e32 v96, v159
	v_mul_f32_e32 v156, 0x3fb8aa3b, v97
	v_mul_f32_e32 v159, 0x3fb8aa3b, v116
	v_cvt_f16_f32_e32 v154, v100
	v_cndmask_b32_e32 v95, 0, v95, vcc_lo
	v_cmp_nlt_f32_e32 vcc_lo, 0x42b17218, v157
	v_ldexp_f32 v96, v113, v96
	v_rndne_f32_e32 v158, v156
	v_cndmask_b32_e32 v98, 0x7f800000, v95, vcc_lo
	v_cmp_ngt_f32_e32 vcc_lo, 0xc2ce8ed0, v93
	v_mul_f32_e32 v95, 0x3fb8aa3b, v155
	v_cvt_f16_f32_e32 v117, v98
	v_cndmask_b32_e32 v96, 0, v96, vcc_lo
	v_cmp_nlt_f32_e32 vcc_lo, 0x42b17218, v93
	v_fma_f32 v113, 0x3fb8aa3b, v155, -v95
	v_rndne_f32_e32 v157, v95
	v_cndmask_b32_e32 v93, 0x7f800000, v96, vcc_lo
	v_fma_f32 v96, 0x3fb8aa3b, v97, -v156
	v_fmac_f32_e32 v113, 0x32a5705f, v155
	v_sub_f32_e32 v95, v95, v157
	v_sub_f32_e32 v156, v156, v158
	v_cvt_i32_f32_e32 v158, v158
	v_fmac_f32_e32 v96, 0x32a5705f, v97
	v_cmp_ngt_f32_e32 vcc_lo, 0xc2ce8ed0, v97
	v_add_f32_e32 v161, v95, v113
	v_fma_f32 v95, 0x3fb8aa3b, v116, -v159
	v_rndne_f32_e32 v113, v159
	v_add_f32_e32 v96, v156, v96
	v_cvt_f16_f32_e32 v160, v93
	v_exp_f32_e32 v118, v161
	v_fmac_f32_e32 v95, 0x32a5705f, v116
	v_sub_f32_e32 v156, v159, v113
	v_mul_f32_e32 v159, 0x3fb8aa3b, v101
	v_exp_f32_e32 v96, v96
	v_cvt_i32_f32_e32 v113, v113
	v_cvt_i32_f32_e32 v151, v157
	v_add_f32_e32 v95, v156, v95
	v_fma_f32 v156, 0x3fb8aa3b, v101, -v159
	v_rndne_f32_e32 v163, v159
	v_exp_f32_e32 v95, v95
	v_fmac_f32_e32 v156, 0x32a5705f, v101
	v_sub_f32_e32 v159, v159, v163
	v_ldexp_f32 v96, v96, v158
	v_add_f32_e32 v158, v162, v164
	v_mul_f32_e32 v162, 0x3fb8aa3b, v94
	v_add_f32_e32 v156, v159, v156
	v_cndmask_b32_e32 v96, 0, v96, vcc_lo
	v_cmp_nlt_f32_e32 vcc_lo, 0x42b17218, v97
	v_ldexp_f32 v95, v95, v113
	v_cvt_i32_f32_e32 v159, v165
	v_exp_f32_e32 v113, v156
	v_exp_f32_e32 v156, v158
	v_cndmask_b32_e32 v96, 0x7f800000, v96, vcc_lo
	v_cmp_ngt_f32_e32 vcc_lo, 0xc2ce8ed0, v116
	v_cvt_i32_f32_e32 v158, v163
	v_cndmask_b32_e32 v95, 0, v95, vcc_lo
	v_cmp_nlt_f32_e32 vcc_lo, 0x42b17218, v116
	v_fma_f32 v116, 0x3fb8aa3b, v94, -v162
	v_cndmask_b32_e32 v97, 0x7f800000, v95, vcc_lo
	v_ldexp_f32 v95, v113, v158
	v_cmp_ngt_f32_e32 vcc_lo, 0xc2ce8ed0, v101
	v_ldexp_f32 v113, v156, v159
	v_rndne_f32_e32 v156, v162
	v_fmac_f32_e32 v116, 0x32a5705f, v94
	v_cndmask_b32_e32 v95, 0, v95, vcc_lo
	v_cmp_ngt_f32_e32 vcc_lo, 0xc2ce8ed0, v91
	v_sub_f32_e32 v158, v162, v156
	v_cvt_i32_f32_e32 v156, v156
	v_cndmask_b32_e32 v113, 0, v113, vcc_lo
	v_cmp_nlt_f32_e32 vcc_lo, 0x42b17218, v101
	v_add_f32_e32 v101, v158, v116
	v_cvt_f16_f32_e32 v116, v97
	v_cndmask_b32_e32 v95, 0x7f800000, v95, vcc_lo
	v_cmp_nlt_f32_e32 vcc_lo, 0x42b17218, v91
	v_exp_f32_e32 v101, v101
	v_cvt_f16_f32_e32 v158, v95
	v_cndmask_b32_e32 v91, 0x7f800000, v113, vcc_lo
	v_cvt_f16_f32_e32 v113, v96
	v_cmp_ngt_f32_e32 vcc_lo, 0xc2ce8ed0, v94
	v_add_f32_e32 v96, v96, v97
	v_pack_b32_f16 v115, v117, v158
	v_cvt_f16_f32_e32 v159, v91
	v_pack_b32_f16 v111, v111, v113
	v_pack_b32_f16 v113, v154, v116
	v_ldexp_f32 v101, v101, v156
	v_pack_b32_f16 v116, v152, v153
	v_pack_b32_f16 v117, v160, v159
	ds_write2_b64 v83, v[110:111], v[112:113] offset1:32
	ds_write2_b64 v83, v[114:115], v[116:117] offset0:64 offset1:96
	s_waitcnt vmcnt(7)
	ds_write_b128 v72, v[119:122]
	s_waitcnt vmcnt(6)
	ds_write_b128 v75, v[123:126]
	;; [unrolled: 2-line block ×8, first 2 shown]
	s_waitcnt lgkmcnt(0)
	s_barrier
	buffer_gl0_inv
	ds_read_b128 v[110:113], v74
	v_ldexp_f32 v114, v118, v151
	v_cndmask_b32_e32 v101, 0, v101, vcc_lo
	v_cmp_ngt_f32_e32 vcc_lo, 0xc2ce8ed0, v155
	ds_read2_b32 v[118:119], v47 offset1:32
	v_cvt_f16_f32_e32 v115, v106
	v_cvt_f16_f32_e32 v116, v102
	v_cndmask_b32_e32 v114, 0, v114, vcc_lo
	v_cmp_nlt_f32_e32 vcc_lo, 0x42b17218, v94
	v_mul_u32_u24_sdwa v122, v115, v85 dst_sel:DWORD dst_unused:UNUSED_PAD src0_sel:WORD_0 src1_sel:DWORD
	v_mul_u32_u24_sdwa v123, v116, v85 dst_sel:DWORD dst_unused:UNUSED_PAD src0_sel:WORD_0 src1_sel:DWORD
	v_cndmask_b32_e32 v94, 0x7f800000, v101, vcc_lo
	v_cmp_nlt_f32_e32 vcc_lo, 0x42b17218, v155
	v_cndmask_b32_e32 v101, 0x7f800000, v114, vcc_lo
	v_cvt_f16_f32_e32 v114, v94
	v_cvt_f16_f32_e32 v120, v101
	v_mul_u32_u24_sdwa v121, v114, v85 dst_sel:DWORD dst_unused:UNUSED_PAD src0_sel:WORD_0 src1_sel:DWORD
	ds_read_b128 v[114:117], v74 offset:16
	s_waitcnt lgkmcnt(2)
	v_mul_u32_u24_sdwa v124, v110, v85 dst_sel:DWORD dst_unused:UNUSED_PAD src0_sel:WORD_0 src1_sel:DWORD
	v_mul_u32_u24_sdwa v110, v110, v85 dst_sel:DWORD dst_unused:UNUSED_PAD src0_sel:WORD_1 src1_sel:DWORD
	v_mul_u32_u24_sdwa v125, v111, v85 dst_sel:DWORD dst_unused:UNUSED_PAD src0_sel:WORD_0 src1_sel:DWORD
	v_mul_u32_u24_sdwa v126, v120, v85 dst_sel:DWORD dst_unused:UNUSED_PAD src0_sel:WORD_0 src1_sel:DWORD
	v_pk_mul_f16 v55, v55, v121
	s_waitcnt lgkmcnt(1)
	v_pk_mul_f16 v124, v118, v124
	v_pk_mul_f16 v110, v118, v110
	;; [unrolled: 1-line block ×3, first 2 shown]
	v_mul_u32_u24_sdwa v111, v111, v85 dst_sel:DWORD dst_unused:UNUSED_PAD src0_sel:WORD_1 src1_sel:DWORD
	ds_read2_b32 v[120:121], v47 offset0:64 offset1:96
	v_pk_fma_f16 v50, v50, v122, v124
	v_pk_fma_f16 v49, v49, v123, v110
	;; [unrolled: 1-line block ×4, first 2 shown]
	v_mul_u32_u24_sdwa v118, v112, v85 dst_sel:DWORD dst_unused:UNUSED_PAD src0_sel:WORD_0 src1_sel:DWORD
	v_mul_u32_u24_sdwa v122, v112, v85 dst_sel:DWORD dst_unused:UNUSED_PAD src0_sel:WORD_1 src1_sel:DWORD
	v_mul_u32_u24_sdwa v123, v113, v85 dst_sel:DWORD dst_unused:UNUSED_PAD src0_sel:WORD_0 src1_sel:DWORD
	v_mul_u32_u24_sdwa v124, v113, v85 dst_sel:DWORD dst_unused:UNUSED_PAD src0_sel:WORD_1 src1_sel:DWORD
	ds_read_b128 v[110:113], v74 offset:32
	v_pk_fma_f16 v50, v119, v118, v50
	v_pk_fma_f16 v118, v119, v122, v49
	;; [unrolled: 1-line block ×3, first 2 shown]
	ds_read2_b32 v[48:49], v47 offset0:128 offset1:160
	v_pk_fma_f16 v55, v119, v124, v55
	s_waitcnt lgkmcnt(3)
	v_mul_u32_u24_sdwa v119, v114, v85 dst_sel:DWORD dst_unused:UNUSED_PAD src0_sel:WORD_0 src1_sel:DWORD
	v_mul_u32_u24_sdwa v114, v114, v85 dst_sel:DWORD dst_unused:UNUSED_PAD src0_sel:WORD_1 src1_sel:DWORD
	v_mul_u32_u24_sdwa v123, v115, v85 dst_sel:DWORD dst_unused:UNUSED_PAD src0_sel:WORD_0 src1_sel:DWORD
	v_mul_u32_u24_sdwa v115, v115, v85 dst_sel:DWORD dst_unused:UNUSED_PAD src0_sel:WORD_1 src1_sel:DWORD
	v_mul_u32_u24_sdwa v124, v117, v85 dst_sel:DWORD dst_unused:UNUSED_PAD src0_sel:WORD_1 src1_sel:DWORD
	s_waitcnt lgkmcnt(2)
	v_pk_fma_f16 v50, v120, v119, v50
	v_pk_fma_f16 v118, v120, v114, v118
	;; [unrolled: 1-line block ×4, first 2 shown]
	v_mul_u32_u24_sdwa v120, v116, v85 dst_sel:DWORD dst_unused:UNUSED_PAD src0_sel:WORD_0 src1_sel:DWORD
	v_mul_u32_u24_sdwa v122, v116, v85 dst_sel:DWORD dst_unused:UNUSED_PAD src0_sel:WORD_1 src1_sel:DWORD
	v_mul_u32_u24_sdwa v123, v117, v85 dst_sel:DWORD dst_unused:UNUSED_PAD src0_sel:WORD_0 src1_sel:DWORD
	ds_read_b128 v[114:117], v74 offset:48
	v_pk_fma_f16 v55, v121, v124, v55
	v_pk_fma_f16 v50, v121, v120, v50
	;; [unrolled: 1-line block ×4, first 2 shown]
	s_waitcnt lgkmcnt(2)
	v_mul_u32_u24_sdwa v121, v110, v85 dst_sel:DWORD dst_unused:UNUSED_PAD src0_sel:WORD_0 src1_sel:DWORD
	v_mul_u32_u24_sdwa v110, v110, v85 dst_sel:DWORD dst_unused:UNUSED_PAD src0_sel:WORD_1 src1_sel:DWORD
	v_mul_u32_u24_sdwa v123, v111, v85 dst_sel:DWORD dst_unused:UNUSED_PAD src0_sel:WORD_0 src1_sel:DWORD
	ds_read2_b32 v[118:119], v47 offset0:192 offset1:224
	v_mul_u32_u24_sdwa v111, v111, v85 dst_sel:DWORD dst_unused:UNUSED_PAD src0_sel:WORD_1 src1_sel:DWORD
	s_waitcnt lgkmcnt(2)
	v_pk_fma_f16 v50, v48, v121, v50
	v_pk_fma_f16 v110, v48, v110, v120
	;; [unrolled: 1-line block ×3, first 2 shown]
	v_mul_u32_u24_sdwa v121, v112, v85 dst_sel:DWORD dst_unused:UNUSED_PAD src0_sel:WORD_0 src1_sel:DWORD
	v_mul_u32_u24_sdwa v112, v112, v85 dst_sel:DWORD dst_unused:UNUSED_PAD src0_sel:WORD_1 src1_sel:DWORD
	v_mul_u32_u24_sdwa v122, v113, v85 dst_sel:DWORD dst_unused:UNUSED_PAD src0_sel:WORD_0 src1_sel:DWORD
	v_pk_fma_f16 v48, v48, v111, v55
	v_mul_u32_u24_sdwa v55, v113, v85 dst_sel:DWORD dst_unused:UNUSED_PAD src0_sel:WORD_1 src1_sel:DWORD
	v_pk_fma_f16 v50, v49, v121, v50
	v_pk_fma_f16 v121, v49, v112, v110
	;; [unrolled: 1-line block ×3, first 2 shown]
	v_add_nc_u32_e32 v122, 0x400, v47
	ds_read_b128 v[110:113], v74 offset:64
	v_pk_fma_f16 v55, v49, v55, v48
	s_waitcnt lgkmcnt(2)
	v_mul_u32_u24_sdwa v123, v114, v85 dst_sel:DWORD dst_unused:UNUSED_PAD src0_sel:WORD_0 src1_sel:DWORD
	v_mul_u32_u24_sdwa v114, v114, v85 dst_sel:DWORD dst_unused:UNUSED_PAD src0_sel:WORD_1 src1_sel:DWORD
	ds_read2_b32 v[48:49], v122 offset1:32
	v_mul_u32_u24_sdwa v124, v115, v85 dst_sel:DWORD dst_unused:UNUSED_PAD src0_sel:WORD_0 src1_sel:DWORD
	v_mul_u32_u24_sdwa v115, v115, v85 dst_sel:DWORD dst_unused:UNUSED_PAD src0_sel:WORD_1 src1_sel:DWORD
	s_waitcnt lgkmcnt(2)
	v_pk_fma_f16 v50, v118, v123, v50
	v_pk_fma_f16 v114, v118, v114, v121
	v_mul_u32_u24_sdwa v121, v116, v85 dst_sel:DWORD dst_unused:UNUSED_PAD src0_sel:WORD_0 src1_sel:DWORD
	v_mul_u32_u24_sdwa v116, v116, v85 dst_sel:DWORD dst_unused:UNUSED_PAD src0_sel:WORD_1 src1_sel:DWORD
	v_pk_fma_f16 v120, v118, v124, v120
	v_pk_fma_f16 v55, v118, v115, v55
	v_mul_u32_u24_sdwa v118, v117, v85 dst_sel:DWORD dst_unused:UNUSED_PAD src0_sel:WORD_0 src1_sel:DWORD
	v_mul_u32_u24_sdwa v123, v117, v85 dst_sel:DWORD dst_unused:UNUSED_PAD src0_sel:WORD_1 src1_sel:DWORD
	v_pk_fma_f16 v50, v119, v121, v50
	v_pk_fma_f16 v121, v119, v116, v114
	ds_read_b128 v[114:117], v74 offset:80
	v_pk_fma_f16 v120, v119, v118, v120
	v_pk_fma_f16 v55, v119, v123, v55
	s_waitcnt lgkmcnt(2)
	v_mul_u32_u24_sdwa v123, v110, v85 dst_sel:DWORD dst_unused:UNUSED_PAD src0_sel:WORD_0 src1_sel:DWORD
	v_mul_u32_u24_sdwa v110, v110, v85 dst_sel:DWORD dst_unused:UNUSED_PAD src0_sel:WORD_1 src1_sel:DWORD
	ds_read2_b32 v[118:119], v122 offset0:64 offset1:96
	v_mul_u32_u24_sdwa v124, v111, v85 dst_sel:DWORD dst_unused:UNUSED_PAD src0_sel:WORD_0 src1_sel:DWORD
	v_mul_u32_u24_sdwa v111, v111, v85 dst_sel:DWORD dst_unused:UNUSED_PAD src0_sel:WORD_1 src1_sel:DWORD
	s_waitcnt lgkmcnt(2)
	v_pk_fma_f16 v50, v48, v123, v50
	v_pk_fma_f16 v110, v48, v110, v121
	v_mul_u32_u24_sdwa v121, v112, v85 dst_sel:DWORD dst_unused:UNUSED_PAD src0_sel:WORD_0 src1_sel:DWORD
	v_mul_u32_u24_sdwa v112, v112, v85 dst_sel:DWORD dst_unused:UNUSED_PAD src0_sel:WORD_1 src1_sel:DWORD
	v_pk_fma_f16 v120, v48, v124, v120
	v_pk_fma_f16 v48, v48, v111, v55
	v_mul_u32_u24_sdwa v55, v113, v85 dst_sel:DWORD dst_unused:UNUSED_PAD src0_sel:WORD_0 src1_sel:DWORD
	v_mul_u32_u24_sdwa v123, v113, v85 dst_sel:DWORD dst_unused:UNUSED_PAD src0_sel:WORD_1 src1_sel:DWORD
	v_pk_fma_f16 v124, v49, v112, v110
	ds_read_b128 v[110:113], v74 offset:96
	v_pk_fma_f16 v50, v49, v121, v50
	v_pk_fma_f16 v55, v49, v55, v120
	s_waitcnt lgkmcnt(2)
	v_mul_u32_u24_sdwa v125, v114, v85 dst_sel:DWORD dst_unused:UNUSED_PAD src0_sel:WORD_0 src1_sel:DWORD
	v_mul_u32_u24_sdwa v114, v114, v85 dst_sel:DWORD dst_unused:UNUSED_PAD src0_sel:WORD_1 src1_sel:DWORD
	ds_read2_b32 v[120:121], v122 offset0:128 offset1:160
	v_mul_u32_u24_sdwa v126, v115, v85 dst_sel:DWORD dst_unused:UNUSED_PAD src0_sel:WORD_0 src1_sel:DWORD
	v_pk_fma_f16 v48, v49, v123, v48
	v_mul_u32_u24_sdwa v49, v115, v85 dst_sel:DWORD dst_unused:UNUSED_PAD src0_sel:WORD_1 src1_sel:DWORD
	s_waitcnt lgkmcnt(2)
	v_pk_fma_f16 v50, v118, v125, v50
	v_pk_fma_f16 v114, v118, v114, v124
	v_mul_u32_u24_sdwa v115, v116, v85 dst_sel:DWORD dst_unused:UNUSED_PAD src0_sel:WORD_0 src1_sel:DWORD
	v_mul_u32_u24_sdwa v116, v116, v85 dst_sel:DWORD dst_unused:UNUSED_PAD src0_sel:WORD_1 src1_sel:DWORD
	v_pk_fma_f16 v55, v118, v126, v55
	v_mul_u32_u24_sdwa v123, v117, v85 dst_sel:DWORD dst_unused:UNUSED_PAD src0_sel:WORD_0 src1_sel:DWORD
	v_pk_fma_f16 v48, v118, v49, v48
	v_mul_u32_u24_sdwa v49, v117, v85 dst_sel:DWORD dst_unused:UNUSED_PAD src0_sel:WORD_1 src1_sel:DWORD
	v_pk_fma_f16 v50, v119, v115, v50
	v_pk_fma_f16 v118, v119, v116, v114
	ds_read_b128 v[114:117], v74 offset:112
	v_pk_fma_f16 v55, v119, v123, v55
	s_waitcnt lgkmcnt(2)
	v_mul_u32_u24_sdwa v123, v110, v85 dst_sel:DWORD dst_unused:UNUSED_PAD src0_sel:WORD_0 src1_sel:DWORD
	v_pk_fma_f16 v119, v119, v49, v48
	v_mul_u32_u24_sdwa v110, v110, v85 dst_sel:DWORD dst_unused:UNUSED_PAD src0_sel:WORD_1 src1_sel:DWORD
	v_mul_u32_u24_sdwa v124, v111, v85 dst_sel:DWORD dst_unused:UNUSED_PAD src0_sel:WORD_0 src1_sel:DWORD
	v_mul_u32_u24_sdwa v111, v111, v85 dst_sel:DWORD dst_unused:UNUSED_PAD src0_sel:WORD_1 src1_sel:DWORD
	ds_read2_b32 v[48:49], v122 offset0:192 offset1:224
	s_waitcnt lgkmcnt(2)
	v_pk_fma_f16 v50, v120, v123, v50
	v_pk_fma_f16 v110, v120, v110, v118
	;; [unrolled: 1-line block ×4, first 2 shown]
	v_mul_u32_u24_sdwa v118, v112, v85 dst_sel:DWORD dst_unused:UNUSED_PAD src0_sel:WORD_0 src1_sel:DWORD
	v_mul_u32_u24_sdwa v112, v112, v85 dst_sel:DWORD dst_unused:UNUSED_PAD src0_sel:WORD_1 src1_sel:DWORD
	v_mul_u32_u24_sdwa v119, v113, v85 dst_sel:DWORD dst_unused:UNUSED_PAD src0_sel:WORD_0 src1_sel:DWORD
	v_mul_u32_u24_sdwa v113, v113, v85 dst_sel:DWORD dst_unused:UNUSED_PAD src0_sel:WORD_1 src1_sel:DWORD
	v_add_nc_u32_e32 v122, 0x800, v47
	v_pk_fma_f16 v50, v121, v118, v50
	v_pk_fma_f16 v120, v121, v112, v110
	;; [unrolled: 1-line block ×4, first 2 shown]
	ds_read_b128 v[110:113], v74 offset:128
	s_waitcnt lgkmcnt(2)
	v_mul_u32_u24_sdwa v123, v114, v85 dst_sel:DWORD dst_unused:UNUSED_PAD src0_sel:WORD_0 src1_sel:DWORD
	v_mul_u32_u24_sdwa v114, v114, v85 dst_sel:DWORD dst_unused:UNUSED_PAD src0_sel:WORD_1 src1_sel:DWORD
	v_mul_u32_u24_sdwa v124, v115, v85 dst_sel:DWORD dst_unused:UNUSED_PAD src0_sel:WORD_0 src1_sel:DWORD
	v_mul_u32_u24_sdwa v115, v115, v85 dst_sel:DWORD dst_unused:UNUSED_PAD src0_sel:WORD_1 src1_sel:DWORD
	ds_read2_b32 v[118:119], v122 offset1:32
	s_waitcnt lgkmcnt(2)
	v_pk_fma_f16 v50, v48, v123, v50
	v_pk_fma_f16 v114, v48, v114, v120
	;; [unrolled: 1-line block ×4, first 2 shown]
	v_mul_u32_u24_sdwa v115, v116, v85 dst_sel:DWORD dst_unused:UNUSED_PAD src0_sel:WORD_0 src1_sel:DWORD
	v_mul_u32_u24_sdwa v116, v116, v85 dst_sel:DWORD dst_unused:UNUSED_PAD src0_sel:WORD_1 src1_sel:DWORD
	v_mul_u32_u24_sdwa v120, v117, v85 dst_sel:DWORD dst_unused:UNUSED_PAD src0_sel:WORD_0 src1_sel:DWORD
	v_mul_u32_u24_sdwa v117, v117, v85 dst_sel:DWORD dst_unused:UNUSED_PAD src0_sel:WORD_1 src1_sel:DWORD
	v_pk_fma_f16 v50, v49, v115, v50
	v_pk_fma_f16 v121, v49, v116, v114
	;; [unrolled: 1-line block ×4, first 2 shown]
	ds_read_b128 v[114:117], v74 offset:144
	s_waitcnt lgkmcnt(2)
	v_mul_u32_u24_sdwa v123, v110, v85 dst_sel:DWORD dst_unused:UNUSED_PAD src0_sel:WORD_0 src1_sel:DWORD
	v_mul_u32_u24_sdwa v110, v110, v85 dst_sel:DWORD dst_unused:UNUSED_PAD src0_sel:WORD_1 src1_sel:DWORD
	v_mul_u32_u24_sdwa v124, v111, v85 dst_sel:DWORD dst_unused:UNUSED_PAD src0_sel:WORD_0 src1_sel:DWORD
	v_mul_u32_u24_sdwa v111, v111, v85 dst_sel:DWORD dst_unused:UNUSED_PAD src0_sel:WORD_1 src1_sel:DWORD
	ds_read2_b32 v[48:49], v122 offset0:64 offset1:96
	s_waitcnt lgkmcnt(2)
	v_pk_fma_f16 v50, v118, v123, v50
	v_pk_fma_f16 v110, v118, v110, v121
	;; [unrolled: 1-line block ×4, first 2 shown]
	v_mul_u32_u24_sdwa v118, v112, v85 dst_sel:DWORD dst_unused:UNUSED_PAD src0_sel:WORD_0 src1_sel:DWORD
	v_mul_u32_u24_sdwa v112, v112, v85 dst_sel:DWORD dst_unused:UNUSED_PAD src0_sel:WORD_1 src1_sel:DWORD
	v_mul_u32_u24_sdwa v120, v113, v85 dst_sel:DWORD dst_unused:UNUSED_PAD src0_sel:WORD_0 src1_sel:DWORD
	v_mul_u32_u24_sdwa v113, v113, v85 dst_sel:DWORD dst_unused:UNUSED_PAD src0_sel:WORD_1 src1_sel:DWORD
	v_pk_fma_f16 v50, v119, v118, v50
	v_pk_fma_f16 v121, v119, v112, v110
	;; [unrolled: 1-line block ×4, first 2 shown]
	ds_read_b128 v[110:113], v74 offset:160
	s_waitcnt lgkmcnt(2)
	v_mul_u32_u24_sdwa v123, v114, v85 dst_sel:DWORD dst_unused:UNUSED_PAD src0_sel:WORD_0 src1_sel:DWORD
	v_mul_u32_u24_sdwa v114, v114, v85 dst_sel:DWORD dst_unused:UNUSED_PAD src0_sel:WORD_1 src1_sel:DWORD
	v_mul_u32_u24_sdwa v124, v115, v85 dst_sel:DWORD dst_unused:UNUSED_PAD src0_sel:WORD_0 src1_sel:DWORD
	v_mul_u32_u24_sdwa v115, v115, v85 dst_sel:DWORD dst_unused:UNUSED_PAD src0_sel:WORD_1 src1_sel:DWORD
	ds_read2_b32 v[118:119], v122 offset0:128 offset1:160
	s_waitcnt lgkmcnt(2)
	v_pk_fma_f16 v50, v48, v123, v50
	v_pk_fma_f16 v114, v48, v114, v121
	;; [unrolled: 1-line block ×4, first 2 shown]
	v_mul_u32_u24_sdwa v115, v116, v85 dst_sel:DWORD dst_unused:UNUSED_PAD src0_sel:WORD_0 src1_sel:DWORD
	v_mul_u32_u24_sdwa v116, v116, v85 dst_sel:DWORD dst_unused:UNUSED_PAD src0_sel:WORD_1 src1_sel:DWORD
	v_mul_u32_u24_sdwa v120, v117, v85 dst_sel:DWORD dst_unused:UNUSED_PAD src0_sel:WORD_0 src1_sel:DWORD
	v_mul_u32_u24_sdwa v117, v117, v85 dst_sel:DWORD dst_unused:UNUSED_PAD src0_sel:WORD_1 src1_sel:DWORD
	v_pk_fma_f16 v50, v49, v115, v50
	v_pk_fma_f16 v121, v49, v116, v114
	;; [unrolled: 1-line block ×4, first 2 shown]
	ds_read_b128 v[114:117], v74 offset:176
	s_waitcnt lgkmcnt(2)
	v_mul_u32_u24_sdwa v123, v110, v85 dst_sel:DWORD dst_unused:UNUSED_PAD src0_sel:WORD_0 src1_sel:DWORD
	v_mul_u32_u24_sdwa v110, v110, v85 dst_sel:DWORD dst_unused:UNUSED_PAD src0_sel:WORD_1 src1_sel:DWORD
	v_mul_u32_u24_sdwa v124, v111, v85 dst_sel:DWORD dst_unused:UNUSED_PAD src0_sel:WORD_0 src1_sel:DWORD
	ds_read2_b32 v[48:49], v122 offset0:192 offset1:224
	v_mul_u32_u24_sdwa v111, v111, v85 dst_sel:DWORD dst_unused:UNUSED_PAD src0_sel:WORD_1 src1_sel:DWORD
	s_waitcnt lgkmcnt(2)
	v_pk_fma_f16 v50, v118, v123, v50
	v_pk_fma_f16 v110, v118, v110, v121
	;; [unrolled: 1-line block ×3, first 2 shown]
	v_mul_u32_u24_sdwa v121, v112, v85 dst_sel:DWORD dst_unused:UNUSED_PAD src0_sel:WORD_0 src1_sel:DWORD
	v_mul_u32_u24_sdwa v112, v112, v85 dst_sel:DWORD dst_unused:UNUSED_PAD src0_sel:WORD_1 src1_sel:DWORD
	v_mul_u32_u24_sdwa v122, v113, v85 dst_sel:DWORD dst_unused:UNUSED_PAD src0_sel:WORD_0 src1_sel:DWORD
	v_pk_fma_f16 v118, v118, v111, v120
	v_mul_u32_u24_sdwa v120, v113, v85 dst_sel:DWORD dst_unused:UNUSED_PAD src0_sel:WORD_1 src1_sel:DWORD
	v_pk_fma_f16 v50, v119, v121, v50
	v_pk_fma_f16 v121, v119, v112, v110
	;; [unrolled: 1-line block ×3, first 2 shown]
	v_add_nc_u32_e32 v122, 0xc00, v47
	ds_read_b128 v[110:113], v74 offset:192
	v_pk_fma_f16 v120, v119, v120, v118
	s_waitcnt lgkmcnt(2)
	v_mul_u32_u24_sdwa v123, v114, v85 dst_sel:DWORD dst_unused:UNUSED_PAD src0_sel:WORD_0 src1_sel:DWORD
	v_mul_u32_u24_sdwa v114, v114, v85 dst_sel:DWORD dst_unused:UNUSED_PAD src0_sel:WORD_1 src1_sel:DWORD
	ds_read2_b32 v[118:119], v122 offset1:32
	v_mul_u32_u24_sdwa v124, v115, v85 dst_sel:DWORD dst_unused:UNUSED_PAD src0_sel:WORD_0 src1_sel:DWORD
	v_mul_u32_u24_sdwa v115, v115, v85 dst_sel:DWORD dst_unused:UNUSED_PAD src0_sel:WORD_1 src1_sel:DWORD
	s_waitcnt lgkmcnt(2)
	v_pk_fma_f16 v50, v48, v123, v50
	v_pk_fma_f16 v114, v48, v114, v121
	v_mul_u32_u24_sdwa v121, v116, v85 dst_sel:DWORD dst_unused:UNUSED_PAD src0_sel:WORD_0 src1_sel:DWORD
	v_mul_u32_u24_sdwa v116, v116, v85 dst_sel:DWORD dst_unused:UNUSED_PAD src0_sel:WORD_1 src1_sel:DWORD
	v_pk_fma_f16 v55, v48, v124, v55
	v_pk_fma_f16 v48, v48, v115, v120
	v_mul_u32_u24_sdwa v120, v117, v85 dst_sel:DWORD dst_unused:UNUSED_PAD src0_sel:WORD_0 src1_sel:DWORD
	v_mul_u32_u24_sdwa v123, v117, v85 dst_sel:DWORD dst_unused:UNUSED_PAD src0_sel:WORD_1 src1_sel:DWORD
	v_pk_fma_f16 v50, v49, v121, v50
	v_pk_fma_f16 v121, v49, v116, v114
	ds_read_b128 v[114:117], v74 offset:208
	v_pk_fma_f16 v55, v49, v120, v55
	v_pk_fma_f16 v120, v49, v123, v48
	s_waitcnt lgkmcnt(2)
	v_mul_u32_u24_sdwa v123, v110, v85 dst_sel:DWORD dst_unused:UNUSED_PAD src0_sel:WORD_0 src1_sel:DWORD
	v_mul_u32_u24_sdwa v110, v110, v85 dst_sel:DWORD dst_unused:UNUSED_PAD src0_sel:WORD_1 src1_sel:DWORD
	ds_read2_b32 v[48:49], v122 offset0:64 offset1:96
	v_mul_u32_u24_sdwa v124, v111, v85 dst_sel:DWORD dst_unused:UNUSED_PAD src0_sel:WORD_0 src1_sel:DWORD
	v_mul_u32_u24_sdwa v111, v111, v85 dst_sel:DWORD dst_unused:UNUSED_PAD src0_sel:WORD_1 src1_sel:DWORD
	s_waitcnt lgkmcnt(2)
	v_pk_fma_f16 v50, v118, v123, v50
	v_pk_fma_f16 v110, v118, v110, v121
	v_mul_u32_u24_sdwa v121, v112, v85 dst_sel:DWORD dst_unused:UNUSED_PAD src0_sel:WORD_0 src1_sel:DWORD
	v_mul_u32_u24_sdwa v112, v112, v85 dst_sel:DWORD dst_unused:UNUSED_PAD src0_sel:WORD_1 src1_sel:DWORD
	v_pk_fma_f16 v55, v118, v124, v55
	v_pk_fma_f16 v118, v118, v111, v120
	v_mul_u32_u24_sdwa v120, v113, v85 dst_sel:DWORD dst_unused:UNUSED_PAD src0_sel:WORD_0 src1_sel:DWORD
	v_mul_u32_u24_sdwa v123, v113, v85 dst_sel:DWORD dst_unused:UNUSED_PAD src0_sel:WORD_1 src1_sel:DWORD
	v_pk_fma_f16 v124, v119, v112, v110
	ds_read_b128 v[110:113], v74 offset:224
	v_pk_fma_f16 v50, v119, v121, v50
	v_pk_fma_f16 v55, v119, v120, v55
	s_waitcnt lgkmcnt(2)
	v_mul_u32_u24_sdwa v125, v114, v85 dst_sel:DWORD dst_unused:UNUSED_PAD src0_sel:WORD_0 src1_sel:DWORD
	v_mul_u32_u24_sdwa v114, v114, v85 dst_sel:DWORD dst_unused:UNUSED_PAD src0_sel:WORD_1 src1_sel:DWORD
	ds_read2_b32 v[120:121], v122 offset0:128 offset1:160
	v_mul_u32_u24_sdwa v126, v115, v85 dst_sel:DWORD dst_unused:UNUSED_PAD src0_sel:WORD_0 src1_sel:DWORD
	v_pk_fma_f16 v118, v119, v123, v118
	v_mul_u32_u24_sdwa v115, v115, v85 dst_sel:DWORD dst_unused:UNUSED_PAD src0_sel:WORD_1 src1_sel:DWORD
	s_waitcnt lgkmcnt(2)
	v_pk_fma_f16 v50, v48, v125, v50
	v_pk_fma_f16 v114, v48, v114, v124
	v_mul_u32_u24_sdwa v119, v116, v85 dst_sel:DWORD dst_unused:UNUSED_PAD src0_sel:WORD_0 src1_sel:DWORD
	v_mul_u32_u24_sdwa v116, v116, v85 dst_sel:DWORD dst_unused:UNUSED_PAD src0_sel:WORD_1 src1_sel:DWORD
	v_pk_fma_f16 v55, v48, v126, v55
	v_mul_u32_u24_sdwa v123, v117, v85 dst_sel:DWORD dst_unused:UNUSED_PAD src0_sel:WORD_0 src1_sel:DWORD
	v_pk_fma_f16 v48, v48, v115, v118
	v_mul_u32_u24_sdwa v118, v117, v85 dst_sel:DWORD dst_unused:UNUSED_PAD src0_sel:WORD_1 src1_sel:DWORD
	v_pk_fma_f16 v50, v49, v119, v50
	v_pk_fma_f16 v119, v49, v116, v114
	ds_read_b128 v[114:117], v74 offset:240
	v_pk_fma_f16 v55, v49, v123, v55
	s_waitcnt lgkmcnt(2)
	v_mul_u32_u24_sdwa v123, v110, v85 dst_sel:DWORD dst_unused:UNUSED_PAD src0_sel:WORD_0 src1_sel:DWORD
	v_pk_fma_f16 v118, v49, v118, v48
	v_mul_u32_u24_sdwa v110, v110, v85 dst_sel:DWORD dst_unused:UNUSED_PAD src0_sel:WORD_1 src1_sel:DWORD
	v_mul_u32_u24_sdwa v124, v111, v85 dst_sel:DWORD dst_unused:UNUSED_PAD src0_sel:WORD_0 src1_sel:DWORD
	v_mul_u32_u24_sdwa v111, v111, v85 dst_sel:DWORD dst_unused:UNUSED_PAD src0_sel:WORD_1 src1_sel:DWORD
	ds_read2_b32 v[48:49], v122 offset0:192 offset1:224
	s_waitcnt lgkmcnt(2)
	v_pk_fma_f16 v50, v120, v123, v50
	v_pk_fma_f16 v110, v120, v110, v119
	;; [unrolled: 1-line block ×4, first 2 shown]
	v_mul_u32_u24_sdwa v118, v112, v85 dst_sel:DWORD dst_unused:UNUSED_PAD src0_sel:WORD_0 src1_sel:DWORD
	v_mul_u32_u24_sdwa v112, v112, v85 dst_sel:DWORD dst_unused:UNUSED_PAD src0_sel:WORD_1 src1_sel:DWORD
	v_mul_u32_u24_sdwa v119, v113, v85 dst_sel:DWORD dst_unused:UNUSED_PAD src0_sel:WORD_0 src1_sel:DWORD
	v_mul_u32_u24_sdwa v113, v113, v85 dst_sel:DWORD dst_unused:UNUSED_PAD src0_sel:WORD_1 src1_sel:DWORD
	v_add_nc_u32_e32 v122, 0x1000, v47
	v_pk_fma_f16 v50, v121, v118, v50
	v_pk_fma_f16 v120, v121, v112, v110
	;; [unrolled: 1-line block ×4, first 2 shown]
	ds_read_b128 v[110:113], v74 offset:256
	s_waitcnt lgkmcnt(2)
	v_mul_u32_u24_sdwa v123, v114, v85 dst_sel:DWORD dst_unused:UNUSED_PAD src0_sel:WORD_0 src1_sel:DWORD
	v_mul_u32_u24_sdwa v114, v114, v85 dst_sel:DWORD dst_unused:UNUSED_PAD src0_sel:WORD_1 src1_sel:DWORD
	v_mul_u32_u24_sdwa v124, v115, v85 dst_sel:DWORD dst_unused:UNUSED_PAD src0_sel:WORD_0 src1_sel:DWORD
	v_mul_u32_u24_sdwa v115, v115, v85 dst_sel:DWORD dst_unused:UNUSED_PAD src0_sel:WORD_1 src1_sel:DWORD
	ds_read2_b32 v[118:119], v122 offset1:32
	s_waitcnt lgkmcnt(2)
	v_pk_fma_f16 v50, v48, v123, v50
	v_pk_fma_f16 v114, v48, v114, v120
	;; [unrolled: 1-line block ×4, first 2 shown]
	v_mul_u32_u24_sdwa v115, v116, v85 dst_sel:DWORD dst_unused:UNUSED_PAD src0_sel:WORD_0 src1_sel:DWORD
	v_mul_u32_u24_sdwa v116, v116, v85 dst_sel:DWORD dst_unused:UNUSED_PAD src0_sel:WORD_1 src1_sel:DWORD
	v_mul_u32_u24_sdwa v120, v117, v85 dst_sel:DWORD dst_unused:UNUSED_PAD src0_sel:WORD_0 src1_sel:DWORD
	v_mul_u32_u24_sdwa v117, v117, v85 dst_sel:DWORD dst_unused:UNUSED_PAD src0_sel:WORD_1 src1_sel:DWORD
	v_pk_fma_f16 v50, v49, v115, v50
	v_pk_fma_f16 v121, v49, v116, v114
	;; [unrolled: 1-line block ×4, first 2 shown]
	ds_read_b128 v[114:117], v74 offset:272
	s_waitcnt lgkmcnt(2)
	v_mul_u32_u24_sdwa v123, v110, v85 dst_sel:DWORD dst_unused:UNUSED_PAD src0_sel:WORD_0 src1_sel:DWORD
	v_mul_u32_u24_sdwa v110, v110, v85 dst_sel:DWORD dst_unused:UNUSED_PAD src0_sel:WORD_1 src1_sel:DWORD
	v_mul_u32_u24_sdwa v124, v111, v85 dst_sel:DWORD dst_unused:UNUSED_PAD src0_sel:WORD_0 src1_sel:DWORD
	v_mul_u32_u24_sdwa v111, v111, v85 dst_sel:DWORD dst_unused:UNUSED_PAD src0_sel:WORD_1 src1_sel:DWORD
	ds_read2_b32 v[48:49], v122 offset0:64 offset1:96
	s_waitcnt lgkmcnt(2)
	v_pk_fma_f16 v50, v118, v123, v50
	v_pk_fma_f16 v110, v118, v110, v121
	;; [unrolled: 1-line block ×4, first 2 shown]
	v_mul_u32_u24_sdwa v118, v112, v85 dst_sel:DWORD dst_unused:UNUSED_PAD src0_sel:WORD_0 src1_sel:DWORD
	v_mul_u32_u24_sdwa v112, v112, v85 dst_sel:DWORD dst_unused:UNUSED_PAD src0_sel:WORD_1 src1_sel:DWORD
	v_mul_u32_u24_sdwa v120, v113, v85 dst_sel:DWORD dst_unused:UNUSED_PAD src0_sel:WORD_0 src1_sel:DWORD
	v_mul_u32_u24_sdwa v113, v113, v85 dst_sel:DWORD dst_unused:UNUSED_PAD src0_sel:WORD_1 src1_sel:DWORD
	v_pk_fma_f16 v50, v119, v118, v50
	v_pk_fma_f16 v121, v119, v112, v110
	;; [unrolled: 1-line block ×4, first 2 shown]
	ds_read_b128 v[110:113], v74 offset:288
	s_waitcnt lgkmcnt(2)
	v_mul_u32_u24_sdwa v123, v114, v85 dst_sel:DWORD dst_unused:UNUSED_PAD src0_sel:WORD_0 src1_sel:DWORD
	v_mul_u32_u24_sdwa v114, v114, v85 dst_sel:DWORD dst_unused:UNUSED_PAD src0_sel:WORD_1 src1_sel:DWORD
	v_mul_u32_u24_sdwa v124, v115, v85 dst_sel:DWORD dst_unused:UNUSED_PAD src0_sel:WORD_0 src1_sel:DWORD
	v_mul_u32_u24_sdwa v115, v115, v85 dst_sel:DWORD dst_unused:UNUSED_PAD src0_sel:WORD_1 src1_sel:DWORD
	ds_read2_b32 v[118:119], v122 offset0:128 offset1:160
	s_waitcnt lgkmcnt(2)
	v_pk_fma_f16 v50, v48, v123, v50
	v_pk_fma_f16 v114, v48, v114, v121
	v_pk_fma_f16 v55, v48, v124, v55
	v_pk_fma_f16 v48, v48, v115, v120
	v_mul_u32_u24_sdwa v115, v116, v85 dst_sel:DWORD dst_unused:UNUSED_PAD src0_sel:WORD_0 src1_sel:DWORD
	v_mul_u32_u24_sdwa v116, v116, v85 dst_sel:DWORD dst_unused:UNUSED_PAD src0_sel:WORD_1 src1_sel:DWORD
	v_mul_u32_u24_sdwa v120, v117, v85 dst_sel:DWORD dst_unused:UNUSED_PAD src0_sel:WORD_0 src1_sel:DWORD
	v_mul_u32_u24_sdwa v117, v117, v85 dst_sel:DWORD dst_unused:UNUSED_PAD src0_sel:WORD_1 src1_sel:DWORD
	v_pk_fma_f16 v50, v49, v115, v50
	v_pk_fma_f16 v121, v49, v116, v114
	;; [unrolled: 1-line block ×4, first 2 shown]
	ds_read_b128 v[114:117], v74 offset:304
	s_waitcnt lgkmcnt(2)
	v_mul_u32_u24_sdwa v123, v110, v85 dst_sel:DWORD dst_unused:UNUSED_PAD src0_sel:WORD_0 src1_sel:DWORD
	v_mul_u32_u24_sdwa v110, v110, v85 dst_sel:DWORD dst_unused:UNUSED_PAD src0_sel:WORD_1 src1_sel:DWORD
	v_mul_u32_u24_sdwa v124, v111, v85 dst_sel:DWORD dst_unused:UNUSED_PAD src0_sel:WORD_0 src1_sel:DWORD
	ds_read2_b32 v[48:49], v122 offset0:192 offset1:224
	v_mul_u32_u24_sdwa v111, v111, v85 dst_sel:DWORD dst_unused:UNUSED_PAD src0_sel:WORD_1 src1_sel:DWORD
	s_waitcnt lgkmcnt(2)
	v_pk_fma_f16 v50, v118, v123, v50
	v_pk_fma_f16 v110, v118, v110, v121
	;; [unrolled: 1-line block ×3, first 2 shown]
	v_mul_u32_u24_sdwa v121, v112, v85 dst_sel:DWORD dst_unused:UNUSED_PAD src0_sel:WORD_0 src1_sel:DWORD
	v_mul_u32_u24_sdwa v112, v112, v85 dst_sel:DWORD dst_unused:UNUSED_PAD src0_sel:WORD_1 src1_sel:DWORD
	v_mul_u32_u24_sdwa v122, v113, v85 dst_sel:DWORD dst_unused:UNUSED_PAD src0_sel:WORD_0 src1_sel:DWORD
	v_pk_fma_f16 v118, v118, v111, v120
	v_mul_u32_u24_sdwa v120, v113, v85 dst_sel:DWORD dst_unused:UNUSED_PAD src0_sel:WORD_1 src1_sel:DWORD
	v_pk_fma_f16 v50, v119, v121, v50
	v_pk_fma_f16 v121, v119, v112, v110
	v_pk_fma_f16 v55, v119, v122, v55
	v_add_nc_u32_e32 v122, 0x1400, v47
	ds_read_b128 v[110:113], v74 offset:320
	v_pk_fma_f16 v120, v119, v120, v118
	s_waitcnt lgkmcnt(2)
	v_mul_u32_u24_sdwa v123, v114, v85 dst_sel:DWORD dst_unused:UNUSED_PAD src0_sel:WORD_0 src1_sel:DWORD
	v_mul_u32_u24_sdwa v114, v114, v85 dst_sel:DWORD dst_unused:UNUSED_PAD src0_sel:WORD_1 src1_sel:DWORD
	ds_read2_b32 v[118:119], v122 offset1:32
	v_mul_u32_u24_sdwa v124, v115, v85 dst_sel:DWORD dst_unused:UNUSED_PAD src0_sel:WORD_0 src1_sel:DWORD
	v_mul_u32_u24_sdwa v115, v115, v85 dst_sel:DWORD dst_unused:UNUSED_PAD src0_sel:WORD_1 src1_sel:DWORD
	s_waitcnt lgkmcnt(2)
	v_pk_fma_f16 v50, v48, v123, v50
	v_pk_fma_f16 v114, v48, v114, v121
	v_mul_u32_u24_sdwa v121, v116, v85 dst_sel:DWORD dst_unused:UNUSED_PAD src0_sel:WORD_0 src1_sel:DWORD
	v_mul_u32_u24_sdwa v116, v116, v85 dst_sel:DWORD dst_unused:UNUSED_PAD src0_sel:WORD_1 src1_sel:DWORD
	v_pk_fma_f16 v55, v48, v124, v55
	v_pk_fma_f16 v48, v48, v115, v120
	v_mul_u32_u24_sdwa v120, v117, v85 dst_sel:DWORD dst_unused:UNUSED_PAD src0_sel:WORD_0 src1_sel:DWORD
	v_mul_u32_u24_sdwa v123, v117, v85 dst_sel:DWORD dst_unused:UNUSED_PAD src0_sel:WORD_1 src1_sel:DWORD
	v_pk_fma_f16 v50, v49, v121, v50
	v_pk_fma_f16 v121, v49, v116, v114
	ds_read_b128 v[114:117], v74 offset:336
	v_pk_fma_f16 v55, v49, v120, v55
	v_pk_fma_f16 v120, v49, v123, v48
	s_waitcnt lgkmcnt(2)
	v_mul_u32_u24_sdwa v123, v110, v85 dst_sel:DWORD dst_unused:UNUSED_PAD src0_sel:WORD_0 src1_sel:DWORD
	v_mul_u32_u24_sdwa v110, v110, v85 dst_sel:DWORD dst_unused:UNUSED_PAD src0_sel:WORD_1 src1_sel:DWORD
	ds_read2_b32 v[48:49], v122 offset0:64 offset1:96
	v_mul_u32_u24_sdwa v124, v111, v85 dst_sel:DWORD dst_unused:UNUSED_PAD src0_sel:WORD_0 src1_sel:DWORD
	v_mul_u32_u24_sdwa v111, v111, v85 dst_sel:DWORD dst_unused:UNUSED_PAD src0_sel:WORD_1 src1_sel:DWORD
	s_waitcnt lgkmcnt(2)
	v_pk_fma_f16 v50, v118, v123, v50
	v_pk_fma_f16 v110, v118, v110, v121
	v_mul_u32_u24_sdwa v121, v112, v85 dst_sel:DWORD dst_unused:UNUSED_PAD src0_sel:WORD_0 src1_sel:DWORD
	v_mul_u32_u24_sdwa v112, v112, v85 dst_sel:DWORD dst_unused:UNUSED_PAD src0_sel:WORD_1 src1_sel:DWORD
	v_pk_fma_f16 v55, v118, v124, v55
	v_pk_fma_f16 v118, v118, v111, v120
	v_mul_u32_u24_sdwa v120, v113, v85 dst_sel:DWORD dst_unused:UNUSED_PAD src0_sel:WORD_0 src1_sel:DWORD
	v_mul_u32_u24_sdwa v123, v113, v85 dst_sel:DWORD dst_unused:UNUSED_PAD src0_sel:WORD_1 src1_sel:DWORD
	v_pk_fma_f16 v124, v119, v112, v110
	ds_read_b128 v[110:113], v74 offset:352
	v_pk_fma_f16 v50, v119, v121, v50
	v_pk_fma_f16 v55, v119, v120, v55
	s_waitcnt lgkmcnt(2)
	v_mul_u32_u24_sdwa v125, v114, v85 dst_sel:DWORD dst_unused:UNUSED_PAD src0_sel:WORD_0 src1_sel:DWORD
	v_mul_u32_u24_sdwa v114, v114, v85 dst_sel:DWORD dst_unused:UNUSED_PAD src0_sel:WORD_1 src1_sel:DWORD
	ds_read2_b32 v[120:121], v122 offset0:128 offset1:160
	v_mul_u32_u24_sdwa v126, v115, v85 dst_sel:DWORD dst_unused:UNUSED_PAD src0_sel:WORD_0 src1_sel:DWORD
	v_pk_fma_f16 v118, v119, v123, v118
	v_mul_u32_u24_sdwa v115, v115, v85 dst_sel:DWORD dst_unused:UNUSED_PAD src0_sel:WORD_1 src1_sel:DWORD
	s_waitcnt lgkmcnt(2)
	v_pk_fma_f16 v50, v48, v125, v50
	v_pk_fma_f16 v114, v48, v114, v124
	v_mul_u32_u24_sdwa v119, v116, v85 dst_sel:DWORD dst_unused:UNUSED_PAD src0_sel:WORD_0 src1_sel:DWORD
	v_mul_u32_u24_sdwa v116, v116, v85 dst_sel:DWORD dst_unused:UNUSED_PAD src0_sel:WORD_1 src1_sel:DWORD
	v_pk_fma_f16 v55, v48, v126, v55
	v_mul_u32_u24_sdwa v123, v117, v85 dst_sel:DWORD dst_unused:UNUSED_PAD src0_sel:WORD_0 src1_sel:DWORD
	v_pk_fma_f16 v48, v48, v115, v118
	v_mul_u32_u24_sdwa v118, v117, v85 dst_sel:DWORD dst_unused:UNUSED_PAD src0_sel:WORD_1 src1_sel:DWORD
	v_pk_fma_f16 v50, v49, v119, v50
	v_pk_fma_f16 v119, v49, v116, v114
	ds_read_b128 v[114:117], v74 offset:368
	v_pk_fma_f16 v55, v49, v123, v55
	s_waitcnt lgkmcnt(2)
	v_mul_u32_u24_sdwa v123, v110, v85 dst_sel:DWORD dst_unused:UNUSED_PAD src0_sel:WORD_0 src1_sel:DWORD
	v_pk_fma_f16 v118, v49, v118, v48
	v_mul_u32_u24_sdwa v110, v110, v85 dst_sel:DWORD dst_unused:UNUSED_PAD src0_sel:WORD_1 src1_sel:DWORD
	v_mul_u32_u24_sdwa v124, v111, v85 dst_sel:DWORD dst_unused:UNUSED_PAD src0_sel:WORD_0 src1_sel:DWORD
	v_mul_u32_u24_sdwa v111, v111, v85 dst_sel:DWORD dst_unused:UNUSED_PAD src0_sel:WORD_1 src1_sel:DWORD
	ds_read2_b32 v[48:49], v122 offset0:192 offset1:224
	s_waitcnt lgkmcnt(2)
	v_pk_fma_f16 v50, v120, v123, v50
	v_pk_fma_f16 v110, v120, v110, v119
	;; [unrolled: 1-line block ×4, first 2 shown]
	v_mul_u32_u24_sdwa v118, v112, v85 dst_sel:DWORD dst_unused:UNUSED_PAD src0_sel:WORD_0 src1_sel:DWORD
	v_mul_u32_u24_sdwa v112, v112, v85 dst_sel:DWORD dst_unused:UNUSED_PAD src0_sel:WORD_1 src1_sel:DWORD
	v_mul_u32_u24_sdwa v119, v113, v85 dst_sel:DWORD dst_unused:UNUSED_PAD src0_sel:WORD_0 src1_sel:DWORD
	v_mul_u32_u24_sdwa v113, v113, v85 dst_sel:DWORD dst_unused:UNUSED_PAD src0_sel:WORD_1 src1_sel:DWORD
	v_add_nc_u32_e32 v122, 0x1800, v47
	v_pk_fma_f16 v50, v121, v118, v50
	v_pk_fma_f16 v120, v121, v112, v110
	;; [unrolled: 1-line block ×4, first 2 shown]
	ds_read_b128 v[110:113], v74 offset:384
	s_waitcnt lgkmcnt(2)
	v_mul_u32_u24_sdwa v123, v114, v85 dst_sel:DWORD dst_unused:UNUSED_PAD src0_sel:WORD_0 src1_sel:DWORD
	v_mul_u32_u24_sdwa v114, v114, v85 dst_sel:DWORD dst_unused:UNUSED_PAD src0_sel:WORD_1 src1_sel:DWORD
	v_mul_u32_u24_sdwa v124, v115, v85 dst_sel:DWORD dst_unused:UNUSED_PAD src0_sel:WORD_0 src1_sel:DWORD
	v_mul_u32_u24_sdwa v115, v115, v85 dst_sel:DWORD dst_unused:UNUSED_PAD src0_sel:WORD_1 src1_sel:DWORD
	ds_read2_b32 v[118:119], v122 offset1:32
	s_waitcnt lgkmcnt(2)
	v_pk_fma_f16 v50, v48, v123, v50
	v_pk_fma_f16 v114, v48, v114, v120
	;; [unrolled: 1-line block ×4, first 2 shown]
	v_mul_u32_u24_sdwa v115, v116, v85 dst_sel:DWORD dst_unused:UNUSED_PAD src0_sel:WORD_0 src1_sel:DWORD
	v_mul_u32_u24_sdwa v116, v116, v85 dst_sel:DWORD dst_unused:UNUSED_PAD src0_sel:WORD_1 src1_sel:DWORD
	v_mul_u32_u24_sdwa v120, v117, v85 dst_sel:DWORD dst_unused:UNUSED_PAD src0_sel:WORD_0 src1_sel:DWORD
	v_mul_u32_u24_sdwa v117, v117, v85 dst_sel:DWORD dst_unused:UNUSED_PAD src0_sel:WORD_1 src1_sel:DWORD
	v_pk_fma_f16 v50, v49, v115, v50
	v_pk_fma_f16 v121, v49, v116, v114
	;; [unrolled: 1-line block ×4, first 2 shown]
	ds_read_b128 v[114:117], v74 offset:400
	s_waitcnt lgkmcnt(2)
	v_mul_u32_u24_sdwa v123, v110, v85 dst_sel:DWORD dst_unused:UNUSED_PAD src0_sel:WORD_0 src1_sel:DWORD
	v_mul_u32_u24_sdwa v110, v110, v85 dst_sel:DWORD dst_unused:UNUSED_PAD src0_sel:WORD_1 src1_sel:DWORD
	v_mul_u32_u24_sdwa v124, v111, v85 dst_sel:DWORD dst_unused:UNUSED_PAD src0_sel:WORD_0 src1_sel:DWORD
	v_mul_u32_u24_sdwa v111, v111, v85 dst_sel:DWORD dst_unused:UNUSED_PAD src0_sel:WORD_1 src1_sel:DWORD
	ds_read2_b32 v[48:49], v122 offset0:64 offset1:96
	s_waitcnt lgkmcnt(2)
	v_pk_fma_f16 v50, v118, v123, v50
	v_pk_fma_f16 v110, v118, v110, v121
	;; [unrolled: 1-line block ×4, first 2 shown]
	v_mul_u32_u24_sdwa v118, v112, v85 dst_sel:DWORD dst_unused:UNUSED_PAD src0_sel:WORD_0 src1_sel:DWORD
	v_mul_u32_u24_sdwa v112, v112, v85 dst_sel:DWORD dst_unused:UNUSED_PAD src0_sel:WORD_1 src1_sel:DWORD
	v_mul_u32_u24_sdwa v120, v113, v85 dst_sel:DWORD dst_unused:UNUSED_PAD src0_sel:WORD_0 src1_sel:DWORD
	v_mul_u32_u24_sdwa v113, v113, v85 dst_sel:DWORD dst_unused:UNUSED_PAD src0_sel:WORD_1 src1_sel:DWORD
	v_pk_fma_f16 v50, v119, v118, v50
	v_pk_fma_f16 v121, v119, v112, v110
	;; [unrolled: 1-line block ×4, first 2 shown]
	ds_read_b128 v[110:113], v74 offset:416
	s_waitcnt lgkmcnt(2)
	v_mul_u32_u24_sdwa v123, v114, v85 dst_sel:DWORD dst_unused:UNUSED_PAD src0_sel:WORD_0 src1_sel:DWORD
	v_mul_u32_u24_sdwa v114, v114, v85 dst_sel:DWORD dst_unused:UNUSED_PAD src0_sel:WORD_1 src1_sel:DWORD
	v_mul_u32_u24_sdwa v124, v115, v85 dst_sel:DWORD dst_unused:UNUSED_PAD src0_sel:WORD_0 src1_sel:DWORD
	v_mul_u32_u24_sdwa v115, v115, v85 dst_sel:DWORD dst_unused:UNUSED_PAD src0_sel:WORD_1 src1_sel:DWORD
	ds_read2_b32 v[118:119], v122 offset0:128 offset1:160
	s_waitcnt lgkmcnt(2)
	v_pk_fma_f16 v50, v48, v123, v50
	v_pk_fma_f16 v114, v48, v114, v121
	;; [unrolled: 1-line block ×4, first 2 shown]
	v_mul_u32_u24_sdwa v115, v116, v85 dst_sel:DWORD dst_unused:UNUSED_PAD src0_sel:WORD_0 src1_sel:DWORD
	v_mul_u32_u24_sdwa v116, v116, v85 dst_sel:DWORD dst_unused:UNUSED_PAD src0_sel:WORD_1 src1_sel:DWORD
	v_mul_u32_u24_sdwa v120, v117, v85 dst_sel:DWORD dst_unused:UNUSED_PAD src0_sel:WORD_0 src1_sel:DWORD
	v_mul_u32_u24_sdwa v117, v117, v85 dst_sel:DWORD dst_unused:UNUSED_PAD src0_sel:WORD_1 src1_sel:DWORD
	v_pk_fma_f16 v50, v49, v115, v50
	v_pk_fma_f16 v121, v49, v116, v114
	v_pk_fma_f16 v55, v49, v120, v55
	v_pk_fma_f16 v120, v49, v117, v48
	ds_read_b128 v[114:117], v74 offset:432
	s_waitcnt lgkmcnt(2)
	v_mul_u32_u24_sdwa v123, v110, v85 dst_sel:DWORD dst_unused:UNUSED_PAD src0_sel:WORD_0 src1_sel:DWORD
	v_mul_u32_u24_sdwa v110, v110, v85 dst_sel:DWORD dst_unused:UNUSED_PAD src0_sel:WORD_1 src1_sel:DWORD
	v_mul_u32_u24_sdwa v124, v111, v85 dst_sel:DWORD dst_unused:UNUSED_PAD src0_sel:WORD_0 src1_sel:DWORD
	ds_read2_b32 v[48:49], v122 offset0:192 offset1:224
	v_mul_u32_u24_sdwa v111, v111, v85 dst_sel:DWORD dst_unused:UNUSED_PAD src0_sel:WORD_1 src1_sel:DWORD
	s_waitcnt lgkmcnt(2)
	v_pk_fma_f16 v50, v118, v123, v50
	v_pk_fma_f16 v110, v118, v110, v121
	;; [unrolled: 1-line block ×3, first 2 shown]
	v_mul_u32_u24_sdwa v121, v112, v85 dst_sel:DWORD dst_unused:UNUSED_PAD src0_sel:WORD_0 src1_sel:DWORD
	v_mul_u32_u24_sdwa v112, v112, v85 dst_sel:DWORD dst_unused:UNUSED_PAD src0_sel:WORD_1 src1_sel:DWORD
	v_mul_u32_u24_sdwa v122, v113, v85 dst_sel:DWORD dst_unused:UNUSED_PAD src0_sel:WORD_0 src1_sel:DWORD
	v_pk_fma_f16 v118, v118, v111, v120
	v_mul_u32_u24_sdwa v120, v113, v85 dst_sel:DWORD dst_unused:UNUSED_PAD src0_sel:WORD_1 src1_sel:DWORD
	v_pk_fma_f16 v50, v119, v121, v50
	v_pk_fma_f16 v121, v119, v112, v110
	;; [unrolled: 1-line block ×3, first 2 shown]
	v_add_nc_u32_e32 v122, 0x1c00, v47
	ds_read_b128 v[110:113], v74 offset:448
	v_pk_fma_f16 v120, v119, v120, v118
	s_waitcnt lgkmcnt(2)
	v_mul_u32_u24_sdwa v123, v114, v85 dst_sel:DWORD dst_unused:UNUSED_PAD src0_sel:WORD_0 src1_sel:DWORD
	v_mul_u32_u24_sdwa v114, v114, v85 dst_sel:DWORD dst_unused:UNUSED_PAD src0_sel:WORD_1 src1_sel:DWORD
	ds_read2_b32 v[118:119], v122 offset1:32
	v_mul_u32_u24_sdwa v124, v115, v85 dst_sel:DWORD dst_unused:UNUSED_PAD src0_sel:WORD_0 src1_sel:DWORD
	v_mul_u32_u24_sdwa v115, v115, v85 dst_sel:DWORD dst_unused:UNUSED_PAD src0_sel:WORD_1 src1_sel:DWORD
	s_waitcnt lgkmcnt(2)
	v_pk_fma_f16 v50, v48, v123, v50
	v_pk_fma_f16 v114, v48, v114, v121
	v_mul_u32_u24_sdwa v121, v116, v85 dst_sel:DWORD dst_unused:UNUSED_PAD src0_sel:WORD_0 src1_sel:DWORD
	v_mul_u32_u24_sdwa v116, v116, v85 dst_sel:DWORD dst_unused:UNUSED_PAD src0_sel:WORD_1 src1_sel:DWORD
	v_pk_fma_f16 v55, v48, v124, v55
	v_pk_fma_f16 v48, v48, v115, v120
	v_mul_u32_u24_sdwa v120, v117, v85 dst_sel:DWORD dst_unused:UNUSED_PAD src0_sel:WORD_0 src1_sel:DWORD
	v_mul_u32_u24_sdwa v123, v117, v85 dst_sel:DWORD dst_unused:UNUSED_PAD src0_sel:WORD_1 src1_sel:DWORD
	v_pk_fma_f16 v50, v49, v121, v50
	v_pk_fma_f16 v121, v49, v116, v114
	ds_read_b128 v[114:117], v74 offset:464
	v_pk_fma_f16 v55, v49, v120, v55
	v_pk_fma_f16 v120, v49, v123, v48
	s_waitcnt lgkmcnt(2)
	v_mul_u32_u24_sdwa v123, v110, v85 dst_sel:DWORD dst_unused:UNUSED_PAD src0_sel:WORD_0 src1_sel:DWORD
	v_mul_u32_u24_sdwa v110, v110, v85 dst_sel:DWORD dst_unused:UNUSED_PAD src0_sel:WORD_1 src1_sel:DWORD
	ds_read2_b32 v[48:49], v122 offset0:64 offset1:96
	v_mul_u32_u24_sdwa v124, v111, v85 dst_sel:DWORD dst_unused:UNUSED_PAD src0_sel:WORD_0 src1_sel:DWORD
	v_mul_u32_u24_sdwa v111, v111, v85 dst_sel:DWORD dst_unused:UNUSED_PAD src0_sel:WORD_1 src1_sel:DWORD
	s_waitcnt lgkmcnt(2)
	v_pk_fma_f16 v50, v118, v123, v50
	v_pk_fma_f16 v110, v118, v110, v121
	v_mul_u32_u24_sdwa v121, v112, v85 dst_sel:DWORD dst_unused:UNUSED_PAD src0_sel:WORD_0 src1_sel:DWORD
	v_mul_u32_u24_sdwa v112, v112, v85 dst_sel:DWORD dst_unused:UNUSED_PAD src0_sel:WORD_1 src1_sel:DWORD
	v_pk_fma_f16 v55, v118, v124, v55
	v_pk_fma_f16 v118, v118, v111, v120
	v_mul_u32_u24_sdwa v120, v113, v85 dst_sel:DWORD dst_unused:UNUSED_PAD src0_sel:WORD_0 src1_sel:DWORD
	v_mul_u32_u24_sdwa v123, v113, v85 dst_sel:DWORD dst_unused:UNUSED_PAD src0_sel:WORD_1 src1_sel:DWORD
	v_pk_fma_f16 v124, v119, v112, v110
	ds_read_b128 v[110:113], v74 offset:480
	v_pk_fma_f16 v50, v119, v121, v50
	v_pk_fma_f16 v55, v119, v120, v55
	s_waitcnt lgkmcnt(2)
	v_mul_u32_u24_sdwa v125, v114, v85 dst_sel:DWORD dst_unused:UNUSED_PAD src0_sel:WORD_0 src1_sel:DWORD
	v_mul_u32_u24_sdwa v114, v114, v85 dst_sel:DWORD dst_unused:UNUSED_PAD src0_sel:WORD_1 src1_sel:DWORD
	ds_read2_b32 v[120:121], v122 offset0:128 offset1:160
	v_mul_u32_u24_sdwa v126, v115, v85 dst_sel:DWORD dst_unused:UNUSED_PAD src0_sel:WORD_0 src1_sel:DWORD
	v_pk_fma_f16 v118, v119, v123, v118
	v_mul_u32_u24_sdwa v115, v115, v85 dst_sel:DWORD dst_unused:UNUSED_PAD src0_sel:WORD_1 src1_sel:DWORD
	s_waitcnt lgkmcnt(2)
	v_pk_fma_f16 v50, v48, v125, v50
	v_pk_fma_f16 v114, v48, v114, v124
	v_mul_u32_u24_sdwa v119, v116, v85 dst_sel:DWORD dst_unused:UNUSED_PAD src0_sel:WORD_0 src1_sel:DWORD
	v_mul_u32_u24_sdwa v116, v116, v85 dst_sel:DWORD dst_unused:UNUSED_PAD src0_sel:WORD_1 src1_sel:DWORD
	v_pk_fma_f16 v55, v48, v126, v55
	v_mul_u32_u24_sdwa v123, v117, v85 dst_sel:DWORD dst_unused:UNUSED_PAD src0_sel:WORD_0 src1_sel:DWORD
	v_pk_fma_f16 v48, v48, v115, v118
	v_mul_u32_u24_sdwa v118, v117, v85 dst_sel:DWORD dst_unused:UNUSED_PAD src0_sel:WORD_1 src1_sel:DWORD
	v_pk_fma_f16 v50, v49, v119, v50
	v_pk_fma_f16 v119, v49, v116, v114
	ds_read_b128 v[114:117], v74 offset:496
	v_pk_fma_f16 v55, v49, v123, v55
	s_waitcnt lgkmcnt(2)
	v_mul_u32_u24_sdwa v123, v110, v85 dst_sel:DWORD dst_unused:UNUSED_PAD src0_sel:WORD_0 src1_sel:DWORD
	v_pk_fma_f16 v118, v49, v118, v48
	v_mul_u32_u24_sdwa v110, v110, v85 dst_sel:DWORD dst_unused:UNUSED_PAD src0_sel:WORD_1 src1_sel:DWORD
	v_mul_u32_u24_sdwa v124, v111, v85 dst_sel:DWORD dst_unused:UNUSED_PAD src0_sel:WORD_0 src1_sel:DWORD
	v_mul_u32_u24_sdwa v111, v111, v85 dst_sel:DWORD dst_unused:UNUSED_PAD src0_sel:WORD_1 src1_sel:DWORD
	ds_read2_b32 v[48:49], v122 offset0:192 offset1:224
	s_waitcnt lgkmcnt(2)
	v_pk_fma_f16 v50, v120, v123, v50
	v_pk_fma_f16 v110, v120, v110, v119
	v_pk_fma_f16 v55, v120, v124, v55
	v_pk_fma_f16 v111, v120, v111, v118
	v_mul_u32_u24_sdwa v118, v112, v85 dst_sel:DWORD dst_unused:UNUSED_PAD src0_sel:WORD_0 src1_sel:DWORD
	v_mul_u32_u24_sdwa v112, v112, v85 dst_sel:DWORD dst_unused:UNUSED_PAD src0_sel:WORD_1 src1_sel:DWORD
	v_mul_u32_u24_sdwa v119, v113, v85 dst_sel:DWORD dst_unused:UNUSED_PAD src0_sel:WORD_0 src1_sel:DWORD
	v_mul_u32_u24_sdwa v113, v113, v85 dst_sel:DWORD dst_unused:UNUSED_PAD src0_sel:WORD_1 src1_sel:DWORD
	v_add_f32_e32 v120, v108, v109
	v_pk_fma_f16 v50, v121, v118, v50
	v_pk_fma_f16 v112, v121, v112, v110
	;; [unrolled: 1-line block ×4, first 2 shown]
	v_add_nc_u32_e32 v121, 0x2000, v47
	ds_read_b128 v[108:111], v74 offset:512
	s_waitcnt lgkmcnt(2)
	v_mul_u32_u24_sdwa v122, v114, v85 dst_sel:DWORD dst_unused:UNUSED_PAD src0_sel:WORD_0 src1_sel:DWORD
	v_mul_u32_u24_sdwa v114, v114, v85 dst_sel:DWORD dst_unused:UNUSED_PAD src0_sel:WORD_1 src1_sel:DWORD
	v_mul_u32_u24_sdwa v123, v115, v85 dst_sel:DWORD dst_unused:UNUSED_PAD src0_sel:WORD_0 src1_sel:DWORD
	v_mul_u32_u24_sdwa v115, v115, v85 dst_sel:DWORD dst_unused:UNUSED_PAD src0_sel:WORD_1 src1_sel:DWORD
	ds_read2_b32 v[118:119], v121 offset1:32
	s_waitcnt lgkmcnt(2)
	v_pk_fma_f16 v50, v48, v122, v50
	v_pk_fma_f16 v112, v48, v114, v112
	;; [unrolled: 1-line block ×4, first 2 shown]
	v_mul_u32_u24_sdwa v113, v116, v85 dst_sel:DWORD dst_unused:UNUSED_PAD src0_sel:WORD_0 src1_sel:DWORD
	v_mul_u32_u24_sdwa v114, v116, v85 dst_sel:DWORD dst_unused:UNUSED_PAD src0_sel:WORD_1 src1_sel:DWORD
	v_mul_u32_u24_sdwa v115, v117, v85 dst_sel:DWORD dst_unused:UNUSED_PAD src0_sel:WORD_0 src1_sel:DWORD
	v_mul_u32_u24_sdwa v116, v117, v85 dst_sel:DWORD dst_unused:UNUSED_PAD src0_sel:WORD_1 src1_sel:DWORD
	v_add_f32_e32 v107, v107, v120
	v_pk_fma_f16 v50, v49, v113, v50
	v_pk_fma_f16 v117, v49, v114, v112
	;; [unrolled: 1-line block ×3, first 2 shown]
	ds_read_b128 v[112:115], v74 offset:528
	v_pk_fma_f16 v116, v49, v116, v48
	s_waitcnt lgkmcnt(2)
	v_mul_u32_u24_sdwa v120, v108, v85 dst_sel:DWORD dst_unused:UNUSED_PAD src0_sel:WORD_0 src1_sel:DWORD
	v_mul_u32_u24_sdwa v108, v108, v85 dst_sel:DWORD dst_unused:UNUSED_PAD src0_sel:WORD_1 src1_sel:DWORD
	v_mul_u32_u24_sdwa v122, v109, v85 dst_sel:DWORD dst_unused:UNUSED_PAD src0_sel:WORD_0 src1_sel:DWORD
	v_mul_u32_u24_sdwa v109, v109, v85 dst_sel:DWORD dst_unused:UNUSED_PAD src0_sel:WORD_1 src1_sel:DWORD
	ds_read2_b32 v[48:49], v121 offset0:64 offset1:96
	s_waitcnt lgkmcnt(2)
	v_pk_fma_f16 v50, v118, v120, v50
	v_pk_fma_f16 v108, v118, v108, v117
	v_mul_u32_u24_sdwa v117, v111, v85 dst_sel:DWORD dst_unused:UNUSED_PAD src0_sel:WORD_0 src1_sel:DWORD
	v_pk_fma_f16 v109, v118, v109, v116
	v_mul_u32_u24_sdwa v116, v110, v85 dst_sel:DWORD dst_unused:UNUSED_PAD src0_sel:WORD_0 src1_sel:DWORD
	v_mul_u32_u24_sdwa v110, v110, v85 dst_sel:DWORD dst_unused:UNUSED_PAD src0_sel:WORD_1 src1_sel:DWORD
	v_mul_u32_u24_sdwa v111, v111, v85 dst_sel:DWORD dst_unused:UNUSED_PAD src0_sel:WORD_1 src1_sel:DWORD
	v_pk_fma_f16 v55, v118, v122, v55
	v_add_f32_e32 v88, v88, v107
	v_pk_fma_f16 v50, v119, v116, v50
	v_pk_fma_f16 v118, v119, v110, v108
	;; [unrolled: 1-line block ×3, first 2 shown]
	ds_read_b128 v[107:110], v74 offset:544
	v_pk_fma_f16 v55, v119, v117, v55
	s_waitcnt lgkmcnt(2)
	v_mul_u32_u24_sdwa v119, v112, v85 dst_sel:DWORD dst_unused:UNUSED_PAD src0_sel:WORD_0 src1_sel:DWORD
	v_mul_u32_u24_sdwa v112, v112, v85 dst_sel:DWORD dst_unused:UNUSED_PAD src0_sel:WORD_1 src1_sel:DWORD
	v_mul_u32_u24_sdwa v120, v113, v85 dst_sel:DWORD dst_unused:UNUSED_PAD src0_sel:WORD_0 src1_sel:DWORD
	v_mul_u32_u24_sdwa v113, v113, v85 dst_sel:DWORD dst_unused:UNUSED_PAD src0_sel:WORD_1 src1_sel:DWORD
	ds_read2_b32 v[116:117], v121 offset0:128 offset1:160
	s_waitcnt lgkmcnt(2)
	v_pk_fma_f16 v50, v48, v119, v50
	v_pk_fma_f16 v112, v48, v112, v118
	;; [unrolled: 1-line block ×4, first 2 shown]
	v_mul_u32_u24_sdwa v111, v114, v85 dst_sel:DWORD dst_unused:UNUSED_PAD src0_sel:WORD_0 src1_sel:DWORD
	v_mul_u32_u24_sdwa v113, v114, v85 dst_sel:DWORD dst_unused:UNUSED_PAD src0_sel:WORD_1 src1_sel:DWORD
	v_mul_u32_u24_sdwa v114, v115, v85 dst_sel:DWORD dst_unused:UNUSED_PAD src0_sel:WORD_0 src1_sel:DWORD
	v_mul_u32_u24_sdwa v115, v115, v85 dst_sel:DWORD dst_unused:UNUSED_PAD src0_sel:WORD_1 src1_sel:DWORD
	v_fmac_f32_e32 v88, v92, v106
	v_pk_fma_f16 v50, v49, v111, v50
	v_pk_fma_f16 v92, v49, v113, v112
	;; [unrolled: 1-line block ×3, first 2 shown]
	ds_read_b128 v[111:114], v74 offset:560
	v_pk_fma_f16 v106, v49, v115, v48
	s_waitcnt lgkmcnt(2)
	v_mul_u32_u24_sdwa v115, v107, v85 dst_sel:DWORD dst_unused:UNUSED_PAD src0_sel:WORD_0 src1_sel:DWORD
	v_mul_u32_u24_sdwa v107, v107, v85 dst_sel:DWORD dst_unused:UNUSED_PAD src0_sel:WORD_1 src1_sel:DWORD
	ds_read2_b32 v[48:49], v121 offset0:192 offset1:224
	v_mul_u32_u24_sdwa v118, v108, v85 dst_sel:DWORD dst_unused:UNUSED_PAD src0_sel:WORD_0 src1_sel:DWORD
	v_mul_u32_u24_sdwa v108, v108, v85 dst_sel:DWORD dst_unused:UNUSED_PAD src0_sel:WORD_1 src1_sel:DWORD
	s_waitcnt lgkmcnt(2)
	v_pk_fma_f16 v50, v116, v115, v50
	v_pk_fma_f16 v92, v116, v107, v92
	v_mul_u32_u24_sdwa v107, v109, v85 dst_sel:DWORD dst_unused:UNUSED_PAD src0_sel:WORD_0 src1_sel:DWORD
	v_mul_u32_u24_sdwa v109, v109, v85 dst_sel:DWORD dst_unused:UNUSED_PAD src0_sel:WORD_1 src1_sel:DWORD
	v_pk_fma_f16 v55, v116, v118, v55
	v_mul_u32_u24_sdwa v115, v110, v85 dst_sel:DWORD dst_unused:UNUSED_PAD src0_sel:WORD_0 src1_sel:DWORD
	v_pk_fma_f16 v116, v116, v108, v106
	v_mul_u32_u24_sdwa v110, v110, v85 dst_sel:DWORD dst_unused:UNUSED_PAD src0_sel:WORD_1 src1_sel:DWORD
	v_pk_fma_f16 v50, v117, v107, v50
	v_pk_fma_f16 v92, v117, v109, v92
	v_add_nc_u32_e32 v118, 0x2400, v47
	ds_read_b128 v[106:109], v74 offset:576
	v_pk_fma_f16 v55, v117, v115, v55
	v_pk_fma_f16 v110, v117, v110, v116
	s_waitcnt lgkmcnt(2)
	v_mul_u32_u24_sdwa v117, v111, v85 dst_sel:DWORD dst_unused:UNUSED_PAD src0_sel:WORD_0 src1_sel:DWORD
	v_mul_u32_u24_sdwa v111, v111, v85 dst_sel:DWORD dst_unused:UNUSED_PAD src0_sel:WORD_1 src1_sel:DWORD
	ds_read2_b32 v[115:116], v118 offset1:32
	v_mul_u32_u24_sdwa v119, v112, v85 dst_sel:DWORD dst_unused:UNUSED_PAD src0_sel:WORD_0 src1_sel:DWORD
	v_mul_u32_u24_sdwa v112, v112, v85 dst_sel:DWORD dst_unused:UNUSED_PAD src0_sel:WORD_1 src1_sel:DWORD
	s_waitcnt lgkmcnt(2)
	v_pk_fma_f16 v50, v48, v117, v50
	v_pk_fma_f16 v92, v48, v111, v92
	v_mul_u32_u24_sdwa v111, v113, v85 dst_sel:DWORD dst_unused:UNUSED_PAD src0_sel:WORD_0 src1_sel:DWORD
	v_mul_u32_u24_sdwa v113, v113, v85 dst_sel:DWORD dst_unused:UNUSED_PAD src0_sel:WORD_1 src1_sel:DWORD
	v_pk_fma_f16 v55, v48, v119, v55
	v_pk_fma_f16 v48, v48, v112, v110
	v_mul_u32_u24_sdwa v117, v114, v85 dst_sel:DWORD dst_unused:UNUSED_PAD src0_sel:WORD_0 src1_sel:DWORD
	v_mul_u32_u24_sdwa v114, v114, v85 dst_sel:DWORD dst_unused:UNUSED_PAD src0_sel:WORD_1 src1_sel:DWORD
	v_pk_fma_f16 v50, v49, v111, v50
	v_pk_fma_f16 v92, v49, v113, v92
	ds_read_b128 v[110:113], v74 offset:592
	v_pk_fma_f16 v55, v49, v117, v55
	v_pk_fma_f16 v114, v49, v114, v48
	s_waitcnt lgkmcnt(2)
	v_mul_u32_u24_sdwa v117, v106, v85 dst_sel:DWORD dst_unused:UNUSED_PAD src0_sel:WORD_0 src1_sel:DWORD
	v_mul_u32_u24_sdwa v106, v106, v85 dst_sel:DWORD dst_unused:UNUSED_PAD src0_sel:WORD_1 src1_sel:DWORD
	ds_read2_b32 v[48:49], v118 offset0:64 offset1:96
	v_mul_u32_u24_sdwa v119, v107, v85 dst_sel:DWORD dst_unused:UNUSED_PAD src0_sel:WORD_0 src1_sel:DWORD
	v_mul_u32_u24_sdwa v107, v107, v85 dst_sel:DWORD dst_unused:UNUSED_PAD src0_sel:WORD_1 src1_sel:DWORD
	s_waitcnt lgkmcnt(2)
	v_pk_fma_f16 v50, v115, v117, v50
	v_pk_fma_f16 v92, v115, v106, v92
	v_mul_u32_u24_sdwa v106, v108, v85 dst_sel:DWORD dst_unused:UNUSED_PAD src0_sel:WORD_0 src1_sel:DWORD
	v_mul_u32_u24_sdwa v108, v108, v85 dst_sel:DWORD dst_unused:UNUSED_PAD src0_sel:WORD_1 src1_sel:DWORD
	v_pk_fma_f16 v55, v115, v119, v55
	v_pk_fma_f16 v117, v115, v107, v114
	v_mul_u32_u24_sdwa v114, v109, v85 dst_sel:DWORD dst_unused:UNUSED_PAD src0_sel:WORD_0 src1_sel:DWORD
	v_mul_u32_u24_sdwa v119, v109, v85 dst_sel:DWORD dst_unused:UNUSED_PAD src0_sel:WORD_1 src1_sel:DWORD
	v_pk_fma_f16 v50, v116, v106, v50
	v_pk_fma_f16 v92, v116, v108, v92
	ds_read_b128 v[106:109], v74 offset:608
	v_pk_fma_f16 v55, v116, v114, v55
	s_waitcnt lgkmcnt(2)
	v_mul_u32_u24_sdwa v120, v110, v85 dst_sel:DWORD dst_unused:UNUSED_PAD src0_sel:WORD_0 src1_sel:DWORD
	v_mul_u32_u24_sdwa v110, v110, v85 dst_sel:DWORD dst_unused:UNUSED_PAD src0_sel:WORD_1 src1_sel:DWORD
	ds_read2_b32 v[114:115], v118 offset0:128 offset1:160
	v_mul_u32_u24_sdwa v121, v111, v85 dst_sel:DWORD dst_unused:UNUSED_PAD src0_sel:WORD_0 src1_sel:DWORD
	v_pk_fma_f16 v116, v116, v119, v117
	v_mul_u32_u24_sdwa v111, v111, v85 dst_sel:DWORD dst_unused:UNUSED_PAD src0_sel:WORD_1 src1_sel:DWORD
	s_waitcnt lgkmcnt(2)
	v_pk_fma_f16 v50, v48, v120, v50
	v_pk_fma_f16 v92, v48, v110, v92
	v_mul_u32_u24_sdwa v110, v112, v85 dst_sel:DWORD dst_unused:UNUSED_PAD src0_sel:WORD_0 src1_sel:DWORD
	v_mul_u32_u24_sdwa v112, v112, v85 dst_sel:DWORD dst_unused:UNUSED_PAD src0_sel:WORD_1 src1_sel:DWORD
	v_pk_fma_f16 v55, v48, v121, v55
	v_mul_u32_u24_sdwa v117, v113, v85 dst_sel:DWORD dst_unused:UNUSED_PAD src0_sel:WORD_0 src1_sel:DWORD
	v_pk_fma_f16 v48, v48, v111, v116
	v_mul_u32_u24_sdwa v116, v113, v85 dst_sel:DWORD dst_unused:UNUSED_PAD src0_sel:WORD_1 src1_sel:DWORD
	v_pk_fma_f16 v50, v49, v110, v50
	v_pk_fma_f16 v92, v49, v112, v92
	ds_read_b128 v[110:113], v74 offset:624
	v_pk_fma_f16 v55, v49, v117, v55
	s_waitcnt lgkmcnt(2)
	v_mul_u32_u24_sdwa v117, v106, v85 dst_sel:DWORD dst_unused:UNUSED_PAD src0_sel:WORD_0 src1_sel:DWORD
	v_pk_fma_f16 v116, v49, v116, v48
	v_mul_u32_u24_sdwa v106, v106, v85 dst_sel:DWORD dst_unused:UNUSED_PAD src0_sel:WORD_1 src1_sel:DWORD
	v_mul_u32_u24_sdwa v119, v107, v85 dst_sel:DWORD dst_unused:UNUSED_PAD src0_sel:WORD_0 src1_sel:DWORD
	v_mul_u32_u24_sdwa v107, v107, v85 dst_sel:DWORD dst_unused:UNUSED_PAD src0_sel:WORD_1 src1_sel:DWORD
	ds_read2_b32 v[48:49], v118 offset0:192 offset1:224
	s_waitcnt lgkmcnt(2)
	v_pk_fma_f16 v50, v114, v117, v50
	v_pk_fma_f16 v92, v114, v106, v92
	;; [unrolled: 1-line block ×4, first 2 shown]
	v_mul_u32_u24_sdwa v107, v108, v85 dst_sel:DWORD dst_unused:UNUSED_PAD src0_sel:WORD_0 src1_sel:DWORD
	v_mul_u32_u24_sdwa v108, v108, v85 dst_sel:DWORD dst_unused:UNUSED_PAD src0_sel:WORD_1 src1_sel:DWORD
	v_mul_u32_u24_sdwa v114, v109, v85 dst_sel:DWORD dst_unused:UNUSED_PAD src0_sel:WORD_0 src1_sel:DWORD
	v_mul_u32_u24_sdwa v109, v109, v85 dst_sel:DWORD dst_unused:UNUSED_PAD src0_sel:WORD_1 src1_sel:DWORD
	v_add_f32_e32 v116, v104, v105
	v_pk_fma_f16 v50, v115, v107, v50
	v_pk_fma_f16 v92, v115, v108, v92
	v_add_nc_u32_e32 v117, 0x2800, v47
	v_pk_fma_f16 v108, v115, v109, v106
	ds_read_b128 v[104:107], v74 offset:640
	v_pk_fma_f16 v55, v115, v114, v55
	s_waitcnt lgkmcnt(2)
	v_mul_u32_u24_sdwa v109, v110, v85 dst_sel:DWORD dst_unused:UNUSED_PAD src0_sel:WORD_0 src1_sel:DWORD
	v_mul_u32_u24_sdwa v110, v110, v85 dst_sel:DWORD dst_unused:UNUSED_PAD src0_sel:WORD_1 src1_sel:DWORD
	v_mul_u32_u24_sdwa v118, v111, v85 dst_sel:DWORD dst_unused:UNUSED_PAD src0_sel:WORD_0 src1_sel:DWORD
	v_mul_u32_u24_sdwa v111, v111, v85 dst_sel:DWORD dst_unused:UNUSED_PAD src0_sel:WORD_1 src1_sel:DWORD
	ds_read2_b32 v[114:115], v117 offset1:32
	s_waitcnt lgkmcnt(2)
	v_pk_fma_f16 v50, v48, v109, v50
	v_pk_fma_f16 v92, v48, v110, v92
	;; [unrolled: 1-line block ×4, first 2 shown]
	v_mul_u32_u24_sdwa v108, v112, v85 dst_sel:DWORD dst_unused:UNUSED_PAD src0_sel:WORD_0 src1_sel:DWORD
	v_mul_u32_u24_sdwa v109, v112, v85 dst_sel:DWORD dst_unused:UNUSED_PAD src0_sel:WORD_1 src1_sel:DWORD
	v_mul_u32_u24_sdwa v110, v113, v85 dst_sel:DWORD dst_unused:UNUSED_PAD src0_sel:WORD_0 src1_sel:DWORD
	v_mul_u32_u24_sdwa v111, v113, v85 dst_sel:DWORD dst_unused:UNUSED_PAD src0_sel:WORD_1 src1_sel:DWORD
	v_add_f32_e32 v103, v103, v116
	v_pk_fma_f16 v50, v49, v108, v50
	v_pk_fma_f16 v92, v49, v109, v92
	;; [unrolled: 1-line block ×4, first 2 shown]
	ds_read_b128 v[108:111], v74 offset:656
	s_waitcnt lgkmcnt(2)
	v_mul_u32_u24_sdwa v113, v104, v85 dst_sel:DWORD dst_unused:UNUSED_PAD src0_sel:WORD_0 src1_sel:DWORD
	v_mul_u32_u24_sdwa v104, v104, v85 dst_sel:DWORD dst_unused:UNUSED_PAD src0_sel:WORD_1 src1_sel:DWORD
	v_mul_u32_u24_sdwa v116, v105, v85 dst_sel:DWORD dst_unused:UNUSED_PAD src0_sel:WORD_0 src1_sel:DWORD
	v_mul_u32_u24_sdwa v105, v105, v85 dst_sel:DWORD dst_unused:UNUSED_PAD src0_sel:WORD_1 src1_sel:DWORD
	ds_read2_b32 v[48:49], v117 offset0:64 offset1:96
	s_waitcnt lgkmcnt(2)
	v_pk_fma_f16 v50, v114, v113, v50
	v_pk_fma_f16 v92, v114, v104, v92
	;; [unrolled: 1-line block ×4, first 2 shown]
	v_mul_u32_u24_sdwa v105, v106, v85 dst_sel:DWORD dst_unused:UNUSED_PAD src0_sel:WORD_0 src1_sel:DWORD
	v_mul_u32_u24_sdwa v106, v106, v85 dst_sel:DWORD dst_unused:UNUSED_PAD src0_sel:WORD_1 src1_sel:DWORD
	v_mul_u32_u24_sdwa v112, v107, v85 dst_sel:DWORD dst_unused:UNUSED_PAD src0_sel:WORD_0 src1_sel:DWORD
	v_mul_u32_u24_sdwa v107, v107, v85 dst_sel:DWORD dst_unused:UNUSED_PAD src0_sel:WORD_1 src1_sel:DWORD
	v_add_f32_e32 v90, v90, v103
	v_pk_fma_f16 v50, v115, v105, v50
	v_pk_fma_f16 v92, v115, v106, v92
	;; [unrolled: 1-line block ×4, first 2 shown]
	ds_read_b128 v[103:106], v74 offset:672
	s_waitcnt lgkmcnt(2)
	v_mul_u32_u24_sdwa v114, v108, v85 dst_sel:DWORD dst_unused:UNUSED_PAD src0_sel:WORD_0 src1_sel:DWORD
	v_mul_u32_u24_sdwa v108, v108, v85 dst_sel:DWORD dst_unused:UNUSED_PAD src0_sel:WORD_1 src1_sel:DWORD
	v_mul_u32_u24_sdwa v115, v109, v85 dst_sel:DWORD dst_unused:UNUSED_PAD src0_sel:WORD_0 src1_sel:DWORD
	v_mul_u32_u24_sdwa v109, v109, v85 dst_sel:DWORD dst_unused:UNUSED_PAD src0_sel:WORD_1 src1_sel:DWORD
	ds_read2_b32 v[112:113], v117 offset0:128 offset1:160
	s_waitcnt lgkmcnt(2)
	v_pk_fma_f16 v50, v48, v114, v50
	v_pk_fma_f16 v92, v48, v108, v92
	;; [unrolled: 1-line block ×4, first 2 shown]
	v_mul_u32_u24_sdwa v107, v110, v85 dst_sel:DWORD dst_unused:UNUSED_PAD src0_sel:WORD_0 src1_sel:DWORD
	v_mul_u32_u24_sdwa v108, v110, v85 dst_sel:DWORD dst_unused:UNUSED_PAD src0_sel:WORD_1 src1_sel:DWORD
	v_mul_u32_u24_sdwa v109, v111, v85 dst_sel:DWORD dst_unused:UNUSED_PAD src0_sel:WORD_0 src1_sel:DWORD
	v_mul_u32_u24_sdwa v110, v111, v85 dst_sel:DWORD dst_unused:UNUSED_PAD src0_sel:WORD_1 src1_sel:DWORD
	v_fmac_f32_e32 v90, v89, v102
	v_pk_fma_f16 v50, v49, v107, v50
	v_pk_fma_f16 v89, v49, v108, v92
	;; [unrolled: 1-line block ×4, first 2 shown]
	ds_read_b128 v[107:110], v74 offset:688
	s_waitcnt lgkmcnt(2)
	v_mul_u32_u24_sdwa v102, v103, v85 dst_sel:DWORD dst_unused:UNUSED_PAD src0_sel:WORD_0 src1_sel:DWORD
	v_mul_u32_u24_sdwa v103, v103, v85 dst_sel:DWORD dst_unused:UNUSED_PAD src0_sel:WORD_1 src1_sel:DWORD
	v_mul_u32_u24_sdwa v111, v104, v85 dst_sel:DWORD dst_unused:UNUSED_PAD src0_sel:WORD_0 src1_sel:DWORD
	ds_read2_b32 v[48:49], v117 offset0:192 offset1:224
	v_mul_u32_u24_sdwa v104, v104, v85 dst_sel:DWORD dst_unused:UNUSED_PAD src0_sel:WORD_1 src1_sel:DWORD
	s_waitcnt lgkmcnt(2)
	v_pk_fma_f16 v50, v112, v102, v50
	v_pk_fma_f16 v89, v112, v103, v89
	;; [unrolled: 1-line block ×3, first 2 shown]
	v_mul_u32_u24_sdwa v102, v105, v85 dst_sel:DWORD dst_unused:UNUSED_PAD src0_sel:WORD_0 src1_sel:DWORD
	v_mul_u32_u24_sdwa v103, v105, v85 dst_sel:DWORD dst_unused:UNUSED_PAD src0_sel:WORD_1 src1_sel:DWORD
	v_mul_u32_u24_sdwa v105, v106, v85 dst_sel:DWORD dst_unused:UNUSED_PAD src0_sel:WORD_0 src1_sel:DWORD
	v_pk_fma_f16 v92, v112, v104, v92
	v_mul_u32_u24_sdwa v106, v106, v85 dst_sel:DWORD dst_unused:UNUSED_PAD src0_sel:WORD_1 src1_sel:DWORD
	v_pk_fma_f16 v50, v113, v102, v50
	v_pk_fma_f16 v89, v113, v103, v89
	;; [unrolled: 1-line block ×3, first 2 shown]
	v_add_nc_u32_e32 v114, 0x2c00, v47
	ds_read_b128 v[102:105], v74 offset:704
	v_pk_fma_f16 v92, v113, v106, v92
	s_waitcnt lgkmcnt(2)
	v_mul_u32_u24_sdwa v106, v107, v85 dst_sel:DWORD dst_unused:UNUSED_PAD src0_sel:WORD_0 src1_sel:DWORD
	v_mul_u32_u24_sdwa v107, v107, v85 dst_sel:DWORD dst_unused:UNUSED_PAD src0_sel:WORD_1 src1_sel:DWORD
	ds_read2_b32 v[111:112], v114 offset1:32
	v_mul_u32_u24_sdwa v113, v108, v85 dst_sel:DWORD dst_unused:UNUSED_PAD src0_sel:WORD_0 src1_sel:DWORD
	v_mul_u32_u24_sdwa v108, v108, v85 dst_sel:DWORD dst_unused:UNUSED_PAD src0_sel:WORD_1 src1_sel:DWORD
	s_waitcnt lgkmcnt(2)
	v_pk_fma_f16 v50, v48, v106, v50
	v_pk_fma_f16 v89, v48, v107, v89
	v_mul_u32_u24_sdwa v106, v109, v85 dst_sel:DWORD dst_unused:UNUSED_PAD src0_sel:WORD_0 src1_sel:DWORD
	v_mul_u32_u24_sdwa v107, v109, v85 dst_sel:DWORD dst_unused:UNUSED_PAD src0_sel:WORD_1 src1_sel:DWORD
	v_pk_fma_f16 v55, v48, v113, v55
	v_pk_fma_f16 v48, v48, v108, v92
	v_mul_u32_u24_sdwa v92, v110, v85 dst_sel:DWORD dst_unused:UNUSED_PAD src0_sel:WORD_0 src1_sel:DWORD
	v_mul_u32_u24_sdwa v110, v110, v85 dst_sel:DWORD dst_unused:UNUSED_PAD src0_sel:WORD_1 src1_sel:DWORD
	v_pk_fma_f16 v50, v49, v106, v50
	v_pk_fma_f16 v89, v49, v107, v89
	ds_read_b128 v[106:109], v74 offset:720
	v_pk_fma_f16 v55, v49, v92, v55
	v_pk_fma_f16 v92, v49, v110, v48
	s_waitcnt lgkmcnt(2)
	v_mul_u32_u24_sdwa v110, v102, v85 dst_sel:DWORD dst_unused:UNUSED_PAD src0_sel:WORD_0 src1_sel:DWORD
	v_mul_u32_u24_sdwa v102, v102, v85 dst_sel:DWORD dst_unused:UNUSED_PAD src0_sel:WORD_1 src1_sel:DWORD
	ds_read2_b32 v[48:49], v114 offset0:64 offset1:96
	v_mul_u32_u24_sdwa v113, v103, v85 dst_sel:DWORD dst_unused:UNUSED_PAD src0_sel:WORD_0 src1_sel:DWORD
	v_mul_u32_u24_sdwa v103, v103, v85 dst_sel:DWORD dst_unused:UNUSED_PAD src0_sel:WORD_1 src1_sel:DWORD
	s_waitcnt lgkmcnt(2)
	v_pk_fma_f16 v50, v111, v110, v50
	v_pk_fma_f16 v89, v111, v102, v89
	v_mul_u32_u24_sdwa v102, v104, v85 dst_sel:DWORD dst_unused:UNUSED_PAD src0_sel:WORD_0 src1_sel:DWORD
	v_mul_u32_u24_sdwa v104, v104, v85 dst_sel:DWORD dst_unused:UNUSED_PAD src0_sel:WORD_1 src1_sel:DWORD
	v_pk_fma_f16 v55, v111, v113, v55
	v_pk_fma_f16 v92, v111, v103, v92
	v_mul_u32_u24_sdwa v110, v105, v85 dst_sel:DWORD dst_unused:UNUSED_PAD src0_sel:WORD_0 src1_sel:DWORD
	v_mul_u32_u24_sdwa v113, v105, v85 dst_sel:DWORD dst_unused:UNUSED_PAD src0_sel:WORD_1 src1_sel:DWORD
	v_pk_fma_f16 v50, v112, v102, v50
	v_pk_fma_f16 v89, v112, v104, v89
	ds_read_b128 v[102:105], v74 offset:736
	v_pk_fma_f16 v55, v112, v110, v55
	s_waitcnt lgkmcnt(2)
	v_mul_u32_u24_sdwa v115, v106, v85 dst_sel:DWORD dst_unused:UNUSED_PAD src0_sel:WORD_0 src1_sel:DWORD
	v_mul_u32_u24_sdwa v106, v106, v85 dst_sel:DWORD dst_unused:UNUSED_PAD src0_sel:WORD_1 src1_sel:DWORD
	ds_read2_b32 v[110:111], v114 offset0:128 offset1:160
	v_mul_u32_u24_sdwa v116, v107, v85 dst_sel:DWORD dst_unused:UNUSED_PAD src0_sel:WORD_0 src1_sel:DWORD
	v_pk_fma_f16 v92, v112, v113, v92
	v_mul_u32_u24_sdwa v107, v107, v85 dst_sel:DWORD dst_unused:UNUSED_PAD src0_sel:WORD_1 src1_sel:DWORD
	s_waitcnt lgkmcnt(2)
	v_pk_fma_f16 v50, v48, v115, v50
	v_pk_fma_f16 v89, v48, v106, v89
	v_mul_u32_u24_sdwa v106, v108, v85 dst_sel:DWORD dst_unused:UNUSED_PAD src0_sel:WORD_0 src1_sel:DWORD
	v_mul_u32_u24_sdwa v108, v108, v85 dst_sel:DWORD dst_unused:UNUSED_PAD src0_sel:WORD_1 src1_sel:DWORD
	v_pk_fma_f16 v55, v48, v116, v55
	v_mul_u32_u24_sdwa v112, v109, v85 dst_sel:DWORD dst_unused:UNUSED_PAD src0_sel:WORD_0 src1_sel:DWORD
	v_pk_fma_f16 v48, v48, v107, v92
	v_mul_u32_u24_sdwa v92, v109, v85 dst_sel:DWORD dst_unused:UNUSED_PAD src0_sel:WORD_1 src1_sel:DWORD
	v_pk_fma_f16 v50, v49, v106, v50
	v_pk_fma_f16 v89, v49, v108, v89
	ds_read_b128 v[106:109], v74 offset:752
	v_pk_fma_f16 v55, v49, v112, v55
	s_waitcnt lgkmcnt(2)
	v_mul_u32_u24_sdwa v112, v102, v85 dst_sel:DWORD dst_unused:UNUSED_PAD src0_sel:WORD_0 src1_sel:DWORD
	v_pk_fma_f16 v92, v49, v92, v48
	v_mul_u32_u24_sdwa v102, v102, v85 dst_sel:DWORD dst_unused:UNUSED_PAD src0_sel:WORD_1 src1_sel:DWORD
	v_mul_u32_u24_sdwa v113, v103, v85 dst_sel:DWORD dst_unused:UNUSED_PAD src0_sel:WORD_0 src1_sel:DWORD
	v_mul_u32_u24_sdwa v103, v103, v85 dst_sel:DWORD dst_unused:UNUSED_PAD src0_sel:WORD_1 src1_sel:DWORD
	ds_read2_b32 v[48:49], v114 offset0:192 offset1:224
	s_waitcnt lgkmcnt(2)
	v_pk_fma_f16 v50, v110, v112, v50
	v_pk_fma_f16 v89, v110, v102, v89
	;; [unrolled: 1-line block ×4, first 2 shown]
	v_mul_u32_u24_sdwa v102, v104, v85 dst_sel:DWORD dst_unused:UNUSED_PAD src0_sel:WORD_0 src1_sel:DWORD
	v_mul_u32_u24_sdwa v103, v104, v85 dst_sel:DWORD dst_unused:UNUSED_PAD src0_sel:WORD_1 src1_sel:DWORD
	v_mul_u32_u24_sdwa v104, v105, v85 dst_sel:DWORD dst_unused:UNUSED_PAD src0_sel:WORD_0 src1_sel:DWORD
	v_mul_u32_u24_sdwa v105, v105, v85 dst_sel:DWORD dst_unused:UNUSED_PAD src0_sel:WORD_1 src1_sel:DWORD
	v_add_f32_e32 v110, v99, v100
	v_pk_fma_f16 v50, v111, v102, v50
	v_pk_fma_f16 v89, v111, v103, v89
	v_pk_fma_f16 v55, v111, v104, v55
	v_pk_fma_f16 v92, v111, v105, v92
	v_add_nc_u32_e32 v111, 0x3000, v47
	ds_read_b128 v[102:105], v74 offset:768
	s_waitcnt lgkmcnt(2)
	v_mul_u32_u24_sdwa v112, v106, v85 dst_sel:DWORD dst_unused:UNUSED_PAD src0_sel:WORD_0 src1_sel:DWORD
	v_mul_u32_u24_sdwa v106, v106, v85 dst_sel:DWORD dst_unused:UNUSED_PAD src0_sel:WORD_1 src1_sel:DWORD
	v_mul_u32_u24_sdwa v113, v107, v85 dst_sel:DWORD dst_unused:UNUSED_PAD src0_sel:WORD_0 src1_sel:DWORD
	v_mul_u32_u24_sdwa v107, v107, v85 dst_sel:DWORD dst_unused:UNUSED_PAD src0_sel:WORD_1 src1_sel:DWORD
	ds_read2_b32 v[99:100], v111 offset1:32
	s_waitcnt lgkmcnt(2)
	v_pk_fma_f16 v50, v48, v112, v50
	v_pk_fma_f16 v89, v48, v106, v89
	;; [unrolled: 1-line block ×4, first 2 shown]
	v_mul_u32_u24_sdwa v92, v108, v85 dst_sel:DWORD dst_unused:UNUSED_PAD src0_sel:WORD_0 src1_sel:DWORD
	v_mul_u32_u24_sdwa v106, v108, v85 dst_sel:DWORD dst_unused:UNUSED_PAD src0_sel:WORD_1 src1_sel:DWORD
	v_mul_u32_u24_sdwa v107, v109, v85 dst_sel:DWORD dst_unused:UNUSED_PAD src0_sel:WORD_0 src1_sel:DWORD
	v_mul_u32_u24_sdwa v108, v109, v85 dst_sel:DWORD dst_unused:UNUSED_PAD src0_sel:WORD_1 src1_sel:DWORD
	v_add_f32_e32 v98, v98, v110
	v_pk_fma_f16 v50, v49, v92, v50
	v_pk_fma_f16 v89, v49, v106, v89
	;; [unrolled: 1-line block ×4, first 2 shown]
	ds_read_b128 v[106:109], v74 offset:784
	s_waitcnt lgkmcnt(2)
	v_mul_u32_u24_sdwa v110, v102, v85 dst_sel:DWORD dst_unused:UNUSED_PAD src0_sel:WORD_0 src1_sel:DWORD
	v_mul_u32_u24_sdwa v102, v102, v85 dst_sel:DWORD dst_unused:UNUSED_PAD src0_sel:WORD_1 src1_sel:DWORD
	v_mul_u32_u24_sdwa v112, v103, v85 dst_sel:DWORD dst_unused:UNUSED_PAD src0_sel:WORD_0 src1_sel:DWORD
	v_mul_u32_u24_sdwa v103, v103, v85 dst_sel:DWORD dst_unused:UNUSED_PAD src0_sel:WORD_1 src1_sel:DWORD
	ds_read2_b32 v[48:49], v111 offset0:64 offset1:96
	s_waitcnt lgkmcnt(2)
	v_pk_fma_f16 v50, v99, v110, v50
	v_pk_fma_f16 v89, v99, v102, v89
	;; [unrolled: 1-line block ×4, first 2 shown]
	v_mul_u32_u24_sdwa v99, v104, v85 dst_sel:DWORD dst_unused:UNUSED_PAD src0_sel:WORD_0 src1_sel:DWORD
	v_mul_u32_u24_sdwa v102, v104, v85 dst_sel:DWORD dst_unused:UNUSED_PAD src0_sel:WORD_1 src1_sel:DWORD
	v_mul_u32_u24_sdwa v103, v105, v85 dst_sel:DWORD dst_unused:UNUSED_PAD src0_sel:WORD_0 src1_sel:DWORD
	v_mul_u32_u24_sdwa v104, v105, v85 dst_sel:DWORD dst_unused:UNUSED_PAD src0_sel:WORD_1 src1_sel:DWORD
	v_add_f32_e32 v93, v93, v98
	v_pk_fma_f16 v50, v100, v99, v50
	v_pk_fma_f16 v89, v100, v102, v89
	;; [unrolled: 1-line block ×4, first 2 shown]
	ds_read_b128 v[102:105], v74 offset:800
	s_waitcnt lgkmcnt(2)
	v_mul_u32_u24_sdwa v98, v106, v85 dst_sel:DWORD dst_unused:UNUSED_PAD src0_sel:WORD_0 src1_sel:DWORD
	v_mul_u32_u24_sdwa v99, v106, v85 dst_sel:DWORD dst_unused:UNUSED_PAD src0_sel:WORD_1 src1_sel:DWORD
	v_mul_u32_u24_sdwa v100, v107, v85 dst_sel:DWORD dst_unused:UNUSED_PAD src0_sel:WORD_0 src1_sel:DWORD
	v_mul_u32_u24_sdwa v110, v107, v85 dst_sel:DWORD dst_unused:UNUSED_PAD src0_sel:WORD_1 src1_sel:DWORD
	ds_read2_b32 v[106:107], v111 offset0:128 offset1:160
	s_waitcnt lgkmcnt(2)
	v_pk_fma_f16 v50, v48, v98, v50
	v_pk_fma_f16 v89, v48, v99, v89
	;; [unrolled: 1-line block ×4, first 2 shown]
	v_mul_u32_u24_sdwa v92, v108, v85 dst_sel:DWORD dst_unused:UNUSED_PAD src0_sel:WORD_0 src1_sel:DWORD
	v_mul_u32_u24_sdwa v98, v108, v85 dst_sel:DWORD dst_unused:UNUSED_PAD src0_sel:WORD_1 src1_sel:DWORD
	v_mul_u32_u24_sdwa v99, v109, v85 dst_sel:DWORD dst_unused:UNUSED_PAD src0_sel:WORD_0 src1_sel:DWORD
	v_mul_u32_u24_sdwa v100, v109, v85 dst_sel:DWORD dst_unused:UNUSED_PAD src0_sel:WORD_1 src1_sel:DWORD
	v_fmac_f32_e32 v93, v87, v101
	v_pk_fma_f16 v50, v49, v92, v50
	v_pk_fma_f16 v87, v49, v98, v89
	;; [unrolled: 1-line block ×4, first 2 shown]
	ds_read_b128 v[98:101], v74 offset:816
	s_waitcnt lgkmcnt(2)
	v_mul_u32_u24_sdwa v92, v102, v85 dst_sel:DWORD dst_unused:UNUSED_PAD src0_sel:WORD_0 src1_sel:DWORD
	v_mul_u32_u24_sdwa v102, v102, v85 dst_sel:DWORD dst_unused:UNUSED_PAD src0_sel:WORD_1 src1_sel:DWORD
	v_mul_u32_u24_sdwa v108, v103, v85 dst_sel:DWORD dst_unused:UNUSED_PAD src0_sel:WORD_0 src1_sel:DWORD
	v_mul_u32_u24_sdwa v103, v103, v85 dst_sel:DWORD dst_unused:UNUSED_PAD src0_sel:WORD_1 src1_sel:DWORD
	ds_read2_b32 v[48:49], v111 offset0:192 offset1:224
	s_waitcnt lgkmcnt(2)
	v_pk_fma_f16 v50, v106, v92, v50
	v_pk_fma_f16 v87, v106, v102, v87
	;; [unrolled: 1-line block ×3, first 2 shown]
	v_mul_u32_u24_sdwa v92, v104, v85 dst_sel:DWORD dst_unused:UNUSED_PAD src0_sel:WORD_0 src1_sel:DWORD
	v_mul_u32_u24_sdwa v102, v104, v85 dst_sel:DWORD dst_unused:UNUSED_PAD src0_sel:WORD_1 src1_sel:DWORD
	v_mul_u32_u24_sdwa v104, v105, v85 dst_sel:DWORD dst_unused:UNUSED_PAD src0_sel:WORD_0 src1_sel:DWORD
	v_pk_fma_f16 v89, v106, v103, v89
	v_mul_u32_u24_sdwa v106, v105, v85 dst_sel:DWORD dst_unused:UNUSED_PAD src0_sel:WORD_1 src1_sel:DWORD
	v_pk_fma_f16 v50, v107, v92, v50
	v_pk_fma_f16 v87, v107, v102, v87
	;; [unrolled: 1-line block ×3, first 2 shown]
	v_add_nc_u32_e32 v92, 0x3400, v47
	ds_read_b128 v[102:105], v74 offset:832
	v_pk_fma_f16 v89, v107, v106, v89
	s_waitcnt lgkmcnt(2)
	v_mul_u32_u24_sdwa v108, v98, v85 dst_sel:DWORD dst_unused:UNUSED_PAD src0_sel:WORD_0 src1_sel:DWORD
	v_mul_u32_u24_sdwa v98, v98, v85 dst_sel:DWORD dst_unused:UNUSED_PAD src0_sel:WORD_1 src1_sel:DWORD
	ds_read2_b32 v[106:107], v92 offset1:32
	v_mul_u32_u24_sdwa v109, v99, v85 dst_sel:DWORD dst_unused:UNUSED_PAD src0_sel:WORD_0 src1_sel:DWORD
	v_mul_u32_u24_sdwa v99, v99, v85 dst_sel:DWORD dst_unused:UNUSED_PAD src0_sel:WORD_1 src1_sel:DWORD
	s_waitcnt lgkmcnt(2)
	v_pk_fma_f16 v50, v48, v108, v50
	v_pk_fma_f16 v87, v48, v98, v87
	v_mul_u32_u24_sdwa v98, v100, v85 dst_sel:DWORD dst_unused:UNUSED_PAD src0_sel:WORD_0 src1_sel:DWORD
	v_pk_fma_f16 v55, v48, v109, v55
	v_mul_u32_u24_sdwa v100, v100, v85 dst_sel:DWORD dst_unused:UNUSED_PAD src0_sel:WORD_1 src1_sel:DWORD
	v_pk_fma_f16 v48, v48, v99, v89
	v_mul_u32_u24_sdwa v89, v101, v85 dst_sel:DWORD dst_unused:UNUSED_PAD src0_sel:WORD_0 src1_sel:DWORD
	v_mul_u32_u24_sdwa v108, v101, v85 dst_sel:DWORD dst_unused:UNUSED_PAD src0_sel:WORD_1 src1_sel:DWORD
	v_pk_fma_f16 v50, v49, v98, v50
	v_pk_fma_f16 v87, v49, v100, v87
	ds_read_b128 v[98:101], v74 offset:848
	v_pk_fma_f16 v55, v49, v89, v55
	v_pk_fma_f16 v89, v49, v108, v48
	s_waitcnt lgkmcnt(2)
	v_mul_u32_u24_sdwa v108, v102, v85 dst_sel:DWORD dst_unused:UNUSED_PAD src0_sel:WORD_0 src1_sel:DWORD
	v_mul_u32_u24_sdwa v102, v102, v85 dst_sel:DWORD dst_unused:UNUSED_PAD src0_sel:WORD_1 src1_sel:DWORD
	v_mul_u32_u24_sdwa v109, v103, v85 dst_sel:DWORD dst_unused:UNUSED_PAD src0_sel:WORD_0 src1_sel:DWORD
	ds_read2_b32 v[48:49], v92 offset0:64 offset1:96
	v_mul_u32_u24_sdwa v103, v103, v85 dst_sel:DWORD dst_unused:UNUSED_PAD src0_sel:WORD_1 src1_sel:DWORD
	s_waitcnt lgkmcnt(2)
	v_pk_fma_f16 v50, v106, v108, v50
	v_pk_fma_f16 v87, v106, v102, v87
	v_mul_u32_u24_sdwa v102, v104, v85 dst_sel:DWORD dst_unused:UNUSED_PAD src0_sel:WORD_0 src1_sel:DWORD
	v_mul_u32_u24_sdwa v104, v104, v85 dst_sel:DWORD dst_unused:UNUSED_PAD src0_sel:WORD_1 src1_sel:DWORD
	v_pk_fma_f16 v55, v106, v109, v55
	v_pk_fma_f16 v89, v106, v103, v89
	v_mul_u32_u24_sdwa v106, v105, v85 dst_sel:DWORD dst_unused:UNUSED_PAD src0_sel:WORD_0 src1_sel:DWORD
	v_mul_u32_u24_sdwa v110, v105, v85 dst_sel:DWORD dst_unused:UNUSED_PAD src0_sel:WORD_1 src1_sel:DWORD
	v_pk_fma_f16 v50, v107, v102, v50
	v_pk_fma_f16 v87, v107, v104, v87
	ds_read_b128 v[102:105], v74 offset:864
	ds_read2_b32 v[108:109], v92 offset0:128 offset1:160
	v_pk_fma_f16 v55, v107, v106, v55
	s_waitcnt lgkmcnt(3)
	v_mul_u32_u24_sdwa v106, v98, v85 dst_sel:DWORD dst_unused:UNUSED_PAD src0_sel:WORD_0 src1_sel:DWORD
	v_mul_u32_u24_sdwa v98, v98, v85 dst_sel:DWORD dst_unused:UNUSED_PAD src0_sel:WORD_1 src1_sel:DWORD
	v_mul_u32_u24_sdwa v111, v99, v85 dst_sel:DWORD dst_unused:UNUSED_PAD src0_sel:WORD_0 src1_sel:DWORD
	v_pk_fma_f16 v89, v107, v110, v89
	v_mul_u32_u24_sdwa v99, v99, v85 dst_sel:DWORD dst_unused:UNUSED_PAD src0_sel:WORD_1 src1_sel:DWORD
	s_waitcnt lgkmcnt(2)
	v_pk_fma_f16 v50, v48, v106, v50
	v_pk_fma_f16 v87, v48, v98, v87
	;; [unrolled: 1-line block ×3, first 2 shown]
	v_mul_u32_u24_sdwa v98, v100, v85 dst_sel:DWORD dst_unused:UNUSED_PAD src0_sel:WORD_0 src1_sel:DWORD
	v_mul_u32_u24_sdwa v100, v100, v85 dst_sel:DWORD dst_unused:UNUSED_PAD src0_sel:WORD_1 src1_sel:DWORD
	v_mul_u32_u24_sdwa v106, v101, v85 dst_sel:DWORD dst_unused:UNUSED_PAD src0_sel:WORD_0 src1_sel:DWORD
	v_pk_fma_f16 v48, v48, v99, v89
	v_mul_u32_u24_sdwa v89, v101, v85 dst_sel:DWORD dst_unused:UNUSED_PAD src0_sel:WORD_1 src1_sel:DWORD
	v_pk_fma_f16 v50, v49, v98, v50
	v_pk_fma_f16 v87, v49, v100, v87
	;; [unrolled: 1-line block ×3, first 2 shown]
	ds_read_b128 v[98:101], v74 offset:880
	s_waitcnt lgkmcnt(2)
	v_mul_u32_u24_sdwa v106, v102, v85 dst_sel:DWORD dst_unused:UNUSED_PAD src0_sel:WORD_0 src1_sel:DWORD
	v_pk_fma_f16 v89, v49, v89, v48
	v_mul_u32_u24_sdwa v102, v102, v85 dst_sel:DWORD dst_unused:UNUSED_PAD src0_sel:WORD_1 src1_sel:DWORD
	v_mul_u32_u24_sdwa v107, v103, v85 dst_sel:DWORD dst_unused:UNUSED_PAD src0_sel:WORD_0 src1_sel:DWORD
	v_mul_u32_u24_sdwa v103, v103, v85 dst_sel:DWORD dst_unused:UNUSED_PAD src0_sel:WORD_1 src1_sel:DWORD
	s_waitcnt lgkmcnt(1)
	v_pk_fma_f16 v50, v108, v106, v50
	ds_read2_b32 v[48:49], v92 offset0:192 offset1:224
	v_pk_fma_f16 v87, v108, v102, v87
	v_pk_fma_f16 v55, v108, v107, v55
	;; [unrolled: 1-line block ×3, first 2 shown]
	v_mul_u32_u24_sdwa v92, v104, v85 dst_sel:DWORD dst_unused:UNUSED_PAD src0_sel:WORD_0 src1_sel:DWORD
	v_mul_u32_u24_sdwa v102, v104, v85 dst_sel:DWORD dst_unused:UNUSED_PAD src0_sel:WORD_1 src1_sel:DWORD
	v_mul_u32_u24_sdwa v103, v105, v85 dst_sel:DWORD dst_unused:UNUSED_PAD src0_sel:WORD_0 src1_sel:DWORD
	v_mul_u32_u24_sdwa v104, v105, v85 dst_sel:DWORD dst_unused:UNUSED_PAD src0_sel:WORD_1 src1_sel:DWORD
	v_pk_fma_f16 v50, v109, v92, v50
	v_pk_fma_f16 v87, v109, v102, v87
	;; [unrolled: 1-line block ×4, first 2 shown]
	v_add_nc_u32_e32 v92, 0x3800, v47
	ds_read_b128 v[102:105], v74 offset:896
	s_waitcnt lgkmcnt(2)
	v_mul_u32_u24_sdwa v97, v98, v85 dst_sel:DWORD dst_unused:UNUSED_PAD src0_sel:WORD_0 src1_sel:DWORD
	v_mul_u32_u24_sdwa v98, v98, v85 dst_sel:DWORD dst_unused:UNUSED_PAD src0_sel:WORD_1 src1_sel:DWORD
	v_mul_u32_u24_sdwa v108, v99, v85 dst_sel:DWORD dst_unused:UNUSED_PAD src0_sel:WORD_0 src1_sel:DWORD
	ds_read2_b32 v[106:107], v92 offset1:32
	v_mul_u32_u24_sdwa v99, v99, v85 dst_sel:DWORD dst_unused:UNUSED_PAD src0_sel:WORD_1 src1_sel:DWORD
	s_waitcnt lgkmcnt(2)
	v_pk_fma_f16 v50, v48, v97, v50
	v_pk_fma_f16 v87, v48, v98, v87
	;; [unrolled: 1-line block ×3, first 2 shown]
	v_mul_u32_u24_sdwa v97, v100, v85 dst_sel:DWORD dst_unused:UNUSED_PAD src0_sel:WORD_1 src1_sel:DWORD
	v_pk_fma_f16 v48, v48, v99, v89
	v_mul_u32_u24_sdwa v89, v100, v85 dst_sel:DWORD dst_unused:UNUSED_PAD src0_sel:WORD_0 src1_sel:DWORD
	v_mul_u32_u24_sdwa v98, v101, v85 dst_sel:DWORD dst_unused:UNUSED_PAD src0_sel:WORD_0 src1_sel:DWORD
	v_mul_u32_u24_sdwa v99, v101, v85 dst_sel:DWORD dst_unused:UNUSED_PAD src0_sel:WORD_1 src1_sel:DWORD
	v_add_f32_e32 v100, v95, v96
	v_pk_fma_f16 v87, v49, v97, v87
	v_pk_fma_f16 v50, v49, v89, v50
	;; [unrolled: 1-line block ×4, first 2 shown]
	ds_read_b128 v[95:98], v74 offset:912
	s_waitcnt lgkmcnt(2)
	v_mul_u32_u24_sdwa v99, v102, v85 dst_sel:DWORD dst_unused:UNUSED_PAD src0_sel:WORD_0 src1_sel:DWORD
	v_mul_u32_u24_sdwa v101, v102, v85 dst_sel:DWORD dst_unused:UNUSED_PAD src0_sel:WORD_1 src1_sel:DWORD
	v_mul_u32_u24_sdwa v102, v103, v85 dst_sel:DWORD dst_unused:UNUSED_PAD src0_sel:WORD_0 src1_sel:DWORD
	v_mul_u32_u24_sdwa v103, v103, v85 dst_sel:DWORD dst_unused:UNUSED_PAD src0_sel:WORD_1 src1_sel:DWORD
	ds_read2_b32 v[48:49], v92 offset0:64 offset1:96
	s_waitcnt lgkmcnt(2)
	v_pk_fma_f16 v50, v106, v99, v50
	v_pk_fma_f16 v87, v106, v101, v87
	;; [unrolled: 1-line block ×3, first 2 shown]
	v_mul_u32_u24_sdwa v99, v104, v85 dst_sel:DWORD dst_unused:UNUSED_PAD src0_sel:WORD_0 src1_sel:DWORD
	v_mul_u32_u24_sdwa v101, v104, v85 dst_sel:DWORD dst_unused:UNUSED_PAD src0_sel:WORD_1 src1_sel:DWORD
	v_mul_u32_u24_sdwa v102, v105, v85 dst_sel:DWORD dst_unused:UNUSED_PAD src0_sel:WORD_0 src1_sel:DWORD
	v_pk_fma_f16 v89, v106, v103, v89
	v_mul_u32_u24_sdwa v103, v105, v85 dst_sel:DWORD dst_unused:UNUSED_PAD src0_sel:WORD_1 src1_sel:DWORD
	v_add_f32_e32 v91, v91, v100
	v_pk_fma_f16 v50, v107, v99, v50
	v_pk_fma_f16 v87, v107, v101, v87
	v_pk_fma_f16 v55, v107, v102, v55
	ds_read_b128 v[99:102], v74 offset:928
	v_pk_fma_f16 v89, v107, v103, v89
	ds_read2_b32 v[103:104], v92 offset0:128 offset1:160
	s_waitcnt lgkmcnt(3)
	v_mul_u32_u24_sdwa v105, v95, v85 dst_sel:DWORD dst_unused:UNUSED_PAD src0_sel:WORD_0 src1_sel:DWORD
	v_mul_u32_u24_sdwa v95, v95, v85 dst_sel:DWORD dst_unused:UNUSED_PAD src0_sel:WORD_1 src1_sel:DWORD
	v_mul_u32_u24_sdwa v106, v96, v85 dst_sel:DWORD dst_unused:UNUSED_PAD src0_sel:WORD_0 src1_sel:DWORD
	v_mul_u32_u24_sdwa v96, v96, v85 dst_sel:DWORD dst_unused:UNUSED_PAD src0_sel:WORD_1 src1_sel:DWORD
	v_fmac_f32_e32 v91, v86, v94
	s_waitcnt lgkmcnt(2)
	v_pk_fma_f16 v50, v48, v105, v50
	v_pk_fma_f16 v87, v48, v95, v87
	;; [unrolled: 1-line block ×4, first 2 shown]
	v_mul_u32_u24_sdwa v89, v97, v85 dst_sel:DWORD dst_unused:UNUSED_PAD src0_sel:WORD_0 src1_sel:DWORD
	v_mul_u32_u24_sdwa v95, v97, v85 dst_sel:DWORD dst_unused:UNUSED_PAD src0_sel:WORD_1 src1_sel:DWORD
	v_mul_u32_u24_sdwa v96, v98, v85 dst_sel:DWORD dst_unused:UNUSED_PAD src0_sel:WORD_0 src1_sel:DWORD
	v_mul_u32_u24_sdwa v97, v98, v85 dst_sel:DWORD dst_unused:UNUSED_PAD src0_sel:WORD_1 src1_sel:DWORD
	v_pk_fma_f16 v50, v49, v89, v50
	v_pk_fma_f16 v86, v49, v95, v87
	;; [unrolled: 1-line block ×4, first 2 shown]
	ds_read_b128 v[94:97], v74 offset:944
	s_waitcnt lgkmcnt(2)
	v_mul_u32_u24_sdwa v89, v99, v85 dst_sel:DWORD dst_unused:UNUSED_PAD src0_sel:WORD_0 src1_sel:DWORD
	v_mul_u32_u24_sdwa v98, v99, v85 dst_sel:DWORD dst_unused:UNUSED_PAD src0_sel:WORD_1 src1_sel:DWORD
	v_mul_u32_u24_sdwa v99, v100, v85 dst_sel:DWORD dst_unused:UNUSED_PAD src0_sel:WORD_0 src1_sel:DWORD
	v_mul_u32_u24_sdwa v100, v100, v85 dst_sel:DWORD dst_unused:UNUSED_PAD src0_sel:WORD_1 src1_sel:DWORD
	ds_read2_b32 v[48:49], v92 offset0:192 offset1:224
	s_waitcnt lgkmcnt(2)
	v_pk_fma_f16 v50, v103, v89, v50
	v_pk_fma_f16 v86, v103, v98, v86
	;; [unrolled: 1-line block ×3, first 2 shown]
	v_mul_u32_u24_sdwa v89, v101, v85 dst_sel:DWORD dst_unused:UNUSED_PAD src0_sel:WORD_0 src1_sel:DWORD
	v_mul_u32_u24_sdwa v92, v101, v85 dst_sel:DWORD dst_unused:UNUSED_PAD src0_sel:WORD_1 src1_sel:DWORD
	v_mul_u32_u24_sdwa v98, v102, v85 dst_sel:DWORD dst_unused:UNUSED_PAD src0_sel:WORD_0 src1_sel:DWORD
	v_pk_fma_f16 v87, v103, v100, v87
	v_mul_u32_u24_sdwa v102, v102, v85 dst_sel:DWORD dst_unused:UNUSED_PAD src0_sel:WORD_1 src1_sel:DWORD
	v_pk_fma_f16 v50, v104, v89, v50
	v_pk_fma_f16 v89, v104, v92, v86
	;; [unrolled: 1-line block ×3, first 2 shown]
	v_add_nc_u32_e32 v92, 0x3c00, v47
	ds_read_b128 v[98:101], v74 offset:960
	v_pk_fma_f16 v102, v104, v102, v87
	s_waitcnt lgkmcnt(2)
	v_mul_u32_u24_sdwa v103, v94, v85 dst_sel:DWORD dst_unused:UNUSED_PAD src0_sel:WORD_0 src1_sel:DWORD
	v_mul_u32_u24_sdwa v94, v94, v85 dst_sel:DWORD dst_unused:UNUSED_PAD src0_sel:WORD_1 src1_sel:DWORD
	ds_read2_b32 v[86:87], v92 offset1:32
	v_mul_u32_u24_sdwa v104, v95, v85 dst_sel:DWORD dst_unused:UNUSED_PAD src0_sel:WORD_0 src1_sel:DWORD
	v_mul_u32_u24_sdwa v95, v95, v85 dst_sel:DWORD dst_unused:UNUSED_PAD src0_sel:WORD_1 src1_sel:DWORD
	s_waitcnt lgkmcnt(2)
	v_pk_fma_f16 v50, v48, v103, v50
	v_pk_fma_f16 v89, v48, v94, v89
	v_mul_u32_u24_sdwa v94, v96, v85 dst_sel:DWORD dst_unused:UNUSED_PAD src0_sel:WORD_0 src1_sel:DWORD
	v_pk_fma_f16 v55, v48, v104, v55
	v_mul_u32_u24_sdwa v96, v96, v85 dst_sel:DWORD dst_unused:UNUSED_PAD src0_sel:WORD_1 src1_sel:DWORD
	v_pk_fma_f16 v48, v48, v95, v102
	v_mul_u32_u24_sdwa v102, v97, v85 dst_sel:DWORD dst_unused:UNUSED_PAD src0_sel:WORD_0 src1_sel:DWORD
	v_mul_u32_u24_sdwa v103, v97, v85 dst_sel:DWORD dst_unused:UNUSED_PAD src0_sel:WORD_1 src1_sel:DWORD
	v_pk_fma_f16 v50, v49, v94, v50
	v_pk_fma_f16 v89, v49, v96, v89
	ds_read_b128 v[94:97], v74 offset:976
	v_pk_fma_f16 v55, v49, v102, v55
	v_pk_fma_f16 v102, v49, v103, v48
	s_waitcnt lgkmcnt(2)
	v_mul_u32_u24_sdwa v103, v98, v85 dst_sel:DWORD dst_unused:UNUSED_PAD src0_sel:WORD_0 src1_sel:DWORD
	v_mul_u32_u24_sdwa v98, v98, v85 dst_sel:DWORD dst_unused:UNUSED_PAD src0_sel:WORD_1 src1_sel:DWORD
	v_mul_u32_u24_sdwa v104, v99, v85 dst_sel:DWORD dst_unused:UNUSED_PAD src0_sel:WORD_0 src1_sel:DWORD
	ds_read2_b32 v[48:49], v92 offset0:64 offset1:96
	v_mul_u32_u24_sdwa v99, v99, v85 dst_sel:DWORD dst_unused:UNUSED_PAD src0_sel:WORD_1 src1_sel:DWORD
	s_waitcnt lgkmcnt(2)
	v_pk_fma_f16 v50, v86, v103, v50
	v_pk_fma_f16 v89, v86, v98, v89
	v_mul_u32_u24_sdwa v98, v100, v85 dst_sel:DWORD dst_unused:UNUSED_PAD src0_sel:WORD_0 src1_sel:DWORD
	v_mul_u32_u24_sdwa v100, v100, v85 dst_sel:DWORD dst_unused:UNUSED_PAD src0_sel:WORD_1 src1_sel:DWORD
	v_pk_fma_f16 v55, v86, v104, v55
	v_pk_fma_f16 v86, v86, v99, v102
	v_mul_u32_u24_sdwa v102, v101, v85 dst_sel:DWORD dst_unused:UNUSED_PAD src0_sel:WORD_0 src1_sel:DWORD
	v_mul_u32_u24_sdwa v104, v101, v85 dst_sel:DWORD dst_unused:UNUSED_PAD src0_sel:WORD_1 src1_sel:DWORD
	v_pk_fma_f16 v50, v87, v98, v50
	v_pk_fma_f16 v89, v87, v100, v89
	ds_read_b128 v[98:101], v74 offset:992
	v_pk_fma_f16 v55, v87, v102, v55
	ds_read2_b32 v[102:103], v92 offset0:128 offset1:160
	s_waitcnt lgkmcnt(3)
	v_mul_u32_u24_sdwa v105, v94, v85 dst_sel:DWORD dst_unused:UNUSED_PAD src0_sel:WORD_0 src1_sel:DWORD
	v_mul_u32_u24_sdwa v94, v94, v85 dst_sel:DWORD dst_unused:UNUSED_PAD src0_sel:WORD_1 src1_sel:DWORD
	v_mul_u32_u24_sdwa v106, v95, v85 dst_sel:DWORD dst_unused:UNUSED_PAD src0_sel:WORD_0 src1_sel:DWORD
	v_pk_fma_f16 v86, v87, v104, v86
	v_mul_u32_u24_sdwa v87, v95, v85 dst_sel:DWORD dst_unused:UNUSED_PAD src0_sel:WORD_1 src1_sel:DWORD
	s_waitcnt lgkmcnt(2)
	v_pk_fma_f16 v50, v48, v105, v50
	v_pk_fma_f16 v89, v48, v94, v89
	v_pk_fma_f16 v55, v48, v106, v55
	v_mul_u32_u24_sdwa v94, v96, v85 dst_sel:DWORD dst_unused:UNUSED_PAD src0_sel:WORD_0 src1_sel:DWORD
	v_mul_u32_u24_sdwa v95, v96, v85 dst_sel:DWORD dst_unused:UNUSED_PAD src0_sel:WORD_1 src1_sel:DWORD
	v_mul_u32_u24_sdwa v96, v97, v85 dst_sel:DWORD dst_unused:UNUSED_PAD src0_sel:WORD_0 src1_sel:DWORD
	v_pk_fma_f16 v48, v48, v87, v86
	v_mul_u32_u24_sdwa v86, v97, v85 dst_sel:DWORD dst_unused:UNUSED_PAD src0_sel:WORD_1 src1_sel:DWORD
	v_pk_fma_f16 v50, v49, v94, v50
	v_pk_fma_f16 v89, v49, v95, v89
	;; [unrolled: 1-line block ×3, first 2 shown]
	ds_read_b128 v[94:97], v74 offset:1008
	s_waitcnt lgkmcnt(2)
	v_mul_u32_u24_sdwa v87, v98, v85 dst_sel:DWORD dst_unused:UNUSED_PAD src0_sel:WORD_0 src1_sel:DWORD
	v_pk_fma_f16 v48, v49, v86, v48
	v_mul_u32_u24_sdwa v49, v98, v85 dst_sel:DWORD dst_unused:UNUSED_PAD src0_sel:WORD_1 src1_sel:DWORD
	v_mul_u32_u24_sdwa v98, v99, v85 dst_sel:DWORD dst_unused:UNUSED_PAD src0_sel:WORD_0 src1_sel:DWORD
	v_mul_u32_u24_sdwa v99, v99, v85 dst_sel:DWORD dst_unused:UNUSED_PAD src0_sel:WORD_1 src1_sel:DWORD
	s_waitcnt lgkmcnt(1)
	v_pk_fma_f16 v50, v102, v87, v50
	ds_read2_b32 v[86:87], v92 offset0:192 offset1:224
	s_waitcnt lgkmcnt(0)
	s_barrier
	buffer_gl0_inv
	s_load_dword s13, s[6:7], 0x4
	v_pk_fma_f16 v49, v102, v49, v89
	v_pk_fma_f16 v55, v102, v98, v55
	;; [unrolled: 1-line block ×3, first 2 shown]
	v_mul_u32_u24_sdwa v89, v100, v85 dst_sel:DWORD dst_unused:UNUSED_PAD src0_sel:WORD_0 src1_sel:DWORD
	v_mul_u32_u24_sdwa v92, v100, v85 dst_sel:DWORD dst_unused:UNUSED_PAD src0_sel:WORD_1 src1_sel:DWORD
	v_mul_u32_u24_sdwa v98, v101, v85 dst_sel:DWORD dst_unused:UNUSED_PAD src0_sel:WORD_0 src1_sel:DWORD
	v_mul_u32_u24_sdwa v99, v101, v85 dst_sel:DWORD dst_unused:UNUSED_PAD src0_sel:WORD_1 src1_sel:DWORD
	v_pk_fma_f16 v50, v103, v89, v50
	v_pk_fma_f16 v49, v103, v92, v49
	;; [unrolled: 1-line block ×3, first 2 shown]
	v_mul_u32_u24_sdwa v89, v94, v85 dst_sel:DWORD dst_unused:UNUSED_PAD src0_sel:WORD_0 src1_sel:DWORD
	v_mul_u32_u24_sdwa v92, v94, v85 dst_sel:DWORD dst_unused:UNUSED_PAD src0_sel:WORD_1 src1_sel:DWORD
	v_mul_u32_u24_sdwa v94, v95, v85 dst_sel:DWORD dst_unused:UNUSED_PAD src0_sel:WORD_0 src1_sel:DWORD
	v_pk_fma_f16 v48, v103, v99, v48
	v_mul_u32_u24_sdwa v95, v95, v85 dst_sel:DWORD dst_unused:UNUSED_PAD src0_sel:WORD_1 src1_sel:DWORD
	v_pk_fma_f16 v50, v86, v89, v50
	v_pk_fma_f16 v49, v86, v92, v49
	;; [unrolled: 1-line block ×3, first 2 shown]
	v_mul_u32_u24_sdwa v89, v96, v85 dst_sel:DWORD dst_unused:UNUSED_PAD src0_sel:WORD_0 src1_sel:DWORD
	v_mul_u32_u24_sdwa v92, v96, v85 dst_sel:DWORD dst_unused:UNUSED_PAD src0_sel:WORD_1 src1_sel:DWORD
	v_mul_u32_u24_sdwa v94, v97, v85 dst_sel:DWORD dst_unused:UNUSED_PAD src0_sel:WORD_0 src1_sel:DWORD
	v_pk_fma_f16 v86, v86, v95, v48
	v_mul_u32_u24_sdwa v95, v97, v85 dst_sel:DWORD dst_unused:UNUSED_PAD src0_sel:WORD_1 src1_sel:DWORD
	s_waitcnt lgkmcnt(0)
	s_lshl_b32 s13, s13, 7
	v_pk_fma_f16 v50, v87, v89, v50
	v_pk_fma_f16 v49, v87, v92, v49
	v_pk_fma_f16 v48, v87, v94, v55
	v_pk_fma_f16 v55, v87, v95, v86
	s_add_i32 s18, s13, s18
	s_cmp_lt_i32 s18, s10
	s_cbranch_scc0 .LBB59_44
; %bb.42:                               ;   in Loop: Header=BB59_8 Depth=1
	v_mov_b32_e32 v97, v6
	v_mov_b32_e32 v96, v7
	;; [unrolled: 1-line block ×8, first 2 shown]
	s_branch .LBB59_8
.LBB59_43:
	v_mov_b32_e32 v6, 0xfeffffff
	v_mov_b32_e32 v50, 0
	v_mov_b32_e32 v93, 0
	v_mov_b32_e32 v90, 0
	v_mov_b32_e32 v88, 0
	v_mov_b32_e32 v7, v6
	v_mov_b32_e32 v8, v6
	v_mov_b32_e32 v9, v6
	v_mov_b32_e32 v49, 0
	v_mov_b32_e32 v48, 0
	v_mov_b32_e32 v55, 0
.LBB59_44:
	v_lshlrev_b32_e32 v16, 1, v0
	s_cmp_gt_i32 s48, s18
	s_cbranch_scc1 .LBB59_47
; %bb.45:
	v_mbcnt_lo_u32_b32 v2, -1, 0
	v_mov_b32_e32 v17, 32
	v_xor_b32_e32 v18, 16, v2
	v_xor_b32_e32 v15, 8, v2
	;; [unrolled: 1-line block ×5, first 2 shown]
	s_cbranch_execz .LBB59_48
; %bb.46:
	v_mov_b32_e32 v46, v2
	s_branch .LBB59_128
.LBB59_47:
                                        ; implicit-def: $vgpr2
                                        ; implicit-def: $vgpr17
                                        ; implicit-def: $vgpr18
                                        ; implicit-def: $vgpr15
                                        ; implicit-def: $vgpr14
                                        ; implicit-def: $vgpr13
                                        ; implicit-def: $vgpr12
.LBB59_48:
	v_add_nc_u32_e32 v20, v59, v43
	s_mul_hi_i32 s7, s18, s12
	s_mul_i32 s6, s18, s12
	v_and_b32_e32 v4, 28, v47
	s_lshl_b64 s[6:7], s[6:7], 2
	v_mul_lo_u32 v10, s12, v20
	s_sub_i32 s37, s48, s18
	s_add_u32 s6, s8, s6
	s_mov_b64 s[14:15], src_private_base
	s_addc_u32 s14, s9, s7
	v_lshlrev_b32_e32 v19, 2, v4
	v_cmp_gt_i32_e64 s13, s37, v20
	v_mov_b32_e32 v12, 0
	v_ashrrev_i32_e32 v11, 31, v10
	buffer_store_dword v12, off, s[0:3], 0
	buffer_store_dword v12, off, s[0:3], 0 offset:4
	buffer_store_dword v12, off, s[0:3], 0 offset:8
	;; [unrolled: 1-line block ×3, first 2 shown]
	v_lshlrev_b64 v[2:3], 2, v[10:11]
	s_lshl_b32 s16, s12, 4
	v_add_nc_u32_e32 v21, 16, v20
	v_add_nc_u32_e32 v10, s16, v10
	v_mad_u32_u24 v15, 0x90, v20, v19
	v_add_nc_u32_e32 v22, 32, v20
	v_add_co_u32 v2, vcc_lo, s6, v2
	v_add_co_ci_u32_e64 v3, null, s14, v3, vcc_lo
	v_ashrrev_i32_e32 v11, 31, v10
	v_add_co_u32 v2, vcc_lo, v2, v19
	v_add_co_ci_u32_e64 v3, null, 0, v3, vcc_lo
	v_lshlrev_b64 v[13:14], 2, v[10:11]
	v_cndmask_b32_e64 v2, 0, v2, s13
	v_cmp_gt_i32_e64 s12, s37, v21
	v_cndmask_b32_e64 v3, s15, v3, s13
	v_add_nc_u32_e32 v10, s16, v10
	v_cmp_gt_i32_e64 s11, s37, v22
	v_add_co_u32 v11, vcc_lo, s6, v13
	flat_load_dwordx4 v[2:5], v[2:3]
	v_add_co_ci_u32_e64 v13, null, s14, v14, vcc_lo
	v_add_co_u32 v11, vcc_lo, v11, v19
	buffer_store_dword v12, off, s[0:3], 0
	v_add_co_ci_u32_e64 v13, null, 0, v13, vcc_lo
	buffer_store_dword v12, off, s[0:3], 0 offset:4
	buffer_store_dword v12, off, s[0:3], 0 offset:8
	;; [unrolled: 1-line block ×3, first 2 shown]
	v_add_nc_u32_e32 v23, 48, v20
	v_add_nc_u32_e32 v24, 64, v20
	v_cndmask_b32_e64 v14, s15, v13, s12
	v_cndmask_b32_e64 v13, 0, v11, s12
	v_ashrrev_i32_e32 v11, 31, v10
	v_cmp_gt_i32_e64 s10, s37, v23
	v_cmp_gt_i32_e64 s9, s37, v24
	v_add_nc_u32_e32 v25, 0x50, v20
	v_add_nc_u32_e32 v26, 0x60, v20
	;; [unrolled: 1-line block ×3, first 2 shown]
	v_mov_b32_e32 v59, 0
	v_mov_b32_e32 v34, 0
	v_cmp_gt_i32_e64 s8, s37, v25
	v_cmp_gt_i32_e64 s7, s37, v26
	v_mov_b32_e32 v30, 0
	v_mov_b32_e32 v28, 0
	;; [unrolled: 1-line block ×14, first 2 shown]
	s_cmp_lg_u64 s[46:47], 0
	s_waitcnt vmcnt(0) lgkmcnt(0)
	ds_write_b128 v15, v[2:5]
	flat_load_dwordx4 v[2:5], v[13:14]
	v_lshlrev_b64 v[13:14], 2, v[10:11]
	buffer_store_dword v12, off, s[0:3], 0
	buffer_store_dword v12, off, s[0:3], 0 offset:4
	buffer_store_dword v12, off, s[0:3], 0 offset:8
	buffer_store_dword v12, off, s[0:3], 0 offset:12
	v_add_nc_u32_e32 v10, s16, v10
	v_add_co_u32 v11, vcc_lo, s6, v13
	v_add_co_ci_u32_e64 v13, null, s14, v14, vcc_lo
	v_add_co_u32 v11, vcc_lo, v11, v19
	v_add_co_ci_u32_e64 v13, null, 0, v13, vcc_lo
	v_cndmask_b32_e64 v14, s15, v13, s11
	v_cndmask_b32_e64 v13, 0, v11, s11
	v_ashrrev_i32_e32 v11, 31, v10
	s_waitcnt vmcnt(0) lgkmcnt(0)
	ds_write_b128 v15, v[2:5] offset:2304
	flat_load_dwordx4 v[2:5], v[13:14]
	v_lshlrev_b64 v[13:14], 2, v[10:11]
	buffer_store_dword v12, off, s[0:3], 0
	buffer_store_dword v12, off, s[0:3], 0 offset:4
	buffer_store_dword v12, off, s[0:3], 0 offset:8
	buffer_store_dword v12, off, s[0:3], 0 offset:12
	v_add_nc_u32_e32 v10, s16, v10
	v_add_co_u32 v11, vcc_lo, s6, v13
	v_add_co_ci_u32_e64 v13, null, s14, v14, vcc_lo
	v_add_co_u32 v11, vcc_lo, v11, v19
	v_add_co_ci_u32_e64 v13, null, 0, v13, vcc_lo
	v_cndmask_b32_e64 v14, s15, v13, s10
	v_cndmask_b32_e64 v13, 0, v11, s10
	v_ashrrev_i32_e32 v11, 31, v10
	s_waitcnt vmcnt(0) lgkmcnt(0)
	ds_write_b128 v15, v[2:5] offset:4608
	;; [unrolled: 16-line block ×4, first 2 shown]
	flat_load_dwordx4 v[2:5], v[13:14]
	v_lshlrev_b64 v[13:14], 2, v[10:11]
	buffer_store_dword v12, off, s[0:3], 0
	buffer_store_dword v12, off, s[0:3], 0 offset:4
	buffer_store_dword v12, off, s[0:3], 0 offset:8
	;; [unrolled: 1-line block ×3, first 2 shown]
	v_add_nc_u32_e32 v10, s16, v10
	v_add_co_u32 v11, vcc_lo, s6, v13
	v_add_co_ci_u32_e64 v13, null, s14, v14, vcc_lo
	v_add_co_u32 v11, vcc_lo, v11, v19
	v_add_co_ci_u32_e64 v13, null, 0, v13, vcc_lo
	v_cndmask_b32_e64 v14, s15, v13, s7
	v_cndmask_b32_e64 v13, 0, v11, s7
	v_ashrrev_i32_e32 v11, 31, v10
	v_lshlrev_b64 v[10:11], 2, v[10:11]
	v_add_co_u32 v10, vcc_lo, s6, v10
	v_add_co_ci_u32_e64 v11, null, s14, v11, vcc_lo
	v_cmp_gt_i32_e64 s6, s37, v27
	v_add_co_u32 v10, vcc_lo, v10, v19
	v_add_co_ci_u32_e64 v11, null, 0, v11, vcc_lo
	v_cmp_gt_i32_e64 s14, s37, v0
	v_cndmask_b32_e64 v10, 0, v10, s6
	v_cndmask_b32_e64 v11, s15, v11, s6
	s_cselect_b32 s15, -1, 0
	s_waitcnt vmcnt(0) lgkmcnt(0)
	ds_write_b128 v15, v[2:5] offset:11520
	flat_load_dwordx4 v[2:5], v[13:14]
	buffer_store_dword v12, off, s[0:3], 0
	buffer_store_dword v12, off, s[0:3], 0 offset:4
	buffer_store_dword v12, off, s[0:3], 0 offset:8
	buffer_store_dword v12, off, s[0:3], 0 offset:12
	s_waitcnt vmcnt(0) lgkmcnt(0)
	ds_write_b128 v15, v[2:5] offset:13824
	flat_load_dwordx4 v[2:5], v[10:11]
	v_mad_u64_u32 v[10:11], null, v56, s36, s[18:19]
	s_waitcnt vmcnt(0) lgkmcnt(0)
	ds_write_b128 v15, v[2:5] offset:16128
	s_waitcnt lgkmcnt(0)
	s_waitcnt_vscnt null, 0x0
	s_barrier
	buffer_gl0_inv
	ds_read_b128 v[2:5], v58
	ds_read_b128 v[65:68], v57 offset:22528
	ds_read_b128 v[69:72], v57 offset:22656
	;; [unrolled: 1-line block ×7, first 2 shown]
	s_waitcnt lgkmcnt(6)
	;;#ASMSTART
	v_dot2_f32_f16 v59, v2, v65, v59
	;;#ASMEND
	;;#ASMSTART
	v_dot2_f32_f16 v59, v3, v66, v59
	;;#ASMEND
	;;#ASMSTART
	v_dot2_f32_f16 v59, v4, v67, v59
	;;#ASMEND
	;;#ASMSTART
	v_dot2_f32_f16 v59, v5, v68, v59
	;;#ASMEND
	s_waitcnt lgkmcnt(5)
	;;#ASMSTART
	v_dot2_f32_f16 v34, v2, v69, v34
	;;#ASMEND
	;;#ASMSTART
	v_dot2_f32_f16 v34, v3, v70, v34
	;;#ASMEND
	;;#ASMSTART
	v_dot2_f32_f16 v34, v4, v71, v34
	;;#ASMEND
	;;#ASMSTART
	v_dot2_f32_f16 v34, v5, v72, v34
	;;#ASMEND
	;; [unrolled: 13-line block ×5, first 2 shown]
	;;#ASMSTART
	v_dot2_f32_f16 v36, v81, v69, v36
	;;#ASMEND
	;;#ASMSTART
	v_dot2_f32_f16 v36, v82, v70, v36
	;;#ASMEND
	;; [unrolled: 3-line block ×12, first 2 shown]
	s_waitcnt lgkmcnt(1)
	;;#ASMSTART
	v_dot2_f32_f16 v63, v94, v65, v63
	;;#ASMEND
	;;#ASMSTART
	v_dot2_f32_f16 v63, v95, v66, v63
	;;#ASMEND
	;; [unrolled: 3-line block ×16, first 2 shown]
	s_waitcnt lgkmcnt(0)
	;;#ASMSTART
	v_dot2_f32_f16 v64, v98, v65, v64
	;;#ASMEND
	;;#ASMSTART
	v_dot2_f32_f16 v64, v99, v66, v64
	;;#ASMEND
	;;#ASMSTART
	v_dot2_f32_f16 v64, v100, v67, v64
	;;#ASMEND
	;;#ASMSTART
	v_dot2_f32_f16 v64, v101, v68, v64
	;;#ASMEND
	;;#ASMSTART
	v_dot2_f32_f16 v62, v98, v69, v62
	;;#ASMEND
	;;#ASMSTART
	v_dot2_f32_f16 v62, v99, v70, v62
	;;#ASMEND
	;;#ASMSTART
	v_dot2_f32_f16 v62, v100, v71, v62
	;;#ASMEND
	;;#ASMSTART
	v_dot2_f32_f16 v62, v101, v72, v62
	;;#ASMEND
	;;#ASMSTART
	v_dot2_f32_f16 v37, v98, v73, v37
	;;#ASMEND
	;;#ASMSTART
	v_dot2_f32_f16 v37, v99, v74, v37
	;;#ASMEND
	;;#ASMSTART
	v_dot2_f32_f16 v37, v100, v75, v37
	;;#ASMEND
	;;#ASMSTART
	v_dot2_f32_f16 v37, v101, v76, v37
	;;#ASMEND
	;;#ASMSTART
	v_dot2_f32_f16 v33, v98, v77, v33
	;;#ASMEND
	;;#ASMSTART
	v_dot2_f32_f16 v33, v99, v78, v33
	;;#ASMEND
	;;#ASMSTART
	v_dot2_f32_f16 v33, v100, v79, v33
	;;#ASMEND
	;;#ASMSTART
	v_dot2_f32_f16 v33, v101, v80, v33
	;;#ASMEND
	ds_read_b128 v[2:5], v58 offset:16
	ds_read_b128 v[65:68], v57 offset:22544
	;; [unrolled: 1-line block ×8, first 2 shown]
	s_waitcnt lgkmcnt(6)
	;;#ASMSTART
	v_dot2_f32_f16 v59, v2, v65, v59
	;;#ASMEND
	;;#ASMSTART
	v_dot2_f32_f16 v59, v3, v66, v59
	;;#ASMEND
	;;#ASMSTART
	v_dot2_f32_f16 v59, v4, v67, v59
	;;#ASMEND
	;;#ASMSTART
	v_dot2_f32_f16 v59, v5, v68, v59
	;;#ASMEND
	s_waitcnt lgkmcnt(5)
	;;#ASMSTART
	v_dot2_f32_f16 v34, v2, v69, v34
	;;#ASMEND
	;;#ASMSTART
	v_dot2_f32_f16 v34, v3, v70, v34
	;;#ASMEND
	;;#ASMSTART
	v_dot2_f32_f16 v34, v4, v71, v34
	;;#ASMEND
	;;#ASMSTART
	v_dot2_f32_f16 v34, v5, v72, v34
	;;#ASMEND
	;; [unrolled: 13-line block ×5, first 2 shown]
	;;#ASMSTART
	v_dot2_f32_f16 v36, v81, v69, v36
	;;#ASMEND
	;;#ASMSTART
	v_dot2_f32_f16 v36, v82, v70, v36
	;;#ASMEND
	;; [unrolled: 3-line block ×12, first 2 shown]
	s_waitcnt lgkmcnt(1)
	;;#ASMSTART
	v_dot2_f32_f16 v63, v94, v65, v63
	;;#ASMEND
	;;#ASMSTART
	v_dot2_f32_f16 v63, v95, v66, v63
	;;#ASMEND
	;; [unrolled: 3-line block ×16, first 2 shown]
	s_waitcnt lgkmcnt(0)
	;;#ASMSTART
	v_dot2_f32_f16 v64, v98, v65, v64
	;;#ASMEND
	;;#ASMSTART
	v_dot2_f32_f16 v64, v99, v66, v64
	;;#ASMEND
	;; [unrolled: 3-line block ×16, first 2 shown]
	ds_read_b128 v[2:5], v58 offset:32
	ds_read_b128 v[65:68], v57 offset:22560
	;; [unrolled: 1-line block ×8, first 2 shown]
	s_waitcnt lgkmcnt(6)
	;;#ASMSTART
	v_dot2_f32_f16 v59, v2, v65, v59
	;;#ASMEND
	;;#ASMSTART
	v_dot2_f32_f16 v59, v3, v66, v59
	;;#ASMEND
	;;#ASMSTART
	v_dot2_f32_f16 v59, v4, v67, v59
	;;#ASMEND
	;;#ASMSTART
	v_dot2_f32_f16 v59, v5, v68, v59
	;;#ASMEND
	s_waitcnt lgkmcnt(5)
	;;#ASMSTART
	v_dot2_f32_f16 v34, v2, v69, v34
	;;#ASMEND
	;;#ASMSTART
	v_dot2_f32_f16 v34, v3, v70, v34
	;;#ASMEND
	;;#ASMSTART
	v_dot2_f32_f16 v34, v4, v71, v34
	;;#ASMEND
	;;#ASMSTART
	v_dot2_f32_f16 v34, v5, v72, v34
	;;#ASMEND
	;; [unrolled: 13-line block ×5, first 2 shown]
	;;#ASMSTART
	v_dot2_f32_f16 v36, v81, v69, v36
	;;#ASMEND
	;;#ASMSTART
	v_dot2_f32_f16 v36, v82, v70, v36
	;;#ASMEND
	;; [unrolled: 3-line block ×12, first 2 shown]
	s_waitcnt lgkmcnt(1)
	;;#ASMSTART
	v_dot2_f32_f16 v63, v94, v65, v63
	;;#ASMEND
	;;#ASMSTART
	v_dot2_f32_f16 v63, v95, v66, v63
	;;#ASMEND
	;; [unrolled: 3-line block ×16, first 2 shown]
	s_waitcnt lgkmcnt(0)
	;;#ASMSTART
	v_dot2_f32_f16 v64, v98, v65, v64
	;;#ASMEND
	;;#ASMSTART
	v_dot2_f32_f16 v64, v99, v66, v64
	;;#ASMEND
	;; [unrolled: 3-line block ×16, first 2 shown]
	ds_read_b128 v[2:5], v58 offset:48
	ds_read_b128 v[65:68], v57 offset:22576
	;; [unrolled: 1-line block ×8, first 2 shown]
	s_waitcnt lgkmcnt(6)
	;;#ASMSTART
	v_dot2_f32_f16 v59, v2, v65, v59
	;;#ASMEND
	;;#ASMSTART
	v_dot2_f32_f16 v59, v3, v66, v59
	;;#ASMEND
	;;#ASMSTART
	v_dot2_f32_f16 v59, v4, v67, v59
	;;#ASMEND
	;;#ASMSTART
	v_dot2_f32_f16 v59, v5, v68, v59
	;;#ASMEND
	s_waitcnt lgkmcnt(5)
	;;#ASMSTART
	v_dot2_f32_f16 v34, v2, v69, v34
	;;#ASMEND
	;;#ASMSTART
	v_dot2_f32_f16 v34, v3, v70, v34
	;;#ASMEND
	;;#ASMSTART
	v_dot2_f32_f16 v34, v4, v71, v34
	;;#ASMEND
	;;#ASMSTART
	v_dot2_f32_f16 v34, v5, v72, v34
	;;#ASMEND
	;; [unrolled: 13-line block ×5, first 2 shown]
	;;#ASMSTART
	v_dot2_f32_f16 v36, v81, v69, v36
	;;#ASMEND
	;;#ASMSTART
	v_dot2_f32_f16 v36, v82, v70, v36
	;;#ASMEND
	;; [unrolled: 3-line block ×12, first 2 shown]
	s_waitcnt lgkmcnt(1)
	;;#ASMSTART
	v_dot2_f32_f16 v63, v94, v65, v63
	;;#ASMEND
	;;#ASMSTART
	v_dot2_f32_f16 v63, v95, v66, v63
	;;#ASMEND
	;;#ASMSTART
	v_dot2_f32_f16 v63, v96, v67, v63
	;;#ASMEND
	;;#ASMSTART
	v_dot2_f32_f16 v63, v97, v68, v63
	;;#ASMEND
	;;#ASMSTART
	v_dot2_f32_f16 v60, v94, v69, v60
	;;#ASMEND
	;;#ASMSTART
	v_dot2_f32_f16 v60, v95, v70, v60
	;;#ASMEND
	;;#ASMSTART
	v_dot2_f32_f16 v60, v96, v71, v60
	;;#ASMEND
	;;#ASMSTART
	v_dot2_f32_f16 v60, v97, v72, v60
	;;#ASMEND
	;;#ASMSTART
	v_dot2_f32_f16 v35, v94, v73, v35
	;;#ASMEND
	;;#ASMSTART
	v_dot2_f32_f16 v35, v95, v74, v35
	;;#ASMEND
	;;#ASMSTART
	v_dot2_f32_f16 v35, v96, v75, v35
	;;#ASMEND
	;;#ASMSTART
	v_dot2_f32_f16 v35, v97, v76, v35
	;;#ASMEND
	;;#ASMSTART
	v_dot2_f32_f16 v31, v94, v77, v31
	;;#ASMEND
	;;#ASMSTART
	v_dot2_f32_f16 v31, v95, v78, v31
	;;#ASMEND
	;;#ASMSTART
	v_dot2_f32_f16 v31, v96, v79, v31
	;;#ASMEND
	;;#ASMSTART
	v_dot2_f32_f16 v31, v97, v80, v31
	;;#ASMEND
	s_waitcnt lgkmcnt(0)
	;;#ASMSTART
	v_dot2_f32_f16 v64, v98, v65, v64
	;;#ASMEND
	;;#ASMSTART
	v_dot2_f32_f16 v64, v99, v66, v64
	;;#ASMEND
	;; [unrolled: 3-line block ×16, first 2 shown]
	ds_read_b128 v[2:5], v58 offset:64
	ds_read_b128 v[65:68], v57 offset:22592
	;; [unrolled: 1-line block ×8, first 2 shown]
	s_waitcnt lgkmcnt(6)
	;;#ASMSTART
	v_dot2_f32_f16 v59, v2, v65, v59
	;;#ASMEND
	;;#ASMSTART
	v_dot2_f32_f16 v59, v3, v66, v59
	;;#ASMEND
	;;#ASMSTART
	v_dot2_f32_f16 v59, v4, v67, v59
	;;#ASMEND
	;;#ASMSTART
	v_dot2_f32_f16 v59, v5, v68, v59
	;;#ASMEND
	s_waitcnt lgkmcnt(5)
	;;#ASMSTART
	v_dot2_f32_f16 v34, v2, v69, v34
	;;#ASMEND
	;;#ASMSTART
	v_dot2_f32_f16 v34, v3, v70, v34
	;;#ASMEND
	;;#ASMSTART
	v_dot2_f32_f16 v34, v4, v71, v34
	;;#ASMEND
	;;#ASMSTART
	v_dot2_f32_f16 v34, v5, v72, v34
	;;#ASMEND
	s_waitcnt lgkmcnt(4)
	;;#ASMSTART
	v_dot2_f32_f16 v30, v2, v73, v30
	;;#ASMEND
	;;#ASMSTART
	v_dot2_f32_f16 v30, v3, v74, v30
	;;#ASMEND
	;;#ASMSTART
	v_dot2_f32_f16 v30, v4, v75, v30
	;;#ASMEND
	;;#ASMSTART
	v_dot2_f32_f16 v30, v5, v76, v30
	;;#ASMEND
	s_waitcnt lgkmcnt(3)
	;;#ASMSTART
	v_dot2_f32_f16 v28, v2, v77, v28
	;;#ASMEND
	;;#ASMSTART
	v_dot2_f32_f16 v28, v3, v78, v28
	;;#ASMEND
	;;#ASMSTART
	v_dot2_f32_f16 v28, v4, v79, v28
	;;#ASMEND
	;;#ASMSTART
	v_dot2_f32_f16 v28, v5, v80, v28
	;;#ASMEND
	s_waitcnt lgkmcnt(2)
	;;#ASMSTART
	v_dot2_f32_f16 v61, v81, v65, v61
	;;#ASMEND
	;;#ASMSTART
	v_dot2_f32_f16 v61, v82, v66, v61
	;;#ASMEND
	;;#ASMSTART
	v_dot2_f32_f16 v61, v83, v67, v61
	;;#ASMEND
	;;#ASMSTART
	v_dot2_f32_f16 v61, v84, v68, v61
	;;#ASMEND
	;;#ASMSTART
	v_dot2_f32_f16 v36, v81, v69, v36
	;;#ASMEND
	;;#ASMSTART
	v_dot2_f32_f16 v36, v82, v70, v36
	;;#ASMEND
	;; [unrolled: 3-line block ×12, first 2 shown]
	s_waitcnt lgkmcnt(1)
	;;#ASMSTART
	v_dot2_f32_f16 v63, v94, v65, v63
	;;#ASMEND
	;;#ASMSTART
	v_dot2_f32_f16 v63, v95, v66, v63
	;;#ASMEND
	;; [unrolled: 3-line block ×16, first 2 shown]
	s_waitcnt lgkmcnt(0)
	;;#ASMSTART
	v_dot2_f32_f16 v64, v98, v65, v64
	;;#ASMEND
	;;#ASMSTART
	v_dot2_f32_f16 v64, v99, v66, v64
	;;#ASMEND
	;; [unrolled: 3-line block ×16, first 2 shown]
	ds_read_b128 v[2:5], v58 offset:80
	ds_read_b128 v[65:68], v57 offset:22608
	;; [unrolled: 1-line block ×8, first 2 shown]
	s_waitcnt lgkmcnt(6)
	;;#ASMSTART
	v_dot2_f32_f16 v59, v2, v65, v59
	;;#ASMEND
	;;#ASMSTART
	v_dot2_f32_f16 v59, v3, v66, v59
	;;#ASMEND
	;;#ASMSTART
	v_dot2_f32_f16 v59, v4, v67, v59
	;;#ASMEND
	;;#ASMSTART
	v_dot2_f32_f16 v59, v5, v68, v59
	;;#ASMEND
	s_waitcnt lgkmcnt(5)
	;;#ASMSTART
	v_dot2_f32_f16 v34, v2, v69, v34
	;;#ASMEND
	;;#ASMSTART
	v_dot2_f32_f16 v34, v3, v70, v34
	;;#ASMEND
	;;#ASMSTART
	v_dot2_f32_f16 v34, v4, v71, v34
	;;#ASMEND
	;;#ASMSTART
	v_dot2_f32_f16 v34, v5, v72, v34
	;;#ASMEND
	;; [unrolled: 13-line block ×5, first 2 shown]
	;;#ASMSTART
	v_dot2_f32_f16 v36, v81, v69, v36
	;;#ASMEND
	;;#ASMSTART
	v_dot2_f32_f16 v36, v82, v70, v36
	;;#ASMEND
	;; [unrolled: 3-line block ×12, first 2 shown]
	s_waitcnt lgkmcnt(1)
	;;#ASMSTART
	v_dot2_f32_f16 v63, v94, v65, v63
	;;#ASMEND
	;;#ASMSTART
	v_dot2_f32_f16 v63, v95, v66, v63
	;;#ASMEND
	;;#ASMSTART
	v_dot2_f32_f16 v63, v96, v67, v63
	;;#ASMEND
	;;#ASMSTART
	v_dot2_f32_f16 v63, v97, v68, v63
	;;#ASMEND
	;;#ASMSTART
	v_dot2_f32_f16 v60, v94, v69, v60
	;;#ASMEND
	;;#ASMSTART
	v_dot2_f32_f16 v60, v95, v70, v60
	;;#ASMEND
	;;#ASMSTART
	v_dot2_f32_f16 v60, v96, v71, v60
	;;#ASMEND
	;;#ASMSTART
	v_dot2_f32_f16 v60, v97, v72, v60
	;;#ASMEND
	;;#ASMSTART
	v_dot2_f32_f16 v35, v94, v73, v35
	;;#ASMEND
	;;#ASMSTART
	v_dot2_f32_f16 v35, v95, v74, v35
	;;#ASMEND
	;;#ASMSTART
	v_dot2_f32_f16 v35, v96, v75, v35
	;;#ASMEND
	;;#ASMSTART
	v_dot2_f32_f16 v35, v97, v76, v35
	;;#ASMEND
	;;#ASMSTART
	v_dot2_f32_f16 v31, v94, v77, v31
	;;#ASMEND
	;;#ASMSTART
	v_dot2_f32_f16 v31, v95, v78, v31
	;;#ASMEND
	;;#ASMSTART
	v_dot2_f32_f16 v31, v96, v79, v31
	;;#ASMEND
	;;#ASMSTART
	v_dot2_f32_f16 v31, v97, v80, v31
	;;#ASMEND
	s_waitcnt lgkmcnt(0)
	;;#ASMSTART
	v_dot2_f32_f16 v64, v98, v65, v64
	;;#ASMEND
	;;#ASMSTART
	v_dot2_f32_f16 v64, v99, v66, v64
	;;#ASMEND
	;; [unrolled: 3-line block ×16, first 2 shown]
	ds_read_b128 v[2:5], v58 offset:96
	ds_read_b128 v[65:68], v57 offset:22624
	;; [unrolled: 1-line block ×8, first 2 shown]
	s_waitcnt lgkmcnt(6)
	;;#ASMSTART
	v_dot2_f32_f16 v59, v2, v65, v59
	;;#ASMEND
	;;#ASMSTART
	v_dot2_f32_f16 v59, v3, v66, v59
	;;#ASMEND
	;;#ASMSTART
	v_dot2_f32_f16 v59, v4, v67, v59
	;;#ASMEND
	;;#ASMSTART
	v_dot2_f32_f16 v59, v5, v68, v59
	;;#ASMEND
	s_waitcnt lgkmcnt(5)
	;;#ASMSTART
	v_dot2_f32_f16 v34, v2, v69, v34
	;;#ASMEND
	;;#ASMSTART
	v_dot2_f32_f16 v34, v3, v70, v34
	;;#ASMEND
	;;#ASMSTART
	v_dot2_f32_f16 v34, v4, v71, v34
	;;#ASMEND
	;;#ASMSTART
	v_dot2_f32_f16 v34, v5, v72, v34
	;;#ASMEND
	;; [unrolled: 13-line block ×5, first 2 shown]
	;;#ASMSTART
	v_dot2_f32_f16 v36, v81, v69, v36
	;;#ASMEND
	;;#ASMSTART
	v_dot2_f32_f16 v36, v82, v70, v36
	;;#ASMEND
	;; [unrolled: 3-line block ×12, first 2 shown]
	s_waitcnt lgkmcnt(1)
	;;#ASMSTART
	v_dot2_f32_f16 v63, v94, v65, v63
	;;#ASMEND
	;;#ASMSTART
	v_dot2_f32_f16 v63, v95, v66, v63
	;;#ASMEND
	;;#ASMSTART
	v_dot2_f32_f16 v63, v96, v67, v63
	;;#ASMEND
	;;#ASMSTART
	v_dot2_f32_f16 v63, v97, v68, v63
	;;#ASMEND
	;;#ASMSTART
	v_dot2_f32_f16 v60, v94, v69, v60
	;;#ASMEND
	;;#ASMSTART
	v_dot2_f32_f16 v60, v95, v70, v60
	;;#ASMEND
	;;#ASMSTART
	v_dot2_f32_f16 v60, v96, v71, v60
	;;#ASMEND
	;;#ASMSTART
	v_dot2_f32_f16 v60, v97, v72, v60
	;;#ASMEND
	;;#ASMSTART
	v_dot2_f32_f16 v35, v94, v73, v35
	;;#ASMEND
	;;#ASMSTART
	v_dot2_f32_f16 v35, v95, v74, v35
	;;#ASMEND
	;;#ASMSTART
	v_dot2_f32_f16 v35, v96, v75, v35
	;;#ASMEND
	;;#ASMSTART
	v_dot2_f32_f16 v35, v97, v76, v35
	;;#ASMEND
	;;#ASMSTART
	v_dot2_f32_f16 v31, v94, v77, v31
	;;#ASMEND
	;;#ASMSTART
	v_dot2_f32_f16 v31, v95, v78, v31
	;;#ASMEND
	;;#ASMSTART
	v_dot2_f32_f16 v31, v96, v79, v31
	;;#ASMEND
	;;#ASMSTART
	v_dot2_f32_f16 v31, v97, v80, v31
	;;#ASMEND
	s_waitcnt lgkmcnt(0)
	;;#ASMSTART
	v_dot2_f32_f16 v64, v98, v65, v64
	;;#ASMEND
	;;#ASMSTART
	v_dot2_f32_f16 v64, v99, v66, v64
	;;#ASMEND
	;; [unrolled: 3-line block ×16, first 2 shown]
	ds_read_b128 v[66:69], v58 offset:112
	ds_read_b128 v[70:73], v57 offset:22640
	;; [unrolled: 1-line block ×8, first 2 shown]
	s_waitcnt lgkmcnt(6)
	;;#ASMSTART
	v_dot2_f32_f16 v59, v66, v70, v59
	;;#ASMEND
	;;#ASMSTART
	v_dot2_f32_f16 v59, v67, v71, v59
	;;#ASMEND
	;;#ASMSTART
	v_dot2_f32_f16 v59, v68, v72, v59
	;;#ASMEND
	;;#ASMSTART
	v_dot2_f32_f16 v59, v69, v73, v59
	;;#ASMEND
	s_waitcnt lgkmcnt(5)
	;;#ASMSTART
	v_dot2_f32_f16 v34, v66, v74, v34
	;;#ASMEND
	;;#ASMSTART
	v_dot2_f32_f16 v34, v67, v75, v34
	;;#ASMEND
	;;#ASMSTART
	v_dot2_f32_f16 v34, v68, v76, v34
	;;#ASMEND
	;;#ASMSTART
	v_dot2_f32_f16 v34, v69, v77, v34
	;;#ASMEND
	;; [unrolled: 13-line block ×5, first 2 shown]
	;;#ASMSTART
	v_dot2_f32_f16 v36, v94, v74, v36
	;;#ASMEND
	;;#ASMSTART
	v_dot2_f32_f16 v36, v95, v75, v36
	;;#ASMEND
	;; [unrolled: 3-line block ×12, first 2 shown]
	s_waitcnt lgkmcnt(1)
	;;#ASMSTART
	v_dot2_f32_f16 v63, v98, v70, v63
	;;#ASMEND
	;;#ASMSTART
	v_dot2_f32_f16 v63, v99, v71, v63
	;;#ASMEND
	;; [unrolled: 3-line block ×16, first 2 shown]
	s_waitcnt lgkmcnt(0)
	;;#ASMSTART
	v_dot2_f32_f16 v64, v102, v70, v64
	;;#ASMEND
	;;#ASMSTART
	v_dot2_f32_f16 v64, v103, v71, v64
	;;#ASMEND
	;; [unrolled: 3-line block ×7, first 2 shown]
	v_mov_b32_e32 v2, v6
	;;#ASMSTART
	v_dot2_f32_f16 v62, v105, v77, v62
	;;#ASMEND
	;;#ASMSTART
	v_dot2_f32_f16 v37, v102, v78, v37
	;;#ASMEND
	v_mov_b32_e32 v3, v7
	v_mov_b32_e32 v4, v8
	;; [unrolled: 1-line block ×3, first 2 shown]
	v_cndmask_b32_e64 v65, 0, 1, s15
	;;#ASMSTART
	v_dot2_f32_f16 v37, v103, v79, v37
	;;#ASMEND
	;;#ASMSTART
	v_dot2_f32_f16 v37, v104, v80, v37
	;;#ASMEND
	;; [unrolled: 3-line block ×7, first 2 shown]
	s_and_saveexec_b32 s16, s14
	s_cbranch_execz .LBB59_52
; %bb.49:
	s_andn2_b32 vcc_lo, exec_lo, s15
	s_cbranch_vccnz .LBB59_51
; %bb.50:
	v_add_nc_u32_e32 v2, v10, v0
	v_ashrrev_i32_e32 v3, 31, v2
	v_lshlrev_b64 v[2:3], 1, v[2:3]
	v_add_co_u32 v2, vcc_lo, s46, v2
	v_add_co_ci_u32_e64 v3, null, s47, v3, vcc_lo
	global_load_ushort v2, v[2:3], off
	s_waitcnt vmcnt(0)
	v_cvt_f32_f16_e32 v2, v2
	v_mul_f32_e32 v12, v51, v2
.LBB59_51:
	v_add_f32_e32 v59, v59, v12
	v_max_f32_e32 v3, v6, v6
	v_add_f32_e32 v2, 0x40051340, v59
	v_max_f32_e32 v11, v3, v2
	v_mov_b32_e32 v2, v6
	v_mov_b32_e32 v3, v7
	;; [unrolled: 1-line block ×5, first 2 shown]
.LBB59_52:
	s_or_b32 exec_lo, exec_lo, s16
	v_add_nc_u32_e32 v56, 32, v0
	v_cmp_gt_i32_e64 s15, s37, v56
	s_and_saveexec_b32 s16, s15
	s_cbranch_execz .LBB59_57
; %bb.53:
	v_cmp_ne_u32_e32 vcc_lo, 1, v65
	s_cbranch_vccnz .LBB59_55
; %bb.54:
	v_ashrrev_i32_e32 v12, 31, v10
	v_add_co_u32 v11, vcc_lo, v10, v0
	v_add_co_ci_u32_e64 v12, null, 0, v12, vcc_lo
	v_lshlrev_b64 v[11:12], 1, v[11:12]
	v_add_co_u32 v11, vcc_lo, s46, v11
	v_add_co_ci_u32_e64 v12, null, s47, v12, vcc_lo
	global_load_ushort v11, v[11:12], off offset:64
	s_waitcnt vmcnt(0)
	v_cvt_f32_f16_e32 v11, v11
	v_mul_f32_e32 v11, v51, v11
	s_branch .LBB59_56
.LBB59_55:
	v_mov_b32_e32 v11, 0
.LBB59_56:
	v_add_f32_e32 v61, v61, v11
	v_max_f32_e32 v2, v2, v2
	v_add_f32_e32 v11, 0x40051340, v61
	v_max_f32_e32 v2, v2, v11
.LBB59_57:
	s_or_b32 exec_lo, exec_lo, s16
	v_add_nc_u32_e32 v57, 64, v0
	v_cmp_gt_i32_e64 s16, s37, v57
	s_and_saveexec_b32 s17, s16
	s_cbranch_execz .LBB59_62
; %bb.58:
	v_cmp_ne_u32_e32 vcc_lo, 1, v65
	s_cbranch_vccnz .LBB59_60
; %bb.59:
	v_ashrrev_i32_e32 v12, 31, v10
	v_add_co_u32 v11, vcc_lo, v10, v0
	v_add_co_ci_u32_e64 v12, null, 0, v12, vcc_lo
	v_lshlrev_b64 v[11:12], 1, v[11:12]
	v_add_co_u32 v11, vcc_lo, s46, v11
	v_add_co_ci_u32_e64 v12, null, s47, v12, vcc_lo
	global_load_ushort v11, v[11:12], off offset:128
	s_waitcnt vmcnt(0)
	v_cvt_f32_f16_e32 v11, v11
	v_mul_f32_e32 v11, v51, v11
	s_branch .LBB59_61
.LBB59_60:
	v_mov_b32_e32 v11, 0
.LBB59_61:
	v_add_f32_e32 v63, v63, v11
	v_max_f32_e32 v2, v2, v2
	v_add_f32_e32 v11, 0x40051340, v63
	v_max_f32_e32 v2, v2, v11
.LBB59_62:
	;; [unrolled: 28-line block ×3, first 2 shown]
	s_or_b32 exec_lo, exec_lo, s38
	v_xor_b32_e32 v18, 16, v46
	v_xor_b32_e32 v15, 8, v46
	;; [unrolled: 1-line block ×5, first 2 shown]
	v_cmp_gt_i32_e32 vcc_lo, 32, v18
	v_mul_hi_u32 v17, s28, v54
	v_cndmask_b32_e32 v10, v46, v18, vcc_lo
	v_cmp_gt_i32_e32 vcc_lo, 32, v15
	v_lshlrev_b32_e32 v66, 2, v10
	v_cndmask_b32_e32 v11, v46, v15, vcc_lo
	v_cmp_gt_i32_e32 vcc_lo, 32, v14
	ds_bpermute_b32 v10, v66, v2
	v_max_f32_e32 v2, v2, v2
	v_lshlrev_b32_e32 v67, 2, v11
	v_cndmask_b32_e32 v11, v46, v14, vcc_lo
	v_cmp_gt_i32_e32 vcc_lo, 32, v13
	v_lshlrev_b32_e32 v68, 2, v11
	v_cndmask_b32_e32 v11, v46, v13, vcc_lo
	v_cmp_gt_i32_e32 vcc_lo, 32, v12
	v_lshlrev_b32_e32 v69, 2, v11
	v_cndmask_b32_e32 v11, v46, v12, vcc_lo
	v_lshlrev_b32_e32 v70, 2, v11
	s_waitcnt lgkmcnt(0)
	v_max_f32_e32 v10, v10, v10
	v_max_f32_e32 v2, v2, v10
	ds_bpermute_b32 v10, v67, v2
	s_waitcnt lgkmcnt(0)
	v_max_f32_e32 v10, v10, v10
	v_max_f32_e32 v2, v2, v10
	ds_bpermute_b32 v10, v68, v2
	;; [unrolled: 4-line block ×3, first 2 shown]
	s_waitcnt lgkmcnt(0)
	v_max_f32_e32 v10, v10, v10
	v_max_f32_e32 v2, v2, v10
	v_add_nc_u32_e32 v10, v54, v17
	v_mov_b32_e32 v17, 32
	ds_bpermute_b32 v11, v70, v2
	v_lshrrev_b32_e32 v10, s29, v10
	v_mul_lo_u32 v10, v10, s30
	v_sub_nc_u32_e32 v10, v54, v10
	s_waitcnt lgkmcnt(0)
	v_max_f32_e32 v54, v11, v11
	v_mad_u64_u32 v[10:11], null, v10, s36, s[18:19]
	v_max_f32_e32 v2, v2, v54
	s_and_saveexec_b32 s38, s14
	s_cbranch_execnz .LBB59_71
; %bb.68:
	s_or_b32 exec_lo, exec_lo, s38
	s_and_saveexec_b32 s38, s15
	s_cbranch_execnz .LBB59_75
.LBB59_69:
	s_or_b32 exec_lo, exec_lo, s38
	s_and_saveexec_b32 s38, s16
	s_cbranch_execnz .LBB59_79
.LBB59_70:
	s_or_b32 exec_lo, exec_lo, s38
	s_and_saveexec_b32 s38, s17
	s_cbranch_execnz .LBB59_83
	s_branch .LBB59_87
.LBB59_71:
	v_cmp_ne_u32_e32 vcc_lo, 1, v65
	s_cbranch_vccnz .LBB59_73
; %bb.72:
	v_add_nc_u32_e32 v71, v10, v0
	v_ashrrev_i32_e32 v72, 31, v71
	v_lshlrev_b64 v[71:72], 1, v[71:72]
	v_add_co_u32 v71, vcc_lo, s46, v71
	v_add_co_ci_u32_e64 v72, null, s47, v72, vcc_lo
	global_load_ushort v11, v[71:72], off
	s_waitcnt vmcnt(0)
	v_cvt_f32_f16_e32 v11, v11
	v_mul_f32_e32 v11, v51, v11
	s_branch .LBB59_74
.LBB59_73:
	v_mov_b32_e32 v11, 0
.LBB59_74:
	v_add_f32_e32 v34, v34, v11
	v_max_f32_e32 v3, v3, v3
	v_add_f32_e32 v11, 0x40051340, v34
	v_max_f32_e32 v3, v3, v11
	s_or_b32 exec_lo, exec_lo, s38
	s_and_saveexec_b32 s38, s15
	s_cbranch_execz .LBB59_69
.LBB59_75:
	v_cmp_ne_u32_e32 vcc_lo, 1, v65
	s_cbranch_vccnz .LBB59_77
; %bb.76:
	v_ashrrev_i32_e32 v11, 31, v10
	v_add_co_u32 v71, vcc_lo, v10, v0
	v_add_co_ci_u32_e64 v72, null, 0, v11, vcc_lo
	v_lshlrev_b64 v[71:72], 1, v[71:72]
	v_add_co_u32 v71, vcc_lo, s46, v71
	v_add_co_ci_u32_e64 v72, null, s47, v72, vcc_lo
	global_load_ushort v11, v[71:72], off offset:64
	s_waitcnt vmcnt(0)
	v_cvt_f32_f16_e32 v11, v11
	v_mul_f32_e32 v11, v51, v11
	s_branch .LBB59_78
.LBB59_77:
	v_mov_b32_e32 v11, 0
.LBB59_78:
	v_add_f32_e32 v36, v36, v11
	v_max_f32_e32 v3, v3, v3
	v_add_f32_e32 v11, 0x40051340, v36
	v_max_f32_e32 v3, v3, v11
	s_or_b32 exec_lo, exec_lo, s38
	s_and_saveexec_b32 s38, s16
	s_cbranch_execz .LBB59_70
.LBB59_79:
	v_cmp_ne_u32_e32 vcc_lo, 1, v65
	s_cbranch_vccnz .LBB59_81
; %bb.80:
	v_ashrrev_i32_e32 v11, 31, v10
	v_add_co_u32 v71, vcc_lo, v10, v0
	v_add_co_ci_u32_e64 v72, null, 0, v11, vcc_lo
	v_lshlrev_b64 v[71:72], 1, v[71:72]
	v_add_co_u32 v71, vcc_lo, s46, v71
	v_add_co_ci_u32_e64 v72, null, s47, v72, vcc_lo
	global_load_ushort v11, v[71:72], off offset:128
	s_waitcnt vmcnt(0)
	v_cvt_f32_f16_e32 v11, v11
	v_mul_f32_e32 v11, v51, v11
	s_branch .LBB59_82
.LBB59_81:
	v_mov_b32_e32 v11, 0
.LBB59_82:
	v_add_f32_e32 v60, v60, v11
	v_max_f32_e32 v3, v3, v3
	v_add_f32_e32 v11, 0x40051340, v60
	v_max_f32_e32 v3, v3, v11
	s_or_b32 exec_lo, exec_lo, s38
	s_and_saveexec_b32 s38, s17
	s_cbranch_execz .LBB59_87
.LBB59_83:
	v_cmp_ne_u32_e32 vcc_lo, 1, v65
	s_cbranch_vccnz .LBB59_85
; %bb.84:
	v_ashrrev_i32_e32 v11, 31, v10
	v_add_co_u32 v10, vcc_lo, v10, v0
	v_add_co_ci_u32_e64 v11, null, 0, v11, vcc_lo
	v_lshlrev_b64 v[10:11], 1, v[10:11]
	v_add_co_u32 v10, vcc_lo, s46, v10
	v_add_co_ci_u32_e64 v11, null, s47, v11, vcc_lo
	global_load_ushort v10, v[10:11], off offset:192
	s_waitcnt vmcnt(0)
	v_cvt_f32_f16_e32 v10, v10
	v_mul_f32_e32 v10, v51, v10
	s_branch .LBB59_86
.LBB59_85:
	v_mov_b32_e32 v10, 0
.LBB59_86:
	v_add_f32_e32 v62, v62, v10
	v_max_f32_e32 v3, v3, v3
	v_add_f32_e32 v10, 0x40051340, v62
	v_max_f32_e32 v3, v3, v10
.LBB59_87:
	s_or_b32 exec_lo, exec_lo, s38
	ds_bpermute_b32 v10, v66, v3
	v_max_f32_e32 v3, v3, v3
	v_mul_hi_u32 v11, s28, v53
	s_waitcnt lgkmcnt(0)
	v_max_f32_e32 v10, v10, v10
	v_max_f32_e32 v3, v3, v10
	ds_bpermute_b32 v10, v67, v3
	s_waitcnt lgkmcnt(0)
	v_max_f32_e32 v10, v10, v10
	v_max_f32_e32 v3, v3, v10
	ds_bpermute_b32 v10, v68, v3
	s_waitcnt lgkmcnt(0)
	v_max_f32_e32 v10, v10, v10
	v_max_f32_e32 v3, v3, v10
	ds_bpermute_b32 v10, v69, v3
	s_waitcnt lgkmcnt(0)
	v_max_f32_e32 v10, v10, v10
	v_max_f32_e32 v3, v3, v10
	v_add_nc_u32_e32 v10, v53, v11
	ds_bpermute_b32 v11, v70, v3
	v_lshrrev_b32_e32 v10, s29, v10
	v_mul_lo_u32 v10, v10, s30
	v_sub_nc_u32_e32 v10, v53, v10
	s_waitcnt lgkmcnt(0)
	v_max_f32_e32 v53, v11, v11
	v_mad_u64_u32 v[10:11], null, v10, s36, s[18:19]
	v_max_f32_e32 v3, v3, v53
	s_and_saveexec_b32 s38, s14
	s_cbranch_execnz .LBB59_91
; %bb.88:
	s_or_b32 exec_lo, exec_lo, s38
	s_and_saveexec_b32 s38, s15
	s_cbranch_execnz .LBB59_95
.LBB59_89:
	s_or_b32 exec_lo, exec_lo, s38
	s_and_saveexec_b32 s38, s16
	s_cbranch_execnz .LBB59_99
.LBB59_90:
	s_or_b32 exec_lo, exec_lo, s38
	s_and_saveexec_b32 s38, s17
	s_cbranch_execnz .LBB59_103
	s_branch .LBB59_107
.LBB59_91:
	v_cmp_ne_u32_e32 vcc_lo, 1, v65
	s_cbranch_vccnz .LBB59_93
; %bb.92:
	v_add_nc_u32_e32 v53, v10, v0
	v_ashrrev_i32_e32 v54, 31, v53
	v_lshlrev_b64 v[53:54], 1, v[53:54]
	v_add_co_u32 v53, vcc_lo, s46, v53
	v_add_co_ci_u32_e64 v54, null, s47, v54, vcc_lo
	global_load_ushort v11, v[53:54], off
	s_waitcnt vmcnt(0)
	v_cvt_f32_f16_e32 v11, v11
	v_mul_f32_e32 v11, v51, v11
	s_branch .LBB59_94
.LBB59_93:
	v_mov_b32_e32 v11, 0
.LBB59_94:
	v_add_f32_e32 v30, v30, v11
	v_max_f32_e32 v4, v4, v4
	v_add_f32_e32 v11, 0x40051340, v30
	v_max_f32_e32 v4, v4, v11
	s_or_b32 exec_lo, exec_lo, s38
	s_and_saveexec_b32 s38, s15
	s_cbranch_execz .LBB59_89
.LBB59_95:
	v_cmp_ne_u32_e32 vcc_lo, 1, v65
	s_cbranch_vccnz .LBB59_97
; %bb.96:
	v_ashrrev_i32_e32 v11, 31, v10
	v_add_co_u32 v53, vcc_lo, v10, v0
	v_add_co_ci_u32_e64 v54, null, 0, v11, vcc_lo
	v_lshlrev_b64 v[53:54], 1, v[53:54]
	v_add_co_u32 v53, vcc_lo, s46, v53
	v_add_co_ci_u32_e64 v54, null, s47, v54, vcc_lo
	global_load_ushort v11, v[53:54], off offset:64
	s_waitcnt vmcnt(0)
	v_cvt_f32_f16_e32 v11, v11
	v_mul_f32_e32 v11, v51, v11
	s_branch .LBB59_98
.LBB59_97:
	v_mov_b32_e32 v11, 0
.LBB59_98:
	v_add_f32_e32 v32, v32, v11
	v_max_f32_e32 v4, v4, v4
	v_add_f32_e32 v11, 0x40051340, v32
	v_max_f32_e32 v4, v4, v11
	s_or_b32 exec_lo, exec_lo, s38
	s_and_saveexec_b32 s38, s16
	s_cbranch_execz .LBB59_90
.LBB59_99:
	v_cmp_ne_u32_e32 vcc_lo, 1, v65
	s_cbranch_vccnz .LBB59_101
; %bb.100:
	v_ashrrev_i32_e32 v11, 31, v10
	v_add_co_u32 v53, vcc_lo, v10, v0
	v_add_co_ci_u32_e64 v54, null, 0, v11, vcc_lo
	v_lshlrev_b64 v[53:54], 1, v[53:54]
	v_add_co_u32 v53, vcc_lo, s46, v53
	v_add_co_ci_u32_e64 v54, null, s47, v54, vcc_lo
	global_load_ushort v11, v[53:54], off offset:128
	s_waitcnt vmcnt(0)
	v_cvt_f32_f16_e32 v11, v11
	v_mul_f32_e32 v11, v51, v11
	s_branch .LBB59_102
.LBB59_101:
	v_mov_b32_e32 v11, 0
.LBB59_102:
	v_add_f32_e32 v35, v35, v11
	v_max_f32_e32 v4, v4, v4
	v_add_f32_e32 v11, 0x40051340, v35
	v_max_f32_e32 v4, v4, v11
	s_or_b32 exec_lo, exec_lo, s38
	s_and_saveexec_b32 s38, s17
	s_cbranch_execz .LBB59_107
.LBB59_103:
	v_cmp_ne_u32_e32 vcc_lo, 1, v65
	s_cbranch_vccnz .LBB59_105
; %bb.104:
	v_ashrrev_i32_e32 v11, 31, v10
	v_add_co_u32 v10, vcc_lo, v10, v0
	v_add_co_ci_u32_e64 v11, null, 0, v11, vcc_lo
	v_lshlrev_b64 v[10:11], 1, v[10:11]
	v_add_co_u32 v10, vcc_lo, s46, v10
	v_add_co_ci_u32_e64 v11, null, s47, v11, vcc_lo
	global_load_ushort v10, v[10:11], off offset:192
	s_waitcnt vmcnt(0)
	v_cvt_f32_f16_e32 v10, v10
	v_mul_f32_e32 v10, v51, v10
	s_branch .LBB59_106
.LBB59_105:
	v_mov_b32_e32 v10, 0
.LBB59_106:
	v_add_f32_e32 v37, v37, v10
	v_max_f32_e32 v4, v4, v4
	v_add_f32_e32 v10, 0x40051340, v37
	v_max_f32_e32 v4, v4, v10
.LBB59_107:
	s_or_b32 exec_lo, exec_lo, s38
	ds_bpermute_b32 v10, v66, v4
	v_max_f32_e32 v4, v4, v4
	v_mul_hi_u32 v11, s28, v52
	s_waitcnt lgkmcnt(0)
	v_max_f32_e32 v10, v10, v10
	v_max_f32_e32 v4, v4, v10
	ds_bpermute_b32 v10, v67, v4
	s_waitcnt lgkmcnt(0)
	v_max_f32_e32 v10, v10, v10
	v_max_f32_e32 v4, v4, v10
	ds_bpermute_b32 v10, v68, v4
	s_waitcnt lgkmcnt(0)
	v_max_f32_e32 v10, v10, v10
	v_max_f32_e32 v4, v4, v10
	ds_bpermute_b32 v10, v69, v4
	s_waitcnt lgkmcnt(0)
	v_max_f32_e32 v10, v10, v10
	v_max_f32_e32 v4, v4, v10
	v_add_nc_u32_e32 v10, v52, v11
	ds_bpermute_b32 v11, v70, v4
	v_lshrrev_b32_e32 v10, s29, v10
	v_mul_lo_u32 v10, v10, s30
	v_sub_nc_u32_e32 v10, v52, v10
	s_waitcnt lgkmcnt(0)
	v_max_f32_e32 v52, v11, v11
	v_mad_u64_u32 v[10:11], null, v10, s36, s[18:19]
	v_max_f32_e32 v4, v4, v52
	s_and_saveexec_b32 s28, s14
	s_cbranch_execnz .LBB59_111
; %bb.108:
	s_or_b32 exec_lo, exec_lo, s28
	s_and_saveexec_b32 s14, s15
	s_cbranch_execnz .LBB59_115
.LBB59_109:
	s_or_b32 exec_lo, exec_lo, s14
	s_and_saveexec_b32 s14, s16
	s_cbranch_execnz .LBB59_119
.LBB59_110:
	s_or_b32 exec_lo, exec_lo, s14
	s_and_saveexec_b32 s14, s17
	s_cbranch_execnz .LBB59_123
	s_branch .LBB59_127
.LBB59_111:
	v_cmp_ne_u32_e32 vcc_lo, 1, v65
	s_cbranch_vccnz .LBB59_113
; %bb.112:
	v_add_nc_u32_e32 v52, v10, v0
	v_ashrrev_i32_e32 v53, 31, v52
	v_lshlrev_b64 v[52:53], 1, v[52:53]
	v_add_co_u32 v52, vcc_lo, s46, v52
	v_add_co_ci_u32_e64 v53, null, s47, v53, vcc_lo
	global_load_ushort v11, v[52:53], off
	s_waitcnt vmcnt(0)
	v_cvt_f32_f16_e32 v11, v11
	v_mul_f32_e32 v11, v51, v11
	s_branch .LBB59_114
.LBB59_113:
	v_mov_b32_e32 v11, 0
.LBB59_114:
	v_add_f32_e32 v28, v28, v11
	v_max_f32_e32 v5, v5, v5
	v_add_f32_e32 v11, 0x40051340, v28
	v_max_f32_e32 v5, v5, v11
	s_or_b32 exec_lo, exec_lo, s28
	s_and_saveexec_b32 s14, s15
	s_cbranch_execz .LBB59_109
.LBB59_115:
	v_cmp_ne_u32_e32 vcc_lo, 1, v65
	s_cbranch_vccnz .LBB59_117
; %bb.116:
	v_ashrrev_i32_e32 v11, 31, v10
	v_add_co_u32 v52, vcc_lo, v10, v0
	v_add_co_ci_u32_e64 v53, null, 0, v11, vcc_lo
	v_lshlrev_b64 v[52:53], 1, v[52:53]
	v_add_co_u32 v52, vcc_lo, s46, v52
	v_add_co_ci_u32_e64 v53, null, s47, v53, vcc_lo
	global_load_ushort v11, v[52:53], off offset:64
	s_waitcnt vmcnt(0)
	v_cvt_f32_f16_e32 v11, v11
	v_mul_f32_e32 v11, v51, v11
	s_branch .LBB59_118
.LBB59_117:
	v_mov_b32_e32 v11, 0
.LBB59_118:
	v_add_f32_e32 v29, v29, v11
	v_max_f32_e32 v5, v5, v5
	v_add_f32_e32 v11, 0x40051340, v29
	v_max_f32_e32 v5, v5, v11
	s_or_b32 exec_lo, exec_lo, s14
	s_and_saveexec_b32 s14, s16
	s_cbranch_execz .LBB59_110
.LBB59_119:
	v_cmp_ne_u32_e32 vcc_lo, 1, v65
	s_cbranch_vccnz .LBB59_121
; %bb.120:
	v_ashrrev_i32_e32 v11, 31, v10
	v_add_co_u32 v52, vcc_lo, v10, v0
	v_add_co_ci_u32_e64 v53, null, 0, v11, vcc_lo
	v_lshlrev_b64 v[52:53], 1, v[52:53]
	v_add_co_u32 v52, vcc_lo, s46, v52
	v_add_co_ci_u32_e64 v53, null, s47, v53, vcc_lo
	global_load_ushort v11, v[52:53], off offset:128
	s_waitcnt vmcnt(0)
	v_cvt_f32_f16_e32 v11, v11
	v_mul_f32_e32 v11, v51, v11
	s_branch .LBB59_122
.LBB59_121:
	v_mov_b32_e32 v11, 0
.LBB59_122:
	v_add_f32_e32 v31, v31, v11
	v_max_f32_e32 v5, v5, v5
	v_add_f32_e32 v11, 0x40051340, v31
	v_max_f32_e32 v5, v5, v11
	s_or_b32 exec_lo, exec_lo, s14
	s_and_saveexec_b32 s14, s17
	s_cbranch_execz .LBB59_127
.LBB59_123:
	v_cmp_ne_u32_e32 vcc_lo, 1, v65
	s_cbranch_vccnz .LBB59_125
; %bb.124:
	v_ashrrev_i32_e32 v11, 31, v10
	v_add_co_u32 v10, vcc_lo, v10, v0
	v_add_co_ci_u32_e64 v11, null, 0, v11, vcc_lo
	v_lshlrev_b64 v[10:11], 1, v[10:11]
	v_add_co_u32 v10, vcc_lo, s46, v10
	v_add_co_ci_u32_e64 v11, null, s47, v11, vcc_lo
	global_load_ushort v10, v[10:11], off offset:192
	s_waitcnt vmcnt(0)
	v_cvt_f32_f16_e32 v10, v10
	v_mul_f32_e32 v10, v51, v10
	s_branch .LBB59_126
.LBB59_125:
	v_mov_b32_e32 v10, 0
.LBB59_126:
	v_add_f32_e32 v33, v33, v10
	v_max_f32_e32 v5, v5, v5
	v_add_f32_e32 v10, 0x40051340, v33
	v_max_f32_e32 v5, v5, v10
.LBB59_127:
	s_or_b32 exec_lo, exec_lo, s14
	ds_bpermute_b32 v10, v66, v5
	v_max_f32_e32 v5, v5, v5
	v_cmp_gt_u32_e32 vcc_lo, s37, v0
	v_sub_f32_e32 v6, v6, v2
	v_sub_f32_e32 v7, v7, v3
	;; [unrolled: 1-line block ×3, first 2 shown]
	s_waitcnt lgkmcnt(0)
	s_barrier
	buffer_gl0_inv
	v_lshl_or_b32 v25, v25, 7, v19
	v_max_f32_e32 v10, v10, v10
	v_max_f32_e32 v5, v5, v10
	ds_bpermute_b32 v10, v67, v5
	s_waitcnt lgkmcnt(0)
	v_max_f32_e32 v10, v10, v10
	v_max_f32_e32 v5, v5, v10
	ds_bpermute_b32 v10, v68, v5
	s_waitcnt lgkmcnt(0)
	v_max_f32_e32 v10, v10, v10
	v_max_f32_e32 v5, v5, v10
	ds_bpermute_b32 v10, v69, v5
	s_waitcnt lgkmcnt(0)
	v_max_f32_e32 v10, v10, v10
	v_max_f32_e32 v5, v5, v10
	ds_bpermute_b32 v10, v70, v5
	s_waitcnt lgkmcnt(0)
	v_max_f32_e32 v10, v10, v10
	v_max_f32_e32 v5, v5, v10
	v_lshlrev_b32_e32 v10, 10, v1
	v_sub_f32_e32 v1, v59, v2
	v_sub_f32_e32 v29, v29, v5
	;; [unrolled: 1-line block ×3, first 2 shown]
	v_mul_f32_e32 v11, 0x3fb8aa3b, v1
	v_cmp_ngt_f32_e64 s14, 0xc2ce8ed0, v1
	v_fma_f32 v51, 0x3fb8aa3b, v1, -v11
	v_rndne_f32_e32 v52, v11
	v_fmac_f32_e32 v51, 0x32a5705f, v1
	v_sub_f32_e32 v11, v11, v52
	v_add_f32_e32 v11, v11, v51
	v_cvt_i32_f32_e32 v51, v52
	v_exp_f32_e32 v11, v11
	v_ldexp_f32 v11, v11, v51
	v_cndmask_b32_e64 v11, 0, v11, s14
	v_cmp_nlt_f32_e64 s14, 0x42b17218, v1
	v_cndmask_b32_e64 v1, 0x7f800000, v11, s14
	v_sub_f32_e32 v11, v61, v2
	v_cmp_gt_u32_e64 s14, s37, v56
	v_cndmask_b32_e32 v1, 0, v1, vcc_lo
	v_mul_f32_e32 v51, 0x3fb8aa3b, v11
	v_cmp_ngt_f32_e64 s15, 0xc2ce8ed0, v11
	v_cvt_f16_f32_e32 v52, v1
	v_fma_f32 v53, 0x3fb8aa3b, v11, -v51
	v_rndne_f32_e32 v54, v51
	v_fmac_f32_e32 v53, 0x32a5705f, v11
	v_sub_f32_e32 v51, v51, v54
	v_add_f32_e32 v51, v51, v53
	v_cvt_i32_f32_e32 v53, v54
	v_exp_f32_e32 v51, v51
	v_ldexp_f32 v51, v51, v53
	v_cndmask_b32_e64 v51, 0, v51, s15
	v_cmp_nlt_f32_e64 s15, 0x42b17218, v11
	v_cndmask_b32_e64 v11, 0x7f800000, v51, s15
	v_cmp_gt_u32_e64 s15, s37, v57
	v_cndmask_b32_e64 v11, 0, v11, s14
	v_add_f32_e32 v1, v1, v11
	v_cvt_f16_f32_e32 v53, v11
	v_sub_f32_e32 v11, v63, v2
	v_mul_f32_e32 v51, 0x3fb8aa3b, v11
	v_cmp_ngt_f32_e64 s16, 0xc2ce8ed0, v11
	v_fma_f32 v54, 0x3fb8aa3b, v11, -v51
	v_rndne_f32_e32 v59, v51
	v_fmac_f32_e32 v54, 0x32a5705f, v11
	v_sub_f32_e32 v51, v51, v59
	v_add_f32_e32 v51, v51, v54
	v_cvt_i32_f32_e32 v54, v59
	v_exp_f32_e32 v51, v51
	v_ldexp_f32 v51, v51, v54
	v_cndmask_b32_e64 v51, 0, v51, s16
	v_cmp_nlt_f32_e64 s16, 0x42b17218, v11
	v_cndmask_b32_e64 v11, 0x7f800000, v51, s16
	v_cmp_gt_u32_e64 s16, s37, v58
	v_cndmask_b32_e64 v11, 0, v11, s15
	v_add_f32_e32 v1, v11, v1
	v_cvt_f16_f32_e32 v54, v11
	v_sub_f32_e32 v11, v64, v2
	v_mul_f32_e32 v51, 0x3fb8aa3b, v11
	v_cmp_ngt_f32_e64 s17, 0xc2ce8ed0, v11
	v_fma_f32 v59, 0x3fb8aa3b, v11, -v51
	v_rndne_f32_e32 v61, v51
	v_fmac_f32_e32 v59, 0x32a5705f, v11
	v_sub_f32_e32 v51, v51, v61
	v_add_f32_e32 v51, v51, v59
	v_cvt_i32_f32_e32 v59, v61
	v_exp_f32_e32 v51, v51
	v_ldexp_f32 v51, v51, v59
	v_cndmask_b32_e64 v51, 0, v51, s17
	v_cmp_nlt_f32_e64 s17, 0x42b17218, v11
	v_cndmask_b32_e64 v11, 0x7f800000, v51, s17
	v_cmp_ngt_f32_e64 s17, 0xc2ce8ed0, v6
	v_cndmask_b32_e64 v11, 0, v11, s16
	v_add_f32_e32 v1, v11, v1
	v_cvt_f16_f32_e32 v59, v11
	v_mul_f32_e32 v11, 0x3fb8aa3b, v6
	v_fma_f32 v51, 0x3fb8aa3b, v6, -v11
	v_rndne_f32_e32 v61, v11
	v_fmac_f32_e32 v51, 0x32a5705f, v6
	v_sub_f32_e32 v11, v11, v61
	v_add_f32_e32 v11, v11, v51
	v_cvt_i32_f32_e32 v51, v61
	v_exp_f32_e32 v11, v11
	v_ldexp_f32 v11, v11, v51
	v_cndmask_b32_e64 v11, 0, v11, s17
	v_cmp_nlt_f32_e64 s17, 0x42b17218, v6
	v_cndmask_b32_e64 v6, 0x7f800000, v11, s17
	v_mov_b32_e32 v11, 0x10001
	v_fmac_f32_e32 v1, v88, v6
	v_cvt_f16_f32_e32 v6, v6
	v_mov_b32_e32 v88, v1
	v_mul_u32_u24_sdwa v51, v6, v11 dst_sel:DWORD dst_unused:UNUSED_PAD src0_sel:WORD_0 src1_sel:DWORD
	v_sub_f32_e32 v6, v34, v3
	v_mul_f32_e32 v34, 0x3fb8aa3b, v6
	v_cmp_ngt_f32_e64 s17, 0xc2ce8ed0, v6
	v_fma_f32 v61, 0x3fb8aa3b, v6, -v34
	v_rndne_f32_e32 v63, v34
	v_fmac_f32_e32 v61, 0x32a5705f, v6
	v_sub_f32_e32 v34, v34, v63
	v_add_f32_e32 v34, v34, v61
	v_cvt_i32_f32_e32 v61, v63
	v_exp_f32_e32 v34, v34
	v_ldexp_f32 v34, v34, v61
	v_cndmask_b32_e64 v34, 0, v34, s17
	v_cmp_nlt_f32_e64 s17, 0x42b17218, v6
	v_cndmask_b32_e64 v6, 0x7f800000, v34, s17
	v_sub_f32_e32 v34, v36, v3
	v_cndmask_b32_e32 v6, 0, v6, vcc_lo
	v_mul_f32_e32 v36, 0x3fb8aa3b, v34
	v_cmp_ngt_f32_e64 s17, 0xc2ce8ed0, v34
	v_cvt_f16_f32_e32 v61, v6
	v_fma_f32 v63, 0x3fb8aa3b, v34, -v36
	v_rndne_f32_e32 v64, v36
	v_fmac_f32_e32 v63, 0x32a5705f, v34
	v_sub_f32_e32 v36, v36, v64
	v_add_f32_e32 v36, v36, v63
	v_cvt_i32_f32_e32 v63, v64
	v_exp_f32_e32 v36, v36
	v_ldexp_f32 v36, v36, v63
	v_cndmask_b32_e64 v36, 0, v36, s17
	v_cmp_nlt_f32_e64 s17, 0x42b17218, v34
	v_cndmask_b32_e64 v34, 0x7f800000, v36, s17
	v_cndmask_b32_e64 v34, 0, v34, s14
	v_add_f32_e32 v6, v6, v34
	v_cvt_f16_f32_e32 v36, v34
	v_sub_f32_e32 v34, v60, v3
	v_mul_f32_e32 v60, 0x3fb8aa3b, v34
	v_cmp_ngt_f32_e64 s17, 0xc2ce8ed0, v34
	v_fma_f32 v63, 0x3fb8aa3b, v34, -v60
	v_rndne_f32_e32 v64, v60
	v_fmac_f32_e32 v63, 0x32a5705f, v34
	v_sub_f32_e32 v60, v60, v64
	v_add_f32_e32 v60, v60, v63
	v_cvt_i32_f32_e32 v63, v64
	v_exp_f32_e32 v60, v60
	v_ldexp_f32 v60, v60, v63
	v_cndmask_b32_e64 v60, 0, v60, s17
	v_cmp_nlt_f32_e64 s17, 0x42b17218, v34
	v_cndmask_b32_e64 v34, 0x7f800000, v60, s17
	v_cndmask_b32_e64 v34, 0, v34, s15
	v_add_f32_e32 v6, v34, v6
	v_cvt_f16_f32_e32 v60, v34
	v_sub_f32_e32 v34, v62, v3
	v_mul_f32_e32 v62, 0x3fb8aa3b, v34
	v_cmp_ngt_f32_e64 s17, 0xc2ce8ed0, v34
	v_fma_f32 v63, 0x3fb8aa3b, v34, -v62
	v_rndne_f32_e32 v64, v62
	v_fmac_f32_e32 v63, 0x32a5705f, v34
	v_sub_f32_e32 v62, v62, v64
	v_add_f32_e32 v62, v62, v63
	v_cvt_i32_f32_e32 v63, v64
	v_exp_f32_e32 v62, v62
	v_ldexp_f32 v62, v62, v63
	v_cndmask_b32_e64 v62, 0, v62, s17
	v_cmp_nlt_f32_e64 s17, 0x42b17218, v34
	v_cndmask_b32_e64 v34, 0x7f800000, v62, s17
	v_cmp_ngt_f32_e64 s17, 0xc2ce8ed0, v7
	v_cndmask_b32_e64 v34, 0, v34, s16
	v_add_f32_e32 v6, v34, v6
	v_cvt_f16_f32_e32 v62, v34
	v_mul_f32_e32 v34, 0x3fb8aa3b, v7
	v_fma_f32 v63, 0x3fb8aa3b, v7, -v34
	v_rndne_f32_e32 v64, v34
	v_fmac_f32_e32 v63, 0x32a5705f, v7
	v_sub_f32_e32 v34, v34, v64
	v_add_f32_e32 v34, v34, v63
	v_cvt_i32_f32_e32 v63, v64
	v_exp_f32_e32 v34, v34
	v_ldexp_f32 v34, v34, v63
	v_cndmask_b32_e64 v34, 0, v34, s17
	v_cmp_nlt_f32_e64 s17, 0x42b17218, v7
	v_cndmask_b32_e64 v7, 0x7f800000, v34, s17
	v_fmac_f32_e32 v6, v90, v7
	v_cvt_f16_f32_e32 v7, v7
	v_mov_b32_e32 v90, v6
	v_mul_u32_u24_sdwa v34, v7, v11 dst_sel:DWORD dst_unused:UNUSED_PAD src0_sel:WORD_0 src1_sel:DWORD
	v_sub_f32_e32 v7, v30, v4
	v_mul_f32_e32 v30, 0x3fb8aa3b, v7
	v_cmp_ngt_f32_e64 s17, 0xc2ce8ed0, v7
	v_fma_f32 v63, 0x3fb8aa3b, v7, -v30
	v_rndne_f32_e32 v64, v30
	v_fmac_f32_e32 v63, 0x32a5705f, v7
	v_sub_f32_e32 v30, v30, v64
	v_add_f32_e32 v30, v30, v63
	v_cvt_i32_f32_e32 v63, v64
	v_exp_f32_e32 v30, v30
	v_ldexp_f32 v30, v30, v63
	v_cndmask_b32_e64 v30, 0, v30, s17
	v_cmp_nlt_f32_e64 s17, 0x42b17218, v7
	v_cndmask_b32_e64 v7, 0x7f800000, v30, s17
	v_sub_f32_e32 v30, v32, v4
	v_cndmask_b32_e32 v7, 0, v7, vcc_lo
	v_mul_f32_e32 v32, 0x3fb8aa3b, v30
	v_cmp_ngt_f32_e64 s17, 0xc2ce8ed0, v30
	v_cvt_f16_f32_e32 v63, v7
	v_fma_f32 v64, 0x3fb8aa3b, v30, -v32
	v_rndne_f32_e32 v65, v32
	v_fmac_f32_e32 v64, 0x32a5705f, v30
	v_sub_f32_e32 v32, v32, v65
	v_add_f32_e32 v32, v32, v64
	v_cvt_i32_f32_e32 v64, v65
	v_exp_f32_e32 v32, v32
	v_ldexp_f32 v32, v32, v64
	v_cndmask_b32_e64 v32, 0, v32, s17
	v_cmp_nlt_f32_e64 s17, 0x42b17218, v30
	v_cndmask_b32_e64 v30, 0x7f800000, v32, s17
	v_cndmask_b32_e64 v30, 0, v30, s14
	v_add_f32_e32 v7, v7, v30
	v_cvt_f16_f32_e32 v32, v30
	v_sub_f32_e32 v30, v35, v4
	v_mul_f32_e32 v35, 0x3fb8aa3b, v30
	v_cmp_ngt_f32_e64 s17, 0xc2ce8ed0, v30
	v_fma_f32 v64, 0x3fb8aa3b, v30, -v35
	v_rndne_f32_e32 v65, v35
	v_fmac_f32_e32 v64, 0x32a5705f, v30
	v_sub_f32_e32 v35, v35, v65
	v_add_f32_e32 v35, v35, v64
	v_cvt_i32_f32_e32 v64, v65
	v_exp_f32_e32 v35, v35
	v_ldexp_f32 v35, v35, v64
	v_cndmask_b32_e64 v35, 0, v35, s17
	v_cmp_nlt_f32_e64 s17, 0x42b17218, v30
	v_cndmask_b32_e64 v30, 0x7f800000, v35, s17
	v_cndmask_b32_e64 v30, 0, v30, s15
	v_add_f32_e32 v7, v30, v7
	v_cvt_f16_f32_e32 v35, v30
	v_sub_f32_e32 v30, v37, v4
	v_mul_f32_e32 v37, 0x3fb8aa3b, v30
	v_cmp_ngt_f32_e64 s17, 0xc2ce8ed0, v30
	v_fma_f32 v64, 0x3fb8aa3b, v30, -v37
	v_rndne_f32_e32 v65, v37
	v_fmac_f32_e32 v64, 0x32a5705f, v30
	v_sub_f32_e32 v37, v37, v65
	v_add_f32_e32 v37, v37, v64
	v_cvt_i32_f32_e32 v64, v65
	v_exp_f32_e32 v37, v37
	v_ldexp_f32 v37, v37, v64
	v_cndmask_b32_e64 v37, 0, v37, s17
	v_cmp_nlt_f32_e64 s17, 0x42b17218, v30
	v_cndmask_b32_e64 v30, 0x7f800000, v37, s17
	v_cmp_ngt_f32_e64 s17, 0xc2ce8ed0, v8
	v_cndmask_b32_e64 v30, 0, v30, s16
	v_add_f32_e32 v7, v30, v7
	v_cvt_f16_f32_e32 v37, v30
	v_mul_f32_e32 v30, 0x3fb8aa3b, v8
	v_fma_f32 v64, 0x3fb8aa3b, v8, -v30
	v_rndne_f32_e32 v65, v30
	v_fmac_f32_e32 v64, 0x32a5705f, v8
	v_sub_f32_e32 v30, v30, v65
	v_add_f32_e32 v30, v30, v64
	v_cvt_i32_f32_e32 v64, v65
	v_exp_f32_e32 v30, v30
	v_ldexp_f32 v30, v30, v64
	v_cndmask_b32_e64 v30, 0, v30, s17
	v_cmp_nlt_f32_e64 s17, 0x42b17218, v8
	v_cndmask_b32_e64 v8, 0x7f800000, v30, s17
	v_fmac_f32_e32 v7, v93, v8
	v_cvt_f16_f32_e32 v8, v8
	v_mov_b32_e32 v93, v7
	v_mul_u32_u24_sdwa v30, v8, v11 dst_sel:DWORD dst_unused:UNUSED_PAD src0_sel:WORD_0 src1_sel:DWORD
	v_sub_f32_e32 v8, v28, v5
	v_mul_f32_e32 v28, 0x3fb8aa3b, v8
	v_cmp_ngt_f32_e64 s17, 0xc2ce8ed0, v8
	v_fma_f32 v64, 0x3fb8aa3b, v8, -v28
	v_rndne_f32_e32 v65, v28
	v_fmac_f32_e32 v64, 0x32a5705f, v8
	v_sub_f32_e32 v28, v28, v65
	v_add_f32_e32 v28, v28, v64
	v_cvt_i32_f32_e32 v64, v65
	v_exp_f32_e32 v28, v28
	v_ldexp_f32 v28, v28, v64
	v_mul_f32_e32 v64, 0x3fb8aa3b, v29
	v_cndmask_b32_e64 v28, 0, v28, s17
	v_fma_f32 v65, 0x3fb8aa3b, v29, -v64
	v_rndne_f32_e32 v66, v64
	v_cmp_nlt_f32_e64 s17, 0x42b17218, v8
	v_fmac_f32_e32 v65, 0x32a5705f, v29
	v_sub_f32_e32 v64, v64, v66
	v_cndmask_b32_e64 v8, 0x7f800000, v28, s17
	v_add_f32_e32 v64, v64, v65
	v_cvt_i32_f32_e32 v65, v66
	v_cndmask_b32_e32 v8, 0, v8, vcc_lo
	v_cmp_ngt_f32_e32 vcc_lo, 0xc2ce8ed0, v29
	v_exp_f32_e32 v64, v64
	v_cvt_f16_f32_e32 v28, v8
	v_ldexp_f32 v64, v64, v65
	v_cndmask_b32_e32 v64, 0, v64, vcc_lo
	v_cmp_nlt_f32_e32 vcc_lo, 0x42b17218, v29
	v_cndmask_b32_e32 v29, 0x7f800000, v64, vcc_lo
	v_cndmask_b32_e64 v29, 0, v29, s14
	s_mul_i32 s14, s18, s22
	v_add_f32_e32 v8, v8, v29
	v_cvt_f16_f32_e32 v64, v29
	v_sub_f32_e32 v29, v31, v5
	v_mul_f32_e32 v31, 0x3fb8aa3b, v29
	v_cmp_ngt_f32_e32 vcc_lo, 0xc2ce8ed0, v29
	v_fma_f32 v65, 0x3fb8aa3b, v29, -v31
	v_rndne_f32_e32 v66, v31
	v_fmac_f32_e32 v65, 0x32a5705f, v29
	v_sub_f32_e32 v31, v31, v66
	v_add_f32_e32 v31, v31, v65
	v_cvt_i32_f32_e32 v65, v66
	v_exp_f32_e32 v31, v31
	v_ldexp_f32 v31, v31, v65
	v_cndmask_b32_e32 v31, 0, v31, vcc_lo
	v_cmp_nlt_f32_e32 vcc_lo, 0x42b17218, v29
	v_cndmask_b32_e32 v29, 0x7f800000, v31, vcc_lo
	v_cndmask_b32_e64 v29, 0, v29, s15
	s_mul_hi_i32 s15, s18, s22
	s_lshl_b64 s[14:15], s[14:15], 2
	v_add_f32_e32 v8, v29, v8
	v_cvt_f16_f32_e32 v31, v29
	v_sub_f32_e32 v29, v33, v5
	v_mul_f32_e32 v33, 0x3fb8aa3b, v29
	v_cmp_ngt_f32_e32 vcc_lo, 0xc2ce8ed0, v29
	v_fma_f32 v65, 0x3fb8aa3b, v29, -v33
	v_rndne_f32_e32 v66, v33
	v_fmac_f32_e32 v65, 0x32a5705f, v29
	v_sub_f32_e32 v33, v33, v66
	v_add_f32_e32 v33, v33, v65
	v_cvt_i32_f32_e32 v65, v66
	v_exp_f32_e32 v33, v33
	v_ldexp_f32 v33, v33, v65
	v_cndmask_b32_e32 v33, 0, v33, vcc_lo
	v_cmp_nlt_f32_e32 vcc_lo, 0x42b17218, v29
	v_cndmask_b32_e32 v29, 0x7f800000, v33, vcc_lo
	v_cmp_ngt_f32_e32 vcc_lo, 0xc2ce8ed0, v9
	v_cndmask_b32_e64 v29, 0, v29, s16
	s_add_u32 s16, s23, s14
	s_addc_u32 s17, s35, s15
	s_mov_b64 s[14:15], src_private_base
	s_lshl_b32 s14, s22, 4
	v_add_f32_e32 v8, v29, v8
	v_cvt_f16_f32_e32 v33, v29
	v_mul_f32_e32 v29, 0x3fb8aa3b, v9
	v_fma_f32 v65, 0x3fb8aa3b, v9, -v29
	v_rndne_f32_e32 v66, v29
	v_fmac_f32_e32 v65, 0x32a5705f, v9
	v_sub_f32_e32 v29, v29, v66
	v_add_f32_e32 v29, v29, v65
	v_cvt_i32_f32_e32 v65, v66
	v_exp_f32_e32 v29, v29
	v_ldexp_f32 v29, v29, v65
	v_cndmask_b32_e32 v29, 0, v29, vcc_lo
	v_cmp_nlt_f32_e32 vcc_lo, 0x42b17218, v9
	v_cndmask_b32_e32 v9, 0x7f800000, v29, vcc_lo
	v_pack_b32_f16 v29, v63, v28
	v_pack_b32_f16 v28, v52, v61
	v_lshl_or_b32 v63, v24, 7, v19
	v_fmac_f32_e32 v8, v91, v9
	v_cvt_f16_f32_e32 v9, v9
	v_mov_b32_e32 v91, v8
	v_mul_u32_u24_sdwa v9, v9, v11 dst_sel:DWORD dst_unused:UNUSED_PAD src0_sel:WORD_0 src1_sel:DWORD
	v_pk_mul_f16 v9, v55, v9
	v_add_nc_u32_e32 v55, 0x4800, v10
	v_lshl_or_b32 v65, v0, 3, v55
	v_lshl_add_u32 v52, v56, 3, v55
	ds_write_b64 v65, v[28:29]
	v_pack_b32_f16 v29, v32, v64
	v_pack_b32_f16 v28, v53, v36
	v_lshl_add_u32 v32, v57, 3, v55
	v_lshl_or_b32 v57, v22, 7, v19
	ds_write_b64 v52, v[28:29]
	v_pack_b32_f16 v29, v35, v31
	v_pack_b32_f16 v28, v54, v60
	v_lshl_add_u32 v31, v58, 3, v55
	v_lshl_or_b32 v60, v23, 7, v19
	ds_write_b64 v32, v[28:29]
	v_pack_b32_f16 v29, v37, v33
	v_pack_b32_f16 v28, v59, v62
	v_lshl_or_b32 v37, v21, 7, v19
	ds_write_b64 v31, v[28:29]
	v_mul_lo_u32 v31, s22, v20
	v_lshl_or_b32 v28, v20, 7, v19
	v_mov_b32_e32 v20, 0
	buffer_store_dword v20, off, s[0:3], 0
	buffer_store_dword v20, off, s[0:3], 0 offset:4
	buffer_store_dword v20, off, s[0:3], 0 offset:8
	;; [unrolled: 1-line block ×3, first 2 shown]
	v_ashrrev_i32_e32 v32, 31, v31
	v_lshlrev_b64 v[32:33], 2, v[31:32]
	v_add_nc_u32_e32 v31, s14, v31
	v_add_co_u32 v29, vcc_lo, s16, v32
	v_add_co_ci_u32_e64 v32, null, s17, v33, vcc_lo
	v_add_co_u32 v35, vcc_lo, v29, v19
	v_add_co_ci_u32_e64 v36, null, 0, v32, vcc_lo
	v_ashrrev_i32_e32 v32, 31, v31
	v_lshlrev_b64 v[32:33], 2, v[31:32]
	v_add_co_u32 v21, vcc_lo, s16, v32
	v_add_co_ci_u32_e64 v29, null, s17, v33, vcc_lo
	v_add_co_u32 v33, vcc_lo, v21, v19
	v_add_nc_u32_e32 v21, s14, v31
	v_add_co_ci_u32_e64 v56, null, 0, v29, vcc_lo
	v_ashrrev_i32_e32 v22, 31, v21
	v_lshlrev_b64 v[31:32], 2, v[21:22]
	v_add_nc_u32_e32 v21, s14, v21
	v_add_co_u32 v22, vcc_lo, s16, v31
	v_add_co_ci_u32_e64 v29, null, s17, v32, vcc_lo
	v_add_co_u32 v58, vcc_lo, v22, v19
	v_ashrrev_i32_e32 v22, 31, v21
	v_add_co_ci_u32_e64 v59, null, 0, v29, vcc_lo
	v_lshlrev_b64 v[22:23], 2, v[21:22]
	v_add_nc_u32_e32 v21, s14, v21
	v_add_co_u32 v22, vcc_lo, s16, v22
	v_add_co_ci_u32_e64 v23, null, s17, v23, vcc_lo
	v_add_co_u32 v61, vcc_lo, v22, v19
	v_ashrrev_i32_e32 v22, 31, v21
	v_add_co_ci_u32_e64 v62, null, 0, v23, vcc_lo
	;; [unrolled: 7-line block ×3, first 2 shown]
	v_lshlrev_b64 v[22:23], 2, v[21:22]
	v_add_co_u32 v22, vcc_lo, s16, v22
	v_add_co_ci_u32_e64 v23, null, s17, v23, vcc_lo
	v_add_co_u32 v29, vcc_lo, v22, v19
	v_add_co_ci_u32_e64 v66, null, 0, v23, vcc_lo
	v_add_nc_u32_e32 v23, s14, v21
	v_lshl_or_b32 v22, v26, 7, v19
	v_ashrrev_i32_e32 v24, 31, v23
	v_lshlrev_b64 v[31:32], 2, v[23:24]
	v_add_co_u32 v21, vcc_lo, s16, v31
	v_add_nc_u32_e32 v31, s14, v23
	v_add_co_ci_u32_e64 v26, null, s17, v32, vcc_lo
	v_add_co_u32 v24, vcc_lo, v21, v19
	v_ashrrev_i32_e32 v32, 31, v31
	v_add_co_ci_u32_e64 v26, null, 0, v26, vcc_lo
	v_cndmask_b32_e64 v24, 0, v24, s7
	v_lshlrev_b64 v[31:32], 2, v[31:32]
	v_add_co_u32 v21, vcc_lo, s16, v31
	v_add_co_ci_u32_e64 v23, null, s17, v32, vcc_lo
	v_cndmask_b32_e64 v32, s15, v36, s13
	v_cndmask_b32_e64 v31, 0, v35, s13
	v_add_co_u32 v21, vcc_lo, v21, v19
	v_lshl_or_b32 v19, v27, 7, v19
	v_cndmask_b32_e64 v27, 0, v33, s12
	flat_load_dwordx4 v[52:55], v[31:32]
	v_add_co_ci_u32_e64 v23, null, 0, v23, vcc_lo
	v_cndmask_b32_e64 v21, 0, v21, s6
	s_waitcnt vmcnt(0) lgkmcnt(0)
	ds_write_b128 v28, v[52:55]
	v_cndmask_b32_e64 v28, s15, v56, s12
	buffer_store_dword v20, off, s[0:3], 0
	buffer_store_dword v20, off, s[0:3], 0 offset:4
	buffer_store_dword v20, off, s[0:3], 0 offset:8
	buffer_store_dword v20, off, s[0:3], 0 offset:12
	flat_load_dwordx4 v[52:55], v[27:28]
	v_cndmask_b32_e64 v28, s15, v59, s11
	v_cndmask_b32_e64 v27, 0, v58, s11
	s_waitcnt vmcnt(0) lgkmcnt(0)
	ds_write_b128 v37, v[52:55]
	buffer_store_dword v20, off, s[0:3], 0
	buffer_store_dword v20, off, s[0:3], 0 offset:4
	buffer_store_dword v20, off, s[0:3], 0 offset:8
	buffer_store_dword v20, off, s[0:3], 0 offset:12
	flat_load_dwordx4 v[52:55], v[27:28]
	v_cndmask_b32_e64 v28, s15, v62, s10
	v_cndmask_b32_e64 v27, 0, v61, s10
	s_waitcnt vmcnt(0) lgkmcnt(0)
	ds_write_b128 v57, v[52:55]
	;; [unrolled: 9-line block ×4, first 2 shown]
	buffer_store_dword v20, off, s[0:3], 0
	buffer_store_dword v20, off, s[0:3], 0 offset:4
	buffer_store_dword v20, off, s[0:3], 0 offset:8
	;; [unrolled: 1-line block ×3, first 2 shown]
	flat_load_dwordx4 v[52:55], v[27:28]
	s_waitcnt vmcnt(0) lgkmcnt(0)
	ds_write_b128 v25, v[52:55]
	v_cndmask_b32_e64 v25, s15, v26, s7
	buffer_store_dword v20, off, s[0:3], 0
	buffer_store_dword v20, off, s[0:3], 0 offset:4
	buffer_store_dword v20, off, s[0:3], 0 offset:8
	;; [unrolled: 1-line block ×3, first 2 shown]
	flat_load_dwordx4 v[24:27], v[24:25]
	s_waitcnt vmcnt(0) lgkmcnt(0)
	ds_write_b128 v22, v[24:27]
	v_cndmask_b32_e64 v22, s15, v23, s6
	buffer_store_dword v20, off, s[0:3], 0
	buffer_store_dword v20, off, s[0:3], 0 offset:4
	buffer_store_dword v20, off, s[0:3], 0 offset:8
	;; [unrolled: 1-line block ×3, first 2 shown]
	flat_load_dwordx4 v[20:23], v[21:22]
	s_waitcnt vmcnt(0) lgkmcnt(0)
	ds_write_b128 v19, v[20:23]
	s_waitcnt lgkmcnt(0)
	s_waitcnt_vscnt null, 0x0
	s_barrier
	buffer_gl0_inv
	ds_read2_b32 v[27:28], v47 offset1:32
	ds_read_b128 v[19:22], v10 offset:18432
	ds_read_b128 v[23:26], v10 offset:18448
	;; [unrolled: 1-line block ×4, first 2 shown]
	s_waitcnt lgkmcnt(3)
	v_mul_u32_u24_sdwa v29, v19, v11 dst_sel:DWORD dst_unused:UNUSED_PAD src0_sel:WORD_0 src1_sel:DWORD
	v_mul_u32_u24_sdwa v19, v19, v11 dst_sel:DWORD dst_unused:UNUSED_PAD src0_sel:WORD_1 src1_sel:DWORD
	v_mul_u32_u24_sdwa v31, v20, v11 dst_sel:DWORD dst_unused:UNUSED_PAD src0_sel:WORD_0 src1_sel:DWORD
	v_mul_u32_u24_sdwa v20, v20, v11 dst_sel:DWORD dst_unused:UNUSED_PAD src0_sel:WORD_1 src1_sel:DWORD
	v_pk_mul_f16 v29, v27, v29
	v_pk_mul_f16 v19, v27, v19
	v_pk_mul_f16 v31, v27, v31
	v_pk_fma_f16 v9, v27, v20, v9
	v_mul_u32_u24_sdwa v20, v21, v11 dst_sel:DWORD dst_unused:UNUSED_PAD src0_sel:WORD_0 src1_sel:DWORD
	v_pk_fma_f16 v29, v50, v51, v29
	v_pk_fma_f16 v19, v49, v34, v19
	v_mul_u32_u24_sdwa v21, v21, v11 dst_sel:DWORD dst_unused:UNUSED_PAD src0_sel:WORD_1 src1_sel:DWORD
	v_pk_fma_f16 v30, v48, v30, v31
	v_mul_u32_u24_sdwa v27, v22, v11 dst_sel:DWORD dst_unused:UNUSED_PAD src0_sel:WORD_0 src1_sel:DWORD
	v_pk_fma_f16 v29, v28, v20, v29
	v_mul_u32_u24_sdwa v22, v22, v11 dst_sel:DWORD dst_unused:UNUSED_PAD src0_sel:WORD_1 src1_sel:DWORD
	v_pk_fma_f16 v21, v28, v21, v19
	ds_read2_b32 v[19:20], v47 offset0:64 offset1:96
	v_pk_fma_f16 v27, v28, v27, v30
	v_pk_fma_f16 v9, v28, v22, v9
	s_waitcnt lgkmcnt(3)
	v_mul_u32_u24_sdwa v22, v23, v11 dst_sel:DWORD dst_unused:UNUSED_PAD src0_sel:WORD_0 src1_sel:DWORD
	v_mul_u32_u24_sdwa v23, v23, v11 dst_sel:DWORD dst_unused:UNUSED_PAD src0_sel:WORD_1 src1_sel:DWORD
	v_mul_u32_u24_sdwa v28, v24, v11 dst_sel:DWORD dst_unused:UNUSED_PAD src0_sel:WORD_0 src1_sel:DWORD
	v_mul_u32_u24_sdwa v24, v24, v11 dst_sel:DWORD dst_unused:UNUSED_PAD src0_sel:WORD_1 src1_sel:DWORD
	s_waitcnt lgkmcnt(0)
	v_pk_fma_f16 v22, v19, v22, v29
	v_pk_fma_f16 v21, v19, v23, v21
	;; [unrolled: 1-line block ×4, first 2 shown]
	v_mul_u32_u24_sdwa v19, v25, v11 dst_sel:DWORD dst_unused:UNUSED_PAD src0_sel:WORD_0 src1_sel:DWORD
	v_mul_u32_u24_sdwa v24, v25, v11 dst_sel:DWORD dst_unused:UNUSED_PAD src0_sel:WORD_1 src1_sel:DWORD
	v_mul_u32_u24_sdwa v25, v26, v11 dst_sel:DWORD dst_unused:UNUSED_PAD src0_sel:WORD_0 src1_sel:DWORD
	v_mul_u32_u24_sdwa v26, v26, v11 dst_sel:DWORD dst_unused:UNUSED_PAD src0_sel:WORD_1 src1_sel:DWORD
	v_mul_u32_u24_sdwa v27, v53, v11 dst_sel:DWORD dst_unused:UNUSED_PAD src0_sel:WORD_1 src1_sel:DWORD
	v_pk_fma_f16 v22, v20, v19, v22
	v_pk_fma_f16 v21, v20, v24, v21
	v_pk_fma_f16 v23, v20, v25, v23
	v_pk_fma_f16 v9, v20, v26, v9
	ds_read2_b32 v[19:20], v47 offset0:128 offset1:160
	v_mul_u32_u24_sdwa v24, v52, v11 dst_sel:DWORD dst_unused:UNUSED_PAD src0_sel:WORD_0 src1_sel:DWORD
	v_mul_u32_u24_sdwa v25, v52, v11 dst_sel:DWORD dst_unused:UNUSED_PAD src0_sel:WORD_1 src1_sel:DWORD
	v_mul_u32_u24_sdwa v26, v53, v11 dst_sel:DWORD dst_unused:UNUSED_PAD src0_sel:WORD_0 src1_sel:DWORD
	s_waitcnt lgkmcnt(0)
	v_pk_fma_f16 v22, v19, v24, v22
	v_pk_fma_f16 v21, v19, v25, v21
	;; [unrolled: 1-line block ×4, first 2 shown]
	v_mul_u32_u24_sdwa v19, v54, v11 dst_sel:DWORD dst_unused:UNUSED_PAD src0_sel:WORD_0 src1_sel:DWORD
	v_mul_u32_u24_sdwa v24, v54, v11 dst_sel:DWORD dst_unused:UNUSED_PAD src0_sel:WORD_1 src1_sel:DWORD
	v_mul_u32_u24_sdwa v25, v55, v11 dst_sel:DWORD dst_unused:UNUSED_PAD src0_sel:WORD_0 src1_sel:DWORD
	v_mul_u32_u24_sdwa v26, v55, v11 dst_sel:DWORD dst_unused:UNUSED_PAD src0_sel:WORD_1 src1_sel:DWORD
	v_mul_u32_u24_sdwa v27, v57, v11 dst_sel:DWORD dst_unused:UNUSED_PAD src0_sel:WORD_1 src1_sel:DWORD
	v_pk_fma_f16 v22, v20, v19, v22
	v_pk_fma_f16 v21, v20, v24, v21
	;; [unrolled: 1-line block ×4, first 2 shown]
	ds_read2_b32 v[19:20], v47 offset0:192 offset1:224
	v_mul_u32_u24_sdwa v26, v57, v11 dst_sel:DWORD dst_unused:UNUSED_PAD src0_sel:WORD_0 src1_sel:DWORD
	v_mul_u32_u24_sdwa v24, v56, v11 dst_sel:DWORD dst_unused:UNUSED_PAD src0_sel:WORD_0 src1_sel:DWORD
	v_mul_u32_u24_sdwa v25, v56, v11 dst_sel:DWORD dst_unused:UNUSED_PAD src0_sel:WORD_1 src1_sel:DWORD
	s_waitcnt lgkmcnt(0)
	v_pk_fma_f16 v23, v19, v26, v23
	v_pk_fma_f16 v9, v19, v27, v9
	v_mul_u32_u24_sdwa v26, v59, v11 dst_sel:DWORD dst_unused:UNUSED_PAD src0_sel:WORD_1 src1_sel:DWORD
	v_pk_fma_f16 v22, v19, v24, v22
	v_pk_fma_f16 v21, v19, v25, v21
	v_mul_u32_u24_sdwa v19, v58, v11 dst_sel:DWORD dst_unused:UNUSED_PAD src0_sel:WORD_0 src1_sel:DWORD
	v_mul_u32_u24_sdwa v24, v58, v11 dst_sel:DWORD dst_unused:UNUSED_PAD src0_sel:WORD_1 src1_sel:DWORD
	v_mul_u32_u24_sdwa v25, v59, v11 dst_sel:DWORD dst_unused:UNUSED_PAD src0_sel:WORD_0 src1_sel:DWORD
	v_pk_fma_f16 v9, v20, v26, v9
	v_add_nc_u32_e32 v26, 0x400, v47
	v_pk_fma_f16 v27, v20, v19, v22
	v_pk_fma_f16 v28, v20, v24, v21
	;; [unrolled: 1-line block ×3, first 2 shown]
	ds_read2_b32 v[23:24], v26 offset1:32
	ds_read_b128 v[19:22], v10 offset:18496
	s_waitcnt lgkmcnt(0)
	v_mul_u32_u24_sdwa v29, v19, v11 dst_sel:DWORD dst_unused:UNUSED_PAD src0_sel:WORD_0 src1_sel:DWORD
	v_mul_u32_u24_sdwa v19, v19, v11 dst_sel:DWORD dst_unused:UNUSED_PAD src0_sel:WORD_1 src1_sel:DWORD
	v_mul_u32_u24_sdwa v30, v20, v11 dst_sel:DWORD dst_unused:UNUSED_PAD src0_sel:WORD_0 src1_sel:DWORD
	v_mul_u32_u24_sdwa v20, v20, v11 dst_sel:DWORD dst_unused:UNUSED_PAD src0_sel:WORD_1 src1_sel:DWORD
	v_pk_fma_f16 v27, v23, v29, v27
	v_pk_fma_f16 v19, v23, v19, v28
	v_pk_fma_f16 v25, v23, v30, v25
	v_pk_fma_f16 v9, v23, v20, v9
	v_mul_u32_u24_sdwa v20, v21, v11 dst_sel:DWORD dst_unused:UNUSED_PAD src0_sel:WORD_0 src1_sel:DWORD
	v_mul_u32_u24_sdwa v21, v21, v11 dst_sel:DWORD dst_unused:UNUSED_PAD src0_sel:WORD_1 src1_sel:DWORD
	v_mul_u32_u24_sdwa v23, v22, v11 dst_sel:DWORD dst_unused:UNUSED_PAD src0_sel:WORD_0 src1_sel:DWORD
	v_mul_u32_u24_sdwa v22, v22, v11 dst_sel:DWORD dst_unused:UNUSED_PAD src0_sel:WORD_1 src1_sel:DWORD
	v_pk_fma_f16 v27, v24, v20, v27
	v_pk_fma_f16 v28, v24, v21, v19
	v_pk_fma_f16 v25, v24, v23, v25
	v_pk_fma_f16 v9, v24, v22, v9
	ds_read2_b32 v[23:24], v26 offset0:64 offset1:96
	ds_read_b128 v[19:22], v10 offset:18512
	s_waitcnt lgkmcnt(0)
	v_mul_u32_u24_sdwa v29, v19, v11 dst_sel:DWORD dst_unused:UNUSED_PAD src0_sel:WORD_0 src1_sel:DWORD
	v_mul_u32_u24_sdwa v19, v19, v11 dst_sel:DWORD dst_unused:UNUSED_PAD src0_sel:WORD_1 src1_sel:DWORD
	v_mul_u32_u24_sdwa v30, v20, v11 dst_sel:DWORD dst_unused:UNUSED_PAD src0_sel:WORD_0 src1_sel:DWORD
	v_mul_u32_u24_sdwa v20, v20, v11 dst_sel:DWORD dst_unused:UNUSED_PAD src0_sel:WORD_1 src1_sel:DWORD
	v_pk_fma_f16 v27, v23, v29, v27
	v_pk_fma_f16 v19, v23, v19, v28
	v_pk_fma_f16 v25, v23, v30, v25
	v_pk_fma_f16 v9, v23, v20, v9
	v_mul_u32_u24_sdwa v20, v21, v11 dst_sel:DWORD dst_unused:UNUSED_PAD src0_sel:WORD_0 src1_sel:DWORD
	v_mul_u32_u24_sdwa v21, v21, v11 dst_sel:DWORD dst_unused:UNUSED_PAD src0_sel:WORD_1 src1_sel:DWORD
	v_mul_u32_u24_sdwa v23, v22, v11 dst_sel:DWORD dst_unused:UNUSED_PAD src0_sel:WORD_0 src1_sel:DWORD
	v_mul_u32_u24_sdwa v22, v22, v11 dst_sel:DWORD dst_unused:UNUSED_PAD src0_sel:WORD_1 src1_sel:DWORD
	v_pk_fma_f16 v27, v24, v20, v27
	v_pk_fma_f16 v28, v24, v21, v19
	v_pk_fma_f16 v25, v24, v23, v25
	v_pk_fma_f16 v9, v24, v22, v9
	ds_read2_b32 v[23:24], v26 offset0:128 offset1:160
	;; [unrolled: 19-line block ×3, first 2 shown]
	ds_read_b128 v[19:22], v10 offset:18544
	s_waitcnt lgkmcnt(0)
	v_mul_u32_u24_sdwa v26, v19, v11 dst_sel:DWORD dst_unused:UNUSED_PAD src0_sel:WORD_0 src1_sel:DWORD
	v_mul_u32_u24_sdwa v19, v19, v11 dst_sel:DWORD dst_unused:UNUSED_PAD src0_sel:WORD_1 src1_sel:DWORD
	v_mul_u32_u24_sdwa v29, v20, v11 dst_sel:DWORD dst_unused:UNUSED_PAD src0_sel:WORD_0 src1_sel:DWORD
	v_mul_u32_u24_sdwa v20, v20, v11 dst_sel:DWORD dst_unused:UNUSED_PAD src0_sel:WORD_1 src1_sel:DWORD
	v_pk_fma_f16 v26, v23, v26, v27
	v_pk_fma_f16 v19, v23, v19, v28
	;; [unrolled: 1-line block ×4, first 2 shown]
	v_mul_u32_u24_sdwa v20, v21, v11 dst_sel:DWORD dst_unused:UNUSED_PAD src0_sel:WORD_0 src1_sel:DWORD
	v_mul_u32_u24_sdwa v21, v21, v11 dst_sel:DWORD dst_unused:UNUSED_PAD src0_sel:WORD_1 src1_sel:DWORD
	v_mul_u32_u24_sdwa v23, v22, v11 dst_sel:DWORD dst_unused:UNUSED_PAD src0_sel:WORD_0 src1_sel:DWORD
	v_mul_u32_u24_sdwa v22, v22, v11 dst_sel:DWORD dst_unused:UNUSED_PAD src0_sel:WORD_1 src1_sel:DWORD
	v_add_nc_u32_e32 v28, 0x800, v47
	v_pk_fma_f16 v26, v24, v20, v26
	v_pk_fma_f16 v27, v24, v21, v19
	;; [unrolled: 1-line block ×4, first 2 shown]
	ds_read2_b32 v[23:24], v28 offset1:32
	ds_read_b128 v[19:22], v10 offset:18560
	s_waitcnt lgkmcnt(0)
	v_mul_u32_u24_sdwa v29, v19, v11 dst_sel:DWORD dst_unused:UNUSED_PAD src0_sel:WORD_0 src1_sel:DWORD
	v_mul_u32_u24_sdwa v19, v19, v11 dst_sel:DWORD dst_unused:UNUSED_PAD src0_sel:WORD_1 src1_sel:DWORD
	v_mul_u32_u24_sdwa v30, v20, v11 dst_sel:DWORD dst_unused:UNUSED_PAD src0_sel:WORD_0 src1_sel:DWORD
	v_mul_u32_u24_sdwa v20, v20, v11 dst_sel:DWORD dst_unused:UNUSED_PAD src0_sel:WORD_1 src1_sel:DWORD
	v_pk_fma_f16 v26, v23, v29, v26
	v_pk_fma_f16 v19, v23, v19, v27
	v_pk_fma_f16 v25, v23, v30, v25
	v_pk_fma_f16 v9, v23, v20, v9
	v_mul_u32_u24_sdwa v20, v21, v11 dst_sel:DWORD dst_unused:UNUSED_PAD src0_sel:WORD_0 src1_sel:DWORD
	v_mul_u32_u24_sdwa v21, v21, v11 dst_sel:DWORD dst_unused:UNUSED_PAD src0_sel:WORD_1 src1_sel:DWORD
	v_mul_u32_u24_sdwa v23, v22, v11 dst_sel:DWORD dst_unused:UNUSED_PAD src0_sel:WORD_0 src1_sel:DWORD
	v_mul_u32_u24_sdwa v22, v22, v11 dst_sel:DWORD dst_unused:UNUSED_PAD src0_sel:WORD_1 src1_sel:DWORD
	v_pk_fma_f16 v26, v24, v20, v26
	v_pk_fma_f16 v27, v24, v21, v19
	v_pk_fma_f16 v25, v24, v23, v25
	v_pk_fma_f16 v9, v24, v22, v9
	ds_read2_b32 v[23:24], v28 offset0:64 offset1:96
	ds_read_b128 v[19:22], v10 offset:18576
	s_waitcnt lgkmcnt(0)
	v_mul_u32_u24_sdwa v29, v19, v11 dst_sel:DWORD dst_unused:UNUSED_PAD src0_sel:WORD_0 src1_sel:DWORD
	v_mul_u32_u24_sdwa v19, v19, v11 dst_sel:DWORD dst_unused:UNUSED_PAD src0_sel:WORD_1 src1_sel:DWORD
	v_mul_u32_u24_sdwa v30, v20, v11 dst_sel:DWORD dst_unused:UNUSED_PAD src0_sel:WORD_0 src1_sel:DWORD
	v_mul_u32_u24_sdwa v20, v20, v11 dst_sel:DWORD dst_unused:UNUSED_PAD src0_sel:WORD_1 src1_sel:DWORD
	v_pk_fma_f16 v26, v23, v29, v26
	v_pk_fma_f16 v19, v23, v19, v27
	v_pk_fma_f16 v25, v23, v30, v25
	v_pk_fma_f16 v9, v23, v20, v9
	v_mul_u32_u24_sdwa v20, v21, v11 dst_sel:DWORD dst_unused:UNUSED_PAD src0_sel:WORD_0 src1_sel:DWORD
	v_mul_u32_u24_sdwa v21, v21, v11 dst_sel:DWORD dst_unused:UNUSED_PAD src0_sel:WORD_1 src1_sel:DWORD
	v_mul_u32_u24_sdwa v23, v22, v11 dst_sel:DWORD dst_unused:UNUSED_PAD src0_sel:WORD_0 src1_sel:DWORD
	v_mul_u32_u24_sdwa v22, v22, v11 dst_sel:DWORD dst_unused:UNUSED_PAD src0_sel:WORD_1 src1_sel:DWORD
	v_pk_fma_f16 v26, v24, v20, v26
	v_pk_fma_f16 v27, v24, v21, v19
	v_pk_fma_f16 v25, v24, v23, v25
	v_pk_fma_f16 v9, v24, v22, v9
	ds_read2_b32 v[23:24], v28 offset0:128 offset1:160
	;; [unrolled: 19-line block ×3, first 2 shown]
	ds_read_b128 v[19:22], v10 offset:18608
	s_waitcnt lgkmcnt(0)
	v_mul_u32_u24_sdwa v28, v19, v11 dst_sel:DWORD dst_unused:UNUSED_PAD src0_sel:WORD_0 src1_sel:DWORD
	v_mul_u32_u24_sdwa v19, v19, v11 dst_sel:DWORD dst_unused:UNUSED_PAD src0_sel:WORD_1 src1_sel:DWORD
	v_mul_u32_u24_sdwa v29, v20, v11 dst_sel:DWORD dst_unused:UNUSED_PAD src0_sel:WORD_0 src1_sel:DWORD
	v_mul_u32_u24_sdwa v20, v20, v11 dst_sel:DWORD dst_unused:UNUSED_PAD src0_sel:WORD_1 src1_sel:DWORD
	v_pk_fma_f16 v26, v23, v28, v26
	v_pk_fma_f16 v19, v23, v19, v27
	v_pk_fma_f16 v25, v23, v29, v25
	v_pk_fma_f16 v9, v23, v20, v9
	v_mul_u32_u24_sdwa v20, v21, v11 dst_sel:DWORD dst_unused:UNUSED_PAD src0_sel:WORD_0 src1_sel:DWORD
	v_mul_u32_u24_sdwa v21, v21, v11 dst_sel:DWORD dst_unused:UNUSED_PAD src0_sel:WORD_1 src1_sel:DWORD
	v_mul_u32_u24_sdwa v23, v22, v11 dst_sel:DWORD dst_unused:UNUSED_PAD src0_sel:WORD_0 src1_sel:DWORD
	v_mul_u32_u24_sdwa v22, v22, v11 dst_sel:DWORD dst_unused:UNUSED_PAD src0_sel:WORD_1 src1_sel:DWORD
	v_add_nc_u32_e32 v28, 0xc00, v47
	v_pk_fma_f16 v26, v24, v20, v26
	v_pk_fma_f16 v27, v24, v21, v19
	;; [unrolled: 1-line block ×4, first 2 shown]
	ds_read2_b32 v[23:24], v28 offset1:32
	ds_read_b128 v[19:22], v10 offset:18624
	s_waitcnt lgkmcnt(0)
	v_mul_u32_u24_sdwa v29, v19, v11 dst_sel:DWORD dst_unused:UNUSED_PAD src0_sel:WORD_0 src1_sel:DWORD
	v_mul_u32_u24_sdwa v19, v19, v11 dst_sel:DWORD dst_unused:UNUSED_PAD src0_sel:WORD_1 src1_sel:DWORD
	v_mul_u32_u24_sdwa v30, v20, v11 dst_sel:DWORD dst_unused:UNUSED_PAD src0_sel:WORD_0 src1_sel:DWORD
	v_mul_u32_u24_sdwa v20, v20, v11 dst_sel:DWORD dst_unused:UNUSED_PAD src0_sel:WORD_1 src1_sel:DWORD
	v_pk_fma_f16 v26, v23, v29, v26
	v_pk_fma_f16 v19, v23, v19, v27
	v_pk_fma_f16 v25, v23, v30, v25
	v_pk_fma_f16 v9, v23, v20, v9
	v_mul_u32_u24_sdwa v20, v21, v11 dst_sel:DWORD dst_unused:UNUSED_PAD src0_sel:WORD_0 src1_sel:DWORD
	v_mul_u32_u24_sdwa v21, v21, v11 dst_sel:DWORD dst_unused:UNUSED_PAD src0_sel:WORD_1 src1_sel:DWORD
	v_mul_u32_u24_sdwa v23, v22, v11 dst_sel:DWORD dst_unused:UNUSED_PAD src0_sel:WORD_0 src1_sel:DWORD
	v_mul_u32_u24_sdwa v22, v22, v11 dst_sel:DWORD dst_unused:UNUSED_PAD src0_sel:WORD_1 src1_sel:DWORD
	v_pk_fma_f16 v26, v24, v20, v26
	v_pk_fma_f16 v27, v24, v21, v19
	v_pk_fma_f16 v25, v24, v23, v25
	v_pk_fma_f16 v9, v24, v22, v9
	ds_read2_b32 v[23:24], v28 offset0:64 offset1:96
	ds_read_b128 v[19:22], v10 offset:18640
	s_waitcnt lgkmcnt(0)
	v_mul_u32_u24_sdwa v29, v19, v11 dst_sel:DWORD dst_unused:UNUSED_PAD src0_sel:WORD_0 src1_sel:DWORD
	v_mul_u32_u24_sdwa v19, v19, v11 dst_sel:DWORD dst_unused:UNUSED_PAD src0_sel:WORD_1 src1_sel:DWORD
	v_mul_u32_u24_sdwa v30, v20, v11 dst_sel:DWORD dst_unused:UNUSED_PAD src0_sel:WORD_0 src1_sel:DWORD
	v_mul_u32_u24_sdwa v20, v20, v11 dst_sel:DWORD dst_unused:UNUSED_PAD src0_sel:WORD_1 src1_sel:DWORD
	v_pk_fma_f16 v26, v23, v29, v26
	v_pk_fma_f16 v19, v23, v19, v27
	v_pk_fma_f16 v25, v23, v30, v25
	v_pk_fma_f16 v9, v23, v20, v9
	v_mul_u32_u24_sdwa v20, v21, v11 dst_sel:DWORD dst_unused:UNUSED_PAD src0_sel:WORD_0 src1_sel:DWORD
	v_mul_u32_u24_sdwa v21, v21, v11 dst_sel:DWORD dst_unused:UNUSED_PAD src0_sel:WORD_1 src1_sel:DWORD
	v_mul_u32_u24_sdwa v23, v22, v11 dst_sel:DWORD dst_unused:UNUSED_PAD src0_sel:WORD_0 src1_sel:DWORD
	v_mul_u32_u24_sdwa v22, v22, v11 dst_sel:DWORD dst_unused:UNUSED_PAD src0_sel:WORD_1 src1_sel:DWORD
	v_pk_fma_f16 v26, v24, v20, v26
	v_pk_fma_f16 v27, v24, v21, v19
	v_pk_fma_f16 v25, v24, v23, v25
	v_pk_fma_f16 v9, v24, v22, v9
	ds_read2_b32 v[23:24], v28 offset0:128 offset1:160
	;; [unrolled: 19-line block ×3, first 2 shown]
	ds_read_b128 v[19:22], v10 offset:18672
	s_waitcnt lgkmcnt(0)
	v_mul_u32_u24_sdwa v28, v19, v11 dst_sel:DWORD dst_unused:UNUSED_PAD src0_sel:WORD_0 src1_sel:DWORD
	v_mul_u32_u24_sdwa v19, v19, v11 dst_sel:DWORD dst_unused:UNUSED_PAD src0_sel:WORD_1 src1_sel:DWORD
	v_mul_u32_u24_sdwa v29, v20, v11 dst_sel:DWORD dst_unused:UNUSED_PAD src0_sel:WORD_0 src1_sel:DWORD
	v_mul_u32_u24_sdwa v20, v20, v11 dst_sel:DWORD dst_unused:UNUSED_PAD src0_sel:WORD_1 src1_sel:DWORD
	v_pk_fma_f16 v26, v23, v28, v26
	v_pk_fma_f16 v19, v23, v19, v27
	;; [unrolled: 1-line block ×4, first 2 shown]
	v_mul_u32_u24_sdwa v20, v21, v11 dst_sel:DWORD dst_unused:UNUSED_PAD src0_sel:WORD_0 src1_sel:DWORD
	v_mul_u32_u24_sdwa v21, v21, v11 dst_sel:DWORD dst_unused:UNUSED_PAD src0_sel:WORD_1 src1_sel:DWORD
	v_mul_u32_u24_sdwa v23, v22, v11 dst_sel:DWORD dst_unused:UNUSED_PAD src0_sel:WORD_0 src1_sel:DWORD
	v_mul_u32_u24_sdwa v22, v22, v11 dst_sel:DWORD dst_unused:UNUSED_PAD src0_sel:WORD_1 src1_sel:DWORD
	v_add_nc_u32_e32 v28, 0x1000, v47
	v_pk_fma_f16 v26, v24, v20, v26
	v_pk_fma_f16 v27, v24, v21, v19
	;; [unrolled: 1-line block ×4, first 2 shown]
	ds_read2_b32 v[23:24], v28 offset1:32
	ds_read_b128 v[19:22], v10 offset:18688
	s_waitcnt lgkmcnt(0)
	v_mul_u32_u24_sdwa v29, v19, v11 dst_sel:DWORD dst_unused:UNUSED_PAD src0_sel:WORD_0 src1_sel:DWORD
	v_mul_u32_u24_sdwa v19, v19, v11 dst_sel:DWORD dst_unused:UNUSED_PAD src0_sel:WORD_1 src1_sel:DWORD
	v_mul_u32_u24_sdwa v30, v20, v11 dst_sel:DWORD dst_unused:UNUSED_PAD src0_sel:WORD_0 src1_sel:DWORD
	v_mul_u32_u24_sdwa v20, v20, v11 dst_sel:DWORD dst_unused:UNUSED_PAD src0_sel:WORD_1 src1_sel:DWORD
	v_pk_fma_f16 v26, v23, v29, v26
	v_pk_fma_f16 v19, v23, v19, v27
	v_pk_fma_f16 v25, v23, v30, v25
	v_pk_fma_f16 v9, v23, v20, v9
	v_mul_u32_u24_sdwa v20, v21, v11 dst_sel:DWORD dst_unused:UNUSED_PAD src0_sel:WORD_0 src1_sel:DWORD
	v_mul_u32_u24_sdwa v21, v21, v11 dst_sel:DWORD dst_unused:UNUSED_PAD src0_sel:WORD_1 src1_sel:DWORD
	v_mul_u32_u24_sdwa v23, v22, v11 dst_sel:DWORD dst_unused:UNUSED_PAD src0_sel:WORD_0 src1_sel:DWORD
	v_mul_u32_u24_sdwa v22, v22, v11 dst_sel:DWORD dst_unused:UNUSED_PAD src0_sel:WORD_1 src1_sel:DWORD
	v_pk_fma_f16 v26, v24, v20, v26
	v_pk_fma_f16 v27, v24, v21, v19
	v_pk_fma_f16 v25, v24, v23, v25
	v_pk_fma_f16 v9, v24, v22, v9
	ds_read2_b32 v[23:24], v28 offset0:64 offset1:96
	ds_read_b128 v[19:22], v10 offset:18704
	s_waitcnt lgkmcnt(0)
	v_mul_u32_u24_sdwa v29, v19, v11 dst_sel:DWORD dst_unused:UNUSED_PAD src0_sel:WORD_0 src1_sel:DWORD
	v_mul_u32_u24_sdwa v19, v19, v11 dst_sel:DWORD dst_unused:UNUSED_PAD src0_sel:WORD_1 src1_sel:DWORD
	v_mul_u32_u24_sdwa v30, v20, v11 dst_sel:DWORD dst_unused:UNUSED_PAD src0_sel:WORD_0 src1_sel:DWORD
	v_mul_u32_u24_sdwa v20, v20, v11 dst_sel:DWORD dst_unused:UNUSED_PAD src0_sel:WORD_1 src1_sel:DWORD
	v_pk_fma_f16 v26, v23, v29, v26
	v_pk_fma_f16 v19, v23, v19, v27
	v_pk_fma_f16 v25, v23, v30, v25
	v_pk_fma_f16 v9, v23, v20, v9
	v_mul_u32_u24_sdwa v20, v21, v11 dst_sel:DWORD dst_unused:UNUSED_PAD src0_sel:WORD_0 src1_sel:DWORD
	v_mul_u32_u24_sdwa v21, v21, v11 dst_sel:DWORD dst_unused:UNUSED_PAD src0_sel:WORD_1 src1_sel:DWORD
	v_mul_u32_u24_sdwa v23, v22, v11 dst_sel:DWORD dst_unused:UNUSED_PAD src0_sel:WORD_0 src1_sel:DWORD
	v_mul_u32_u24_sdwa v22, v22, v11 dst_sel:DWORD dst_unused:UNUSED_PAD src0_sel:WORD_1 src1_sel:DWORD
	v_pk_fma_f16 v26, v24, v20, v26
	v_pk_fma_f16 v27, v24, v21, v19
	v_pk_fma_f16 v25, v24, v23, v25
	v_pk_fma_f16 v9, v24, v22, v9
	ds_read2_b32 v[23:24], v28 offset0:128 offset1:160
	;; [unrolled: 19-line block ×3, first 2 shown]
	ds_read_b128 v[19:22], v10 offset:18736
	s_waitcnt lgkmcnt(0)
	v_mul_u32_u24_sdwa v28, v19, v11 dst_sel:DWORD dst_unused:UNUSED_PAD src0_sel:WORD_0 src1_sel:DWORD
	v_mul_u32_u24_sdwa v19, v19, v11 dst_sel:DWORD dst_unused:UNUSED_PAD src0_sel:WORD_1 src1_sel:DWORD
	v_mul_u32_u24_sdwa v29, v20, v11 dst_sel:DWORD dst_unused:UNUSED_PAD src0_sel:WORD_0 src1_sel:DWORD
	v_mul_u32_u24_sdwa v20, v20, v11 dst_sel:DWORD dst_unused:UNUSED_PAD src0_sel:WORD_1 src1_sel:DWORD
	v_pk_fma_f16 v26, v23, v28, v26
	v_pk_fma_f16 v19, v23, v19, v27
	;; [unrolled: 1-line block ×4, first 2 shown]
	v_mul_u32_u24_sdwa v20, v21, v11 dst_sel:DWORD dst_unused:UNUSED_PAD src0_sel:WORD_0 src1_sel:DWORD
	v_mul_u32_u24_sdwa v21, v21, v11 dst_sel:DWORD dst_unused:UNUSED_PAD src0_sel:WORD_1 src1_sel:DWORD
	v_mul_u32_u24_sdwa v23, v22, v11 dst_sel:DWORD dst_unused:UNUSED_PAD src0_sel:WORD_0 src1_sel:DWORD
	v_mul_u32_u24_sdwa v22, v22, v11 dst_sel:DWORD dst_unused:UNUSED_PAD src0_sel:WORD_1 src1_sel:DWORD
	v_add_nc_u32_e32 v28, 0x1400, v47
	v_pk_fma_f16 v26, v24, v20, v26
	v_pk_fma_f16 v27, v24, v21, v19
	;; [unrolled: 1-line block ×4, first 2 shown]
	ds_read2_b32 v[23:24], v28 offset1:32
	ds_read_b128 v[19:22], v10 offset:18752
	s_waitcnt lgkmcnt(0)
	v_mul_u32_u24_sdwa v29, v19, v11 dst_sel:DWORD dst_unused:UNUSED_PAD src0_sel:WORD_0 src1_sel:DWORD
	v_mul_u32_u24_sdwa v19, v19, v11 dst_sel:DWORD dst_unused:UNUSED_PAD src0_sel:WORD_1 src1_sel:DWORD
	v_mul_u32_u24_sdwa v30, v20, v11 dst_sel:DWORD dst_unused:UNUSED_PAD src0_sel:WORD_0 src1_sel:DWORD
	v_mul_u32_u24_sdwa v20, v20, v11 dst_sel:DWORD dst_unused:UNUSED_PAD src0_sel:WORD_1 src1_sel:DWORD
	v_pk_fma_f16 v26, v23, v29, v26
	v_pk_fma_f16 v19, v23, v19, v27
	v_pk_fma_f16 v25, v23, v30, v25
	v_pk_fma_f16 v9, v23, v20, v9
	v_mul_u32_u24_sdwa v20, v21, v11 dst_sel:DWORD dst_unused:UNUSED_PAD src0_sel:WORD_0 src1_sel:DWORD
	v_mul_u32_u24_sdwa v21, v21, v11 dst_sel:DWORD dst_unused:UNUSED_PAD src0_sel:WORD_1 src1_sel:DWORD
	v_mul_u32_u24_sdwa v23, v22, v11 dst_sel:DWORD dst_unused:UNUSED_PAD src0_sel:WORD_0 src1_sel:DWORD
	v_mul_u32_u24_sdwa v22, v22, v11 dst_sel:DWORD dst_unused:UNUSED_PAD src0_sel:WORD_1 src1_sel:DWORD
	v_pk_fma_f16 v26, v24, v20, v26
	v_pk_fma_f16 v27, v24, v21, v19
	v_pk_fma_f16 v25, v24, v23, v25
	v_pk_fma_f16 v9, v24, v22, v9
	ds_read2_b32 v[23:24], v28 offset0:64 offset1:96
	ds_read_b128 v[19:22], v10 offset:18768
	s_waitcnt lgkmcnt(0)
	v_mul_u32_u24_sdwa v29, v19, v11 dst_sel:DWORD dst_unused:UNUSED_PAD src0_sel:WORD_0 src1_sel:DWORD
	v_mul_u32_u24_sdwa v19, v19, v11 dst_sel:DWORD dst_unused:UNUSED_PAD src0_sel:WORD_1 src1_sel:DWORD
	v_mul_u32_u24_sdwa v30, v20, v11 dst_sel:DWORD dst_unused:UNUSED_PAD src0_sel:WORD_0 src1_sel:DWORD
	v_mul_u32_u24_sdwa v20, v20, v11 dst_sel:DWORD dst_unused:UNUSED_PAD src0_sel:WORD_1 src1_sel:DWORD
	v_pk_fma_f16 v26, v23, v29, v26
	v_pk_fma_f16 v19, v23, v19, v27
	v_pk_fma_f16 v25, v23, v30, v25
	v_pk_fma_f16 v9, v23, v20, v9
	v_mul_u32_u24_sdwa v20, v21, v11 dst_sel:DWORD dst_unused:UNUSED_PAD src0_sel:WORD_0 src1_sel:DWORD
	v_mul_u32_u24_sdwa v21, v21, v11 dst_sel:DWORD dst_unused:UNUSED_PAD src0_sel:WORD_1 src1_sel:DWORD
	v_mul_u32_u24_sdwa v23, v22, v11 dst_sel:DWORD dst_unused:UNUSED_PAD src0_sel:WORD_0 src1_sel:DWORD
	v_mul_u32_u24_sdwa v22, v22, v11 dst_sel:DWORD dst_unused:UNUSED_PAD src0_sel:WORD_1 src1_sel:DWORD
	v_pk_fma_f16 v26, v24, v20, v26
	v_pk_fma_f16 v27, v24, v21, v19
	v_pk_fma_f16 v25, v24, v23, v25
	v_pk_fma_f16 v9, v24, v22, v9
	ds_read2_b32 v[23:24], v28 offset0:128 offset1:160
	;; [unrolled: 19-line block ×3, first 2 shown]
	ds_read_b128 v[19:22], v10 offset:18800
	s_waitcnt lgkmcnt(0)
	v_mul_u32_u24_sdwa v28, v19, v11 dst_sel:DWORD dst_unused:UNUSED_PAD src0_sel:WORD_0 src1_sel:DWORD
	v_mul_u32_u24_sdwa v19, v19, v11 dst_sel:DWORD dst_unused:UNUSED_PAD src0_sel:WORD_1 src1_sel:DWORD
	v_mul_u32_u24_sdwa v29, v20, v11 dst_sel:DWORD dst_unused:UNUSED_PAD src0_sel:WORD_0 src1_sel:DWORD
	v_mul_u32_u24_sdwa v20, v20, v11 dst_sel:DWORD dst_unused:UNUSED_PAD src0_sel:WORD_1 src1_sel:DWORD
	v_pk_fma_f16 v26, v23, v28, v26
	v_pk_fma_f16 v19, v23, v19, v27
	;; [unrolled: 1-line block ×4, first 2 shown]
	v_mul_u32_u24_sdwa v20, v21, v11 dst_sel:DWORD dst_unused:UNUSED_PAD src0_sel:WORD_0 src1_sel:DWORD
	v_mul_u32_u24_sdwa v21, v21, v11 dst_sel:DWORD dst_unused:UNUSED_PAD src0_sel:WORD_1 src1_sel:DWORD
	v_mul_u32_u24_sdwa v23, v22, v11 dst_sel:DWORD dst_unused:UNUSED_PAD src0_sel:WORD_0 src1_sel:DWORD
	v_mul_u32_u24_sdwa v22, v22, v11 dst_sel:DWORD dst_unused:UNUSED_PAD src0_sel:WORD_1 src1_sel:DWORD
	v_add_nc_u32_e32 v28, 0x1800, v47
	v_pk_fma_f16 v26, v24, v20, v26
	v_pk_fma_f16 v27, v24, v21, v19
	;; [unrolled: 1-line block ×4, first 2 shown]
	ds_read2_b32 v[23:24], v28 offset1:32
	ds_read_b128 v[19:22], v10 offset:18816
	s_waitcnt lgkmcnt(0)
	v_mul_u32_u24_sdwa v29, v19, v11 dst_sel:DWORD dst_unused:UNUSED_PAD src0_sel:WORD_0 src1_sel:DWORD
	v_mul_u32_u24_sdwa v19, v19, v11 dst_sel:DWORD dst_unused:UNUSED_PAD src0_sel:WORD_1 src1_sel:DWORD
	v_mul_u32_u24_sdwa v30, v20, v11 dst_sel:DWORD dst_unused:UNUSED_PAD src0_sel:WORD_0 src1_sel:DWORD
	v_mul_u32_u24_sdwa v20, v20, v11 dst_sel:DWORD dst_unused:UNUSED_PAD src0_sel:WORD_1 src1_sel:DWORD
	v_pk_fma_f16 v26, v23, v29, v26
	v_pk_fma_f16 v19, v23, v19, v27
	v_pk_fma_f16 v25, v23, v30, v25
	v_pk_fma_f16 v9, v23, v20, v9
	v_mul_u32_u24_sdwa v20, v21, v11 dst_sel:DWORD dst_unused:UNUSED_PAD src0_sel:WORD_0 src1_sel:DWORD
	v_mul_u32_u24_sdwa v21, v21, v11 dst_sel:DWORD dst_unused:UNUSED_PAD src0_sel:WORD_1 src1_sel:DWORD
	v_mul_u32_u24_sdwa v23, v22, v11 dst_sel:DWORD dst_unused:UNUSED_PAD src0_sel:WORD_0 src1_sel:DWORD
	v_mul_u32_u24_sdwa v22, v22, v11 dst_sel:DWORD dst_unused:UNUSED_PAD src0_sel:WORD_1 src1_sel:DWORD
	v_pk_fma_f16 v26, v24, v20, v26
	v_pk_fma_f16 v27, v24, v21, v19
	v_pk_fma_f16 v25, v24, v23, v25
	v_pk_fma_f16 v9, v24, v22, v9
	ds_read2_b32 v[23:24], v28 offset0:64 offset1:96
	ds_read_b128 v[19:22], v10 offset:18832
	s_waitcnt lgkmcnt(0)
	v_mul_u32_u24_sdwa v29, v19, v11 dst_sel:DWORD dst_unused:UNUSED_PAD src0_sel:WORD_0 src1_sel:DWORD
	v_mul_u32_u24_sdwa v19, v19, v11 dst_sel:DWORD dst_unused:UNUSED_PAD src0_sel:WORD_1 src1_sel:DWORD
	v_mul_u32_u24_sdwa v30, v20, v11 dst_sel:DWORD dst_unused:UNUSED_PAD src0_sel:WORD_0 src1_sel:DWORD
	v_mul_u32_u24_sdwa v20, v20, v11 dst_sel:DWORD dst_unused:UNUSED_PAD src0_sel:WORD_1 src1_sel:DWORD
	v_pk_fma_f16 v26, v23, v29, v26
	v_pk_fma_f16 v19, v23, v19, v27
	v_pk_fma_f16 v25, v23, v30, v25
	v_pk_fma_f16 v9, v23, v20, v9
	v_mul_u32_u24_sdwa v20, v21, v11 dst_sel:DWORD dst_unused:UNUSED_PAD src0_sel:WORD_0 src1_sel:DWORD
	v_mul_u32_u24_sdwa v21, v21, v11 dst_sel:DWORD dst_unused:UNUSED_PAD src0_sel:WORD_1 src1_sel:DWORD
	v_mul_u32_u24_sdwa v23, v22, v11 dst_sel:DWORD dst_unused:UNUSED_PAD src0_sel:WORD_0 src1_sel:DWORD
	v_mul_u32_u24_sdwa v22, v22, v11 dst_sel:DWORD dst_unused:UNUSED_PAD src0_sel:WORD_1 src1_sel:DWORD
	v_pk_fma_f16 v26, v24, v20, v26
	v_pk_fma_f16 v27, v24, v21, v19
	v_pk_fma_f16 v25, v24, v23, v25
	v_pk_fma_f16 v9, v24, v22, v9
	ds_read2_b32 v[23:24], v28 offset0:128 offset1:160
	;; [unrolled: 19-line block ×3, first 2 shown]
	ds_read_b128 v[19:22], v10 offset:18864
	s_waitcnt lgkmcnt(0)
	v_mul_u32_u24_sdwa v28, v19, v11 dst_sel:DWORD dst_unused:UNUSED_PAD src0_sel:WORD_0 src1_sel:DWORD
	v_mul_u32_u24_sdwa v19, v19, v11 dst_sel:DWORD dst_unused:UNUSED_PAD src0_sel:WORD_1 src1_sel:DWORD
	v_mul_u32_u24_sdwa v29, v20, v11 dst_sel:DWORD dst_unused:UNUSED_PAD src0_sel:WORD_0 src1_sel:DWORD
	v_mul_u32_u24_sdwa v20, v20, v11 dst_sel:DWORD dst_unused:UNUSED_PAD src0_sel:WORD_1 src1_sel:DWORD
	v_pk_fma_f16 v26, v23, v28, v26
	v_pk_fma_f16 v19, v23, v19, v27
	;; [unrolled: 1-line block ×4, first 2 shown]
	v_mul_u32_u24_sdwa v20, v21, v11 dst_sel:DWORD dst_unused:UNUSED_PAD src0_sel:WORD_0 src1_sel:DWORD
	v_mul_u32_u24_sdwa v21, v21, v11 dst_sel:DWORD dst_unused:UNUSED_PAD src0_sel:WORD_1 src1_sel:DWORD
	v_mul_u32_u24_sdwa v23, v22, v11 dst_sel:DWORD dst_unused:UNUSED_PAD src0_sel:WORD_0 src1_sel:DWORD
	v_mul_u32_u24_sdwa v22, v22, v11 dst_sel:DWORD dst_unused:UNUSED_PAD src0_sel:WORD_1 src1_sel:DWORD
	v_add_nc_u32_e32 v28, 0x1c00, v47
	v_pk_fma_f16 v26, v24, v20, v26
	v_pk_fma_f16 v27, v24, v21, v19
	v_pk_fma_f16 v25, v24, v23, v25
	v_pk_fma_f16 v9, v24, v22, v9
	ds_read2_b32 v[23:24], v28 offset1:32
	ds_read_b128 v[19:22], v10 offset:18880
	s_waitcnt lgkmcnt(0)
	v_mul_u32_u24_sdwa v29, v19, v11 dst_sel:DWORD dst_unused:UNUSED_PAD src0_sel:WORD_0 src1_sel:DWORD
	v_mul_u32_u24_sdwa v19, v19, v11 dst_sel:DWORD dst_unused:UNUSED_PAD src0_sel:WORD_1 src1_sel:DWORD
	v_mul_u32_u24_sdwa v30, v20, v11 dst_sel:DWORD dst_unused:UNUSED_PAD src0_sel:WORD_0 src1_sel:DWORD
	v_mul_u32_u24_sdwa v20, v20, v11 dst_sel:DWORD dst_unused:UNUSED_PAD src0_sel:WORD_1 src1_sel:DWORD
	v_pk_fma_f16 v26, v23, v29, v26
	v_pk_fma_f16 v19, v23, v19, v27
	v_pk_fma_f16 v25, v23, v30, v25
	v_pk_fma_f16 v9, v23, v20, v9
	v_mul_u32_u24_sdwa v20, v21, v11 dst_sel:DWORD dst_unused:UNUSED_PAD src0_sel:WORD_0 src1_sel:DWORD
	v_mul_u32_u24_sdwa v21, v21, v11 dst_sel:DWORD dst_unused:UNUSED_PAD src0_sel:WORD_1 src1_sel:DWORD
	v_mul_u32_u24_sdwa v23, v22, v11 dst_sel:DWORD dst_unused:UNUSED_PAD src0_sel:WORD_0 src1_sel:DWORD
	v_mul_u32_u24_sdwa v22, v22, v11 dst_sel:DWORD dst_unused:UNUSED_PAD src0_sel:WORD_1 src1_sel:DWORD
	v_pk_fma_f16 v26, v24, v20, v26
	v_pk_fma_f16 v27, v24, v21, v19
	v_pk_fma_f16 v25, v24, v23, v25
	v_pk_fma_f16 v9, v24, v22, v9
	ds_read2_b32 v[23:24], v28 offset0:64 offset1:96
	ds_read_b128 v[19:22], v10 offset:18896
	s_waitcnt lgkmcnt(0)
	v_mul_u32_u24_sdwa v29, v19, v11 dst_sel:DWORD dst_unused:UNUSED_PAD src0_sel:WORD_0 src1_sel:DWORD
	v_mul_u32_u24_sdwa v19, v19, v11 dst_sel:DWORD dst_unused:UNUSED_PAD src0_sel:WORD_1 src1_sel:DWORD
	v_mul_u32_u24_sdwa v30, v20, v11 dst_sel:DWORD dst_unused:UNUSED_PAD src0_sel:WORD_0 src1_sel:DWORD
	v_mul_u32_u24_sdwa v20, v20, v11 dst_sel:DWORD dst_unused:UNUSED_PAD src0_sel:WORD_1 src1_sel:DWORD
	v_pk_fma_f16 v26, v23, v29, v26
	v_pk_fma_f16 v19, v23, v19, v27
	v_pk_fma_f16 v25, v23, v30, v25
	v_pk_fma_f16 v9, v23, v20, v9
	v_mul_u32_u24_sdwa v20, v21, v11 dst_sel:DWORD dst_unused:UNUSED_PAD src0_sel:WORD_0 src1_sel:DWORD
	v_mul_u32_u24_sdwa v21, v21, v11 dst_sel:DWORD dst_unused:UNUSED_PAD src0_sel:WORD_1 src1_sel:DWORD
	v_mul_u32_u24_sdwa v23, v22, v11 dst_sel:DWORD dst_unused:UNUSED_PAD src0_sel:WORD_0 src1_sel:DWORD
	v_mul_u32_u24_sdwa v22, v22, v11 dst_sel:DWORD dst_unused:UNUSED_PAD src0_sel:WORD_1 src1_sel:DWORD
	v_pk_fma_f16 v26, v24, v20, v26
	v_pk_fma_f16 v27, v24, v21, v19
	v_pk_fma_f16 v25, v24, v23, v25
	v_pk_fma_f16 v9, v24, v22, v9
	ds_read2_b32 v[23:24], v28 offset0:128 offset1:160
	;; [unrolled: 19-line block ×3, first 2 shown]
	ds_read_b128 v[19:22], v10 offset:18928
	s_waitcnt lgkmcnt(0)
	v_mul_u32_u24_sdwa v28, v19, v11 dst_sel:DWORD dst_unused:UNUSED_PAD src0_sel:WORD_0 src1_sel:DWORD
	v_mul_u32_u24_sdwa v19, v19, v11 dst_sel:DWORD dst_unused:UNUSED_PAD src0_sel:WORD_1 src1_sel:DWORD
	v_mul_u32_u24_sdwa v29, v20, v11 dst_sel:DWORD dst_unused:UNUSED_PAD src0_sel:WORD_0 src1_sel:DWORD
	v_mul_u32_u24_sdwa v20, v20, v11 dst_sel:DWORD dst_unused:UNUSED_PAD src0_sel:WORD_1 src1_sel:DWORD
	v_pk_fma_f16 v26, v23, v28, v26
	v_pk_fma_f16 v19, v23, v19, v27
	;; [unrolled: 1-line block ×4, first 2 shown]
	v_mul_u32_u24_sdwa v20, v21, v11 dst_sel:DWORD dst_unused:UNUSED_PAD src0_sel:WORD_0 src1_sel:DWORD
	v_mul_u32_u24_sdwa v21, v21, v11 dst_sel:DWORD dst_unused:UNUSED_PAD src0_sel:WORD_1 src1_sel:DWORD
	v_mul_u32_u24_sdwa v23, v22, v11 dst_sel:DWORD dst_unused:UNUSED_PAD src0_sel:WORD_0 src1_sel:DWORD
	v_mul_u32_u24_sdwa v22, v22, v11 dst_sel:DWORD dst_unused:UNUSED_PAD src0_sel:WORD_1 src1_sel:DWORD
	v_add_nc_u32_e32 v28, 0x2000, v47
	v_pk_fma_f16 v26, v24, v20, v26
	v_pk_fma_f16 v27, v24, v21, v19
	v_pk_fma_f16 v25, v24, v23, v25
	v_pk_fma_f16 v9, v24, v22, v9
	ds_read2_b32 v[23:24], v28 offset1:32
	ds_read_b128 v[19:22], v10 offset:18944
	s_waitcnt lgkmcnt(0)
	v_mul_u32_u24_sdwa v29, v19, v11 dst_sel:DWORD dst_unused:UNUSED_PAD src0_sel:WORD_0 src1_sel:DWORD
	v_mul_u32_u24_sdwa v19, v19, v11 dst_sel:DWORD dst_unused:UNUSED_PAD src0_sel:WORD_1 src1_sel:DWORD
	v_mul_u32_u24_sdwa v30, v20, v11 dst_sel:DWORD dst_unused:UNUSED_PAD src0_sel:WORD_0 src1_sel:DWORD
	v_mul_u32_u24_sdwa v20, v20, v11 dst_sel:DWORD dst_unused:UNUSED_PAD src0_sel:WORD_1 src1_sel:DWORD
	v_pk_fma_f16 v26, v23, v29, v26
	v_pk_fma_f16 v19, v23, v19, v27
	v_pk_fma_f16 v25, v23, v30, v25
	v_pk_fma_f16 v9, v23, v20, v9
	v_mul_u32_u24_sdwa v20, v21, v11 dst_sel:DWORD dst_unused:UNUSED_PAD src0_sel:WORD_0 src1_sel:DWORD
	v_mul_u32_u24_sdwa v21, v21, v11 dst_sel:DWORD dst_unused:UNUSED_PAD src0_sel:WORD_1 src1_sel:DWORD
	v_mul_u32_u24_sdwa v23, v22, v11 dst_sel:DWORD dst_unused:UNUSED_PAD src0_sel:WORD_0 src1_sel:DWORD
	v_mul_u32_u24_sdwa v22, v22, v11 dst_sel:DWORD dst_unused:UNUSED_PAD src0_sel:WORD_1 src1_sel:DWORD
	v_pk_fma_f16 v26, v24, v20, v26
	v_pk_fma_f16 v27, v24, v21, v19
	v_pk_fma_f16 v25, v24, v23, v25
	v_pk_fma_f16 v9, v24, v22, v9
	ds_read2_b32 v[23:24], v28 offset0:64 offset1:96
	ds_read_b128 v[19:22], v10 offset:18960
	s_waitcnt lgkmcnt(0)
	v_mul_u32_u24_sdwa v29, v19, v11 dst_sel:DWORD dst_unused:UNUSED_PAD src0_sel:WORD_0 src1_sel:DWORD
	v_mul_u32_u24_sdwa v19, v19, v11 dst_sel:DWORD dst_unused:UNUSED_PAD src0_sel:WORD_1 src1_sel:DWORD
	v_mul_u32_u24_sdwa v30, v20, v11 dst_sel:DWORD dst_unused:UNUSED_PAD src0_sel:WORD_0 src1_sel:DWORD
	v_mul_u32_u24_sdwa v20, v20, v11 dst_sel:DWORD dst_unused:UNUSED_PAD src0_sel:WORD_1 src1_sel:DWORD
	v_pk_fma_f16 v26, v23, v29, v26
	v_pk_fma_f16 v19, v23, v19, v27
	v_pk_fma_f16 v25, v23, v30, v25
	v_pk_fma_f16 v9, v23, v20, v9
	v_mul_u32_u24_sdwa v20, v21, v11 dst_sel:DWORD dst_unused:UNUSED_PAD src0_sel:WORD_0 src1_sel:DWORD
	v_mul_u32_u24_sdwa v21, v21, v11 dst_sel:DWORD dst_unused:UNUSED_PAD src0_sel:WORD_1 src1_sel:DWORD
	v_mul_u32_u24_sdwa v23, v22, v11 dst_sel:DWORD dst_unused:UNUSED_PAD src0_sel:WORD_0 src1_sel:DWORD
	v_mul_u32_u24_sdwa v22, v22, v11 dst_sel:DWORD dst_unused:UNUSED_PAD src0_sel:WORD_1 src1_sel:DWORD
	v_pk_fma_f16 v26, v24, v20, v26
	v_pk_fma_f16 v27, v24, v21, v19
	v_pk_fma_f16 v25, v24, v23, v25
	v_pk_fma_f16 v9, v24, v22, v9
	ds_read2_b32 v[23:24], v28 offset0:128 offset1:160
	;; [unrolled: 19-line block ×3, first 2 shown]
	ds_read_b128 v[19:22], v10 offset:18992
	s_waitcnt lgkmcnt(0)
	v_mul_u32_u24_sdwa v28, v19, v11 dst_sel:DWORD dst_unused:UNUSED_PAD src0_sel:WORD_0 src1_sel:DWORD
	v_mul_u32_u24_sdwa v19, v19, v11 dst_sel:DWORD dst_unused:UNUSED_PAD src0_sel:WORD_1 src1_sel:DWORD
	v_mul_u32_u24_sdwa v29, v20, v11 dst_sel:DWORD dst_unused:UNUSED_PAD src0_sel:WORD_0 src1_sel:DWORD
	v_mul_u32_u24_sdwa v20, v20, v11 dst_sel:DWORD dst_unused:UNUSED_PAD src0_sel:WORD_1 src1_sel:DWORD
	v_pk_fma_f16 v26, v23, v28, v26
	v_pk_fma_f16 v19, v23, v19, v27
	;; [unrolled: 1-line block ×4, first 2 shown]
	v_mul_u32_u24_sdwa v20, v21, v11 dst_sel:DWORD dst_unused:UNUSED_PAD src0_sel:WORD_0 src1_sel:DWORD
	v_mul_u32_u24_sdwa v21, v21, v11 dst_sel:DWORD dst_unused:UNUSED_PAD src0_sel:WORD_1 src1_sel:DWORD
	v_mul_u32_u24_sdwa v23, v22, v11 dst_sel:DWORD dst_unused:UNUSED_PAD src0_sel:WORD_0 src1_sel:DWORD
	v_mul_u32_u24_sdwa v22, v22, v11 dst_sel:DWORD dst_unused:UNUSED_PAD src0_sel:WORD_1 src1_sel:DWORD
	v_add_nc_u32_e32 v28, 0x2400, v47
	v_pk_fma_f16 v26, v24, v20, v26
	v_pk_fma_f16 v27, v24, v21, v19
	;; [unrolled: 1-line block ×4, first 2 shown]
	ds_read2_b32 v[23:24], v28 offset1:32
	ds_read_b128 v[19:22], v10 offset:19008
	s_waitcnt lgkmcnt(0)
	v_mul_u32_u24_sdwa v29, v19, v11 dst_sel:DWORD dst_unused:UNUSED_PAD src0_sel:WORD_0 src1_sel:DWORD
	v_mul_u32_u24_sdwa v19, v19, v11 dst_sel:DWORD dst_unused:UNUSED_PAD src0_sel:WORD_1 src1_sel:DWORD
	v_mul_u32_u24_sdwa v30, v20, v11 dst_sel:DWORD dst_unused:UNUSED_PAD src0_sel:WORD_0 src1_sel:DWORD
	v_mul_u32_u24_sdwa v20, v20, v11 dst_sel:DWORD dst_unused:UNUSED_PAD src0_sel:WORD_1 src1_sel:DWORD
	v_pk_fma_f16 v26, v23, v29, v26
	v_pk_fma_f16 v19, v23, v19, v27
	v_pk_fma_f16 v25, v23, v30, v25
	v_pk_fma_f16 v9, v23, v20, v9
	v_mul_u32_u24_sdwa v20, v21, v11 dst_sel:DWORD dst_unused:UNUSED_PAD src0_sel:WORD_0 src1_sel:DWORD
	v_mul_u32_u24_sdwa v21, v21, v11 dst_sel:DWORD dst_unused:UNUSED_PAD src0_sel:WORD_1 src1_sel:DWORD
	v_mul_u32_u24_sdwa v23, v22, v11 dst_sel:DWORD dst_unused:UNUSED_PAD src0_sel:WORD_0 src1_sel:DWORD
	v_mul_u32_u24_sdwa v22, v22, v11 dst_sel:DWORD dst_unused:UNUSED_PAD src0_sel:WORD_1 src1_sel:DWORD
	v_pk_fma_f16 v26, v24, v20, v26
	v_pk_fma_f16 v27, v24, v21, v19
	v_pk_fma_f16 v25, v24, v23, v25
	v_pk_fma_f16 v9, v24, v22, v9
	ds_read2_b32 v[23:24], v28 offset0:64 offset1:96
	ds_read_b128 v[19:22], v10 offset:19024
	s_waitcnt lgkmcnt(0)
	v_mul_u32_u24_sdwa v29, v19, v11 dst_sel:DWORD dst_unused:UNUSED_PAD src0_sel:WORD_0 src1_sel:DWORD
	v_mul_u32_u24_sdwa v19, v19, v11 dst_sel:DWORD dst_unused:UNUSED_PAD src0_sel:WORD_1 src1_sel:DWORD
	v_mul_u32_u24_sdwa v30, v20, v11 dst_sel:DWORD dst_unused:UNUSED_PAD src0_sel:WORD_0 src1_sel:DWORD
	v_mul_u32_u24_sdwa v20, v20, v11 dst_sel:DWORD dst_unused:UNUSED_PAD src0_sel:WORD_1 src1_sel:DWORD
	v_pk_fma_f16 v26, v23, v29, v26
	v_pk_fma_f16 v19, v23, v19, v27
	v_pk_fma_f16 v25, v23, v30, v25
	v_pk_fma_f16 v9, v23, v20, v9
	v_mul_u32_u24_sdwa v20, v21, v11 dst_sel:DWORD dst_unused:UNUSED_PAD src0_sel:WORD_0 src1_sel:DWORD
	v_mul_u32_u24_sdwa v21, v21, v11 dst_sel:DWORD dst_unused:UNUSED_PAD src0_sel:WORD_1 src1_sel:DWORD
	v_mul_u32_u24_sdwa v23, v22, v11 dst_sel:DWORD dst_unused:UNUSED_PAD src0_sel:WORD_0 src1_sel:DWORD
	v_mul_u32_u24_sdwa v22, v22, v11 dst_sel:DWORD dst_unused:UNUSED_PAD src0_sel:WORD_1 src1_sel:DWORD
	v_pk_fma_f16 v26, v24, v20, v26
	v_pk_fma_f16 v27, v24, v21, v19
	v_pk_fma_f16 v25, v24, v23, v25
	v_pk_fma_f16 v9, v24, v22, v9
	ds_read2_b32 v[23:24], v28 offset0:128 offset1:160
	;; [unrolled: 19-line block ×3, first 2 shown]
	ds_read_b128 v[19:22], v10 offset:19056
	s_waitcnt lgkmcnt(0)
	v_mul_u32_u24_sdwa v28, v19, v11 dst_sel:DWORD dst_unused:UNUSED_PAD src0_sel:WORD_0 src1_sel:DWORD
	v_mul_u32_u24_sdwa v19, v19, v11 dst_sel:DWORD dst_unused:UNUSED_PAD src0_sel:WORD_1 src1_sel:DWORD
	v_mul_u32_u24_sdwa v29, v20, v11 dst_sel:DWORD dst_unused:UNUSED_PAD src0_sel:WORD_0 src1_sel:DWORD
	v_mul_u32_u24_sdwa v20, v20, v11 dst_sel:DWORD dst_unused:UNUSED_PAD src0_sel:WORD_1 src1_sel:DWORD
	v_pk_fma_f16 v26, v23, v28, v26
	v_pk_fma_f16 v19, v23, v19, v27
	;; [unrolled: 1-line block ×4, first 2 shown]
	v_mul_u32_u24_sdwa v20, v21, v11 dst_sel:DWORD dst_unused:UNUSED_PAD src0_sel:WORD_0 src1_sel:DWORD
	v_mul_u32_u24_sdwa v21, v21, v11 dst_sel:DWORD dst_unused:UNUSED_PAD src0_sel:WORD_1 src1_sel:DWORD
	v_mul_u32_u24_sdwa v23, v22, v11 dst_sel:DWORD dst_unused:UNUSED_PAD src0_sel:WORD_0 src1_sel:DWORD
	v_mul_u32_u24_sdwa v22, v22, v11 dst_sel:DWORD dst_unused:UNUSED_PAD src0_sel:WORD_1 src1_sel:DWORD
	v_add_nc_u32_e32 v28, 0x2800, v47
	v_pk_fma_f16 v26, v24, v20, v26
	v_pk_fma_f16 v27, v24, v21, v19
	v_pk_fma_f16 v25, v24, v23, v25
	v_pk_fma_f16 v9, v24, v22, v9
	ds_read2_b32 v[23:24], v28 offset1:32
	ds_read_b128 v[19:22], v10 offset:19072
	s_waitcnt lgkmcnt(0)
	v_mul_u32_u24_sdwa v29, v19, v11 dst_sel:DWORD dst_unused:UNUSED_PAD src0_sel:WORD_0 src1_sel:DWORD
	v_mul_u32_u24_sdwa v19, v19, v11 dst_sel:DWORD dst_unused:UNUSED_PAD src0_sel:WORD_1 src1_sel:DWORD
	v_mul_u32_u24_sdwa v30, v20, v11 dst_sel:DWORD dst_unused:UNUSED_PAD src0_sel:WORD_0 src1_sel:DWORD
	v_mul_u32_u24_sdwa v20, v20, v11 dst_sel:DWORD dst_unused:UNUSED_PAD src0_sel:WORD_1 src1_sel:DWORD
	v_pk_fma_f16 v26, v23, v29, v26
	v_pk_fma_f16 v19, v23, v19, v27
	v_pk_fma_f16 v25, v23, v30, v25
	v_pk_fma_f16 v9, v23, v20, v9
	v_mul_u32_u24_sdwa v20, v21, v11 dst_sel:DWORD dst_unused:UNUSED_PAD src0_sel:WORD_0 src1_sel:DWORD
	v_mul_u32_u24_sdwa v21, v21, v11 dst_sel:DWORD dst_unused:UNUSED_PAD src0_sel:WORD_1 src1_sel:DWORD
	v_mul_u32_u24_sdwa v23, v22, v11 dst_sel:DWORD dst_unused:UNUSED_PAD src0_sel:WORD_0 src1_sel:DWORD
	v_mul_u32_u24_sdwa v22, v22, v11 dst_sel:DWORD dst_unused:UNUSED_PAD src0_sel:WORD_1 src1_sel:DWORD
	v_pk_fma_f16 v26, v24, v20, v26
	v_pk_fma_f16 v27, v24, v21, v19
	v_pk_fma_f16 v25, v24, v23, v25
	v_pk_fma_f16 v9, v24, v22, v9
	ds_read2_b32 v[23:24], v28 offset0:64 offset1:96
	ds_read_b128 v[19:22], v10 offset:19088
	s_waitcnt lgkmcnt(0)
	v_mul_u32_u24_sdwa v29, v19, v11 dst_sel:DWORD dst_unused:UNUSED_PAD src0_sel:WORD_0 src1_sel:DWORD
	v_mul_u32_u24_sdwa v19, v19, v11 dst_sel:DWORD dst_unused:UNUSED_PAD src0_sel:WORD_1 src1_sel:DWORD
	v_mul_u32_u24_sdwa v30, v20, v11 dst_sel:DWORD dst_unused:UNUSED_PAD src0_sel:WORD_0 src1_sel:DWORD
	v_mul_u32_u24_sdwa v20, v20, v11 dst_sel:DWORD dst_unused:UNUSED_PAD src0_sel:WORD_1 src1_sel:DWORD
	v_pk_fma_f16 v26, v23, v29, v26
	v_pk_fma_f16 v19, v23, v19, v27
	v_pk_fma_f16 v25, v23, v30, v25
	v_pk_fma_f16 v9, v23, v20, v9
	v_mul_u32_u24_sdwa v20, v21, v11 dst_sel:DWORD dst_unused:UNUSED_PAD src0_sel:WORD_0 src1_sel:DWORD
	v_mul_u32_u24_sdwa v21, v21, v11 dst_sel:DWORD dst_unused:UNUSED_PAD src0_sel:WORD_1 src1_sel:DWORD
	v_mul_u32_u24_sdwa v23, v22, v11 dst_sel:DWORD dst_unused:UNUSED_PAD src0_sel:WORD_0 src1_sel:DWORD
	v_mul_u32_u24_sdwa v22, v22, v11 dst_sel:DWORD dst_unused:UNUSED_PAD src0_sel:WORD_1 src1_sel:DWORD
	v_pk_fma_f16 v26, v24, v20, v26
	v_pk_fma_f16 v27, v24, v21, v19
	v_pk_fma_f16 v25, v24, v23, v25
	v_pk_fma_f16 v9, v24, v22, v9
	ds_read2_b32 v[23:24], v28 offset0:128 offset1:160
	;; [unrolled: 19-line block ×3, first 2 shown]
	ds_read_b128 v[19:22], v10 offset:19120
	s_waitcnt lgkmcnt(0)
	v_mul_u32_u24_sdwa v28, v19, v11 dst_sel:DWORD dst_unused:UNUSED_PAD src0_sel:WORD_0 src1_sel:DWORD
	v_mul_u32_u24_sdwa v19, v19, v11 dst_sel:DWORD dst_unused:UNUSED_PAD src0_sel:WORD_1 src1_sel:DWORD
	v_mul_u32_u24_sdwa v29, v20, v11 dst_sel:DWORD dst_unused:UNUSED_PAD src0_sel:WORD_0 src1_sel:DWORD
	v_mul_u32_u24_sdwa v20, v20, v11 dst_sel:DWORD dst_unused:UNUSED_PAD src0_sel:WORD_1 src1_sel:DWORD
	v_pk_fma_f16 v26, v23, v28, v26
	v_pk_fma_f16 v19, v23, v19, v27
	;; [unrolled: 1-line block ×4, first 2 shown]
	v_mul_u32_u24_sdwa v20, v21, v11 dst_sel:DWORD dst_unused:UNUSED_PAD src0_sel:WORD_0 src1_sel:DWORD
	v_mul_u32_u24_sdwa v21, v21, v11 dst_sel:DWORD dst_unused:UNUSED_PAD src0_sel:WORD_1 src1_sel:DWORD
	v_mul_u32_u24_sdwa v23, v22, v11 dst_sel:DWORD dst_unused:UNUSED_PAD src0_sel:WORD_0 src1_sel:DWORD
	v_mul_u32_u24_sdwa v22, v22, v11 dst_sel:DWORD dst_unused:UNUSED_PAD src0_sel:WORD_1 src1_sel:DWORD
	v_add_nc_u32_e32 v28, 0x2c00, v47
	v_pk_fma_f16 v26, v24, v20, v26
	v_pk_fma_f16 v27, v24, v21, v19
	;; [unrolled: 1-line block ×4, first 2 shown]
	ds_read2_b32 v[23:24], v28 offset1:32
	ds_read_b128 v[19:22], v10 offset:19136
	s_waitcnt lgkmcnt(0)
	v_mul_u32_u24_sdwa v29, v19, v11 dst_sel:DWORD dst_unused:UNUSED_PAD src0_sel:WORD_0 src1_sel:DWORD
	v_mul_u32_u24_sdwa v19, v19, v11 dst_sel:DWORD dst_unused:UNUSED_PAD src0_sel:WORD_1 src1_sel:DWORD
	v_mul_u32_u24_sdwa v30, v20, v11 dst_sel:DWORD dst_unused:UNUSED_PAD src0_sel:WORD_0 src1_sel:DWORD
	v_mul_u32_u24_sdwa v20, v20, v11 dst_sel:DWORD dst_unused:UNUSED_PAD src0_sel:WORD_1 src1_sel:DWORD
	v_pk_fma_f16 v26, v23, v29, v26
	v_pk_fma_f16 v19, v23, v19, v27
	v_pk_fma_f16 v25, v23, v30, v25
	v_pk_fma_f16 v9, v23, v20, v9
	v_mul_u32_u24_sdwa v20, v21, v11 dst_sel:DWORD dst_unused:UNUSED_PAD src0_sel:WORD_0 src1_sel:DWORD
	v_mul_u32_u24_sdwa v21, v21, v11 dst_sel:DWORD dst_unused:UNUSED_PAD src0_sel:WORD_1 src1_sel:DWORD
	v_mul_u32_u24_sdwa v23, v22, v11 dst_sel:DWORD dst_unused:UNUSED_PAD src0_sel:WORD_0 src1_sel:DWORD
	v_mul_u32_u24_sdwa v22, v22, v11 dst_sel:DWORD dst_unused:UNUSED_PAD src0_sel:WORD_1 src1_sel:DWORD
	v_pk_fma_f16 v26, v24, v20, v26
	v_pk_fma_f16 v27, v24, v21, v19
	v_pk_fma_f16 v25, v24, v23, v25
	v_pk_fma_f16 v9, v24, v22, v9
	ds_read2_b32 v[23:24], v28 offset0:64 offset1:96
	ds_read_b128 v[19:22], v10 offset:19152
	s_waitcnt lgkmcnt(0)
	v_mul_u32_u24_sdwa v29, v19, v11 dst_sel:DWORD dst_unused:UNUSED_PAD src0_sel:WORD_0 src1_sel:DWORD
	v_mul_u32_u24_sdwa v19, v19, v11 dst_sel:DWORD dst_unused:UNUSED_PAD src0_sel:WORD_1 src1_sel:DWORD
	v_mul_u32_u24_sdwa v30, v20, v11 dst_sel:DWORD dst_unused:UNUSED_PAD src0_sel:WORD_0 src1_sel:DWORD
	v_mul_u32_u24_sdwa v20, v20, v11 dst_sel:DWORD dst_unused:UNUSED_PAD src0_sel:WORD_1 src1_sel:DWORD
	v_pk_fma_f16 v26, v23, v29, v26
	v_pk_fma_f16 v19, v23, v19, v27
	v_pk_fma_f16 v25, v23, v30, v25
	v_pk_fma_f16 v9, v23, v20, v9
	v_mul_u32_u24_sdwa v20, v21, v11 dst_sel:DWORD dst_unused:UNUSED_PAD src0_sel:WORD_0 src1_sel:DWORD
	v_mul_u32_u24_sdwa v21, v21, v11 dst_sel:DWORD dst_unused:UNUSED_PAD src0_sel:WORD_1 src1_sel:DWORD
	v_mul_u32_u24_sdwa v23, v22, v11 dst_sel:DWORD dst_unused:UNUSED_PAD src0_sel:WORD_0 src1_sel:DWORD
	v_mul_u32_u24_sdwa v22, v22, v11 dst_sel:DWORD dst_unused:UNUSED_PAD src0_sel:WORD_1 src1_sel:DWORD
	v_pk_fma_f16 v26, v24, v20, v26
	v_pk_fma_f16 v27, v24, v21, v19
	v_pk_fma_f16 v25, v24, v23, v25
	v_pk_fma_f16 v9, v24, v22, v9
	ds_read2_b32 v[23:24], v28 offset0:128 offset1:160
	;; [unrolled: 19-line block ×3, first 2 shown]
	ds_read_b128 v[19:22], v10 offset:19184
	s_waitcnt lgkmcnt(0)
	v_mul_u32_u24_sdwa v28, v19, v11 dst_sel:DWORD dst_unused:UNUSED_PAD src0_sel:WORD_0 src1_sel:DWORD
	v_mul_u32_u24_sdwa v19, v19, v11 dst_sel:DWORD dst_unused:UNUSED_PAD src0_sel:WORD_1 src1_sel:DWORD
	v_mul_u32_u24_sdwa v29, v20, v11 dst_sel:DWORD dst_unused:UNUSED_PAD src0_sel:WORD_0 src1_sel:DWORD
	v_mul_u32_u24_sdwa v20, v20, v11 dst_sel:DWORD dst_unused:UNUSED_PAD src0_sel:WORD_1 src1_sel:DWORD
	v_pk_fma_f16 v26, v23, v28, v26
	v_pk_fma_f16 v19, v23, v19, v27
	;; [unrolled: 1-line block ×4, first 2 shown]
	v_mul_u32_u24_sdwa v20, v21, v11 dst_sel:DWORD dst_unused:UNUSED_PAD src0_sel:WORD_0 src1_sel:DWORD
	v_mul_u32_u24_sdwa v21, v21, v11 dst_sel:DWORD dst_unused:UNUSED_PAD src0_sel:WORD_1 src1_sel:DWORD
	v_mul_u32_u24_sdwa v23, v22, v11 dst_sel:DWORD dst_unused:UNUSED_PAD src0_sel:WORD_0 src1_sel:DWORD
	v_mul_u32_u24_sdwa v22, v22, v11 dst_sel:DWORD dst_unused:UNUSED_PAD src0_sel:WORD_1 src1_sel:DWORD
	v_add_nc_u32_e32 v28, 0x3000, v47
	v_pk_fma_f16 v26, v24, v20, v26
	v_pk_fma_f16 v27, v24, v21, v19
	;; [unrolled: 1-line block ×4, first 2 shown]
	ds_read2_b32 v[23:24], v28 offset1:32
	ds_read_b128 v[19:22], v10 offset:19200
	s_waitcnt lgkmcnt(0)
	v_mul_u32_u24_sdwa v29, v19, v11 dst_sel:DWORD dst_unused:UNUSED_PAD src0_sel:WORD_0 src1_sel:DWORD
	v_mul_u32_u24_sdwa v19, v19, v11 dst_sel:DWORD dst_unused:UNUSED_PAD src0_sel:WORD_1 src1_sel:DWORD
	v_mul_u32_u24_sdwa v30, v20, v11 dst_sel:DWORD dst_unused:UNUSED_PAD src0_sel:WORD_0 src1_sel:DWORD
	v_mul_u32_u24_sdwa v20, v20, v11 dst_sel:DWORD dst_unused:UNUSED_PAD src0_sel:WORD_1 src1_sel:DWORD
	v_pk_fma_f16 v26, v23, v29, v26
	v_pk_fma_f16 v19, v23, v19, v27
	v_pk_fma_f16 v25, v23, v30, v25
	v_pk_fma_f16 v9, v23, v20, v9
	v_mul_u32_u24_sdwa v20, v21, v11 dst_sel:DWORD dst_unused:UNUSED_PAD src0_sel:WORD_0 src1_sel:DWORD
	v_mul_u32_u24_sdwa v21, v21, v11 dst_sel:DWORD dst_unused:UNUSED_PAD src0_sel:WORD_1 src1_sel:DWORD
	v_mul_u32_u24_sdwa v23, v22, v11 dst_sel:DWORD dst_unused:UNUSED_PAD src0_sel:WORD_0 src1_sel:DWORD
	v_mul_u32_u24_sdwa v22, v22, v11 dst_sel:DWORD dst_unused:UNUSED_PAD src0_sel:WORD_1 src1_sel:DWORD
	v_pk_fma_f16 v26, v24, v20, v26
	v_pk_fma_f16 v27, v24, v21, v19
	v_pk_fma_f16 v25, v24, v23, v25
	v_pk_fma_f16 v9, v24, v22, v9
	ds_read2_b32 v[23:24], v28 offset0:64 offset1:96
	ds_read_b128 v[19:22], v10 offset:19216
	s_waitcnt lgkmcnt(0)
	v_mul_u32_u24_sdwa v29, v19, v11 dst_sel:DWORD dst_unused:UNUSED_PAD src0_sel:WORD_0 src1_sel:DWORD
	v_mul_u32_u24_sdwa v19, v19, v11 dst_sel:DWORD dst_unused:UNUSED_PAD src0_sel:WORD_1 src1_sel:DWORD
	v_mul_u32_u24_sdwa v30, v20, v11 dst_sel:DWORD dst_unused:UNUSED_PAD src0_sel:WORD_0 src1_sel:DWORD
	v_mul_u32_u24_sdwa v20, v20, v11 dst_sel:DWORD dst_unused:UNUSED_PAD src0_sel:WORD_1 src1_sel:DWORD
	v_pk_fma_f16 v26, v23, v29, v26
	v_pk_fma_f16 v19, v23, v19, v27
	v_pk_fma_f16 v25, v23, v30, v25
	v_pk_fma_f16 v9, v23, v20, v9
	v_mul_u32_u24_sdwa v20, v21, v11 dst_sel:DWORD dst_unused:UNUSED_PAD src0_sel:WORD_0 src1_sel:DWORD
	v_mul_u32_u24_sdwa v21, v21, v11 dst_sel:DWORD dst_unused:UNUSED_PAD src0_sel:WORD_1 src1_sel:DWORD
	v_mul_u32_u24_sdwa v23, v22, v11 dst_sel:DWORD dst_unused:UNUSED_PAD src0_sel:WORD_0 src1_sel:DWORD
	v_mul_u32_u24_sdwa v22, v22, v11 dst_sel:DWORD dst_unused:UNUSED_PAD src0_sel:WORD_1 src1_sel:DWORD
	v_pk_fma_f16 v26, v24, v20, v26
	v_pk_fma_f16 v27, v24, v21, v19
	v_pk_fma_f16 v25, v24, v23, v25
	v_pk_fma_f16 v9, v24, v22, v9
	ds_read2_b32 v[23:24], v28 offset0:128 offset1:160
	;; [unrolled: 19-line block ×3, first 2 shown]
	ds_read_b128 v[19:22], v10 offset:19248
	s_waitcnt lgkmcnt(0)
	v_mul_u32_u24_sdwa v28, v19, v11 dst_sel:DWORD dst_unused:UNUSED_PAD src0_sel:WORD_0 src1_sel:DWORD
	v_mul_u32_u24_sdwa v19, v19, v11 dst_sel:DWORD dst_unused:UNUSED_PAD src0_sel:WORD_1 src1_sel:DWORD
	v_mul_u32_u24_sdwa v29, v20, v11 dst_sel:DWORD dst_unused:UNUSED_PAD src0_sel:WORD_0 src1_sel:DWORD
	v_mul_u32_u24_sdwa v20, v20, v11 dst_sel:DWORD dst_unused:UNUSED_PAD src0_sel:WORD_1 src1_sel:DWORD
	v_pk_fma_f16 v26, v23, v28, v26
	v_pk_fma_f16 v19, v23, v19, v27
	;; [unrolled: 1-line block ×4, first 2 shown]
	v_mul_u32_u24_sdwa v20, v21, v11 dst_sel:DWORD dst_unused:UNUSED_PAD src0_sel:WORD_0 src1_sel:DWORD
	v_mul_u32_u24_sdwa v21, v21, v11 dst_sel:DWORD dst_unused:UNUSED_PAD src0_sel:WORD_1 src1_sel:DWORD
	v_mul_u32_u24_sdwa v23, v22, v11 dst_sel:DWORD dst_unused:UNUSED_PAD src0_sel:WORD_0 src1_sel:DWORD
	v_mul_u32_u24_sdwa v22, v22, v11 dst_sel:DWORD dst_unused:UNUSED_PAD src0_sel:WORD_1 src1_sel:DWORD
	v_add_nc_u32_e32 v28, 0x3400, v47
	v_pk_fma_f16 v26, v24, v20, v26
	v_pk_fma_f16 v27, v24, v21, v19
	;; [unrolled: 1-line block ×4, first 2 shown]
	ds_read2_b32 v[23:24], v28 offset1:32
	ds_read_b128 v[19:22], v10 offset:19264
	s_waitcnt lgkmcnt(0)
	v_mul_u32_u24_sdwa v29, v19, v11 dst_sel:DWORD dst_unused:UNUSED_PAD src0_sel:WORD_0 src1_sel:DWORD
	v_mul_u32_u24_sdwa v19, v19, v11 dst_sel:DWORD dst_unused:UNUSED_PAD src0_sel:WORD_1 src1_sel:DWORD
	v_mul_u32_u24_sdwa v30, v20, v11 dst_sel:DWORD dst_unused:UNUSED_PAD src0_sel:WORD_0 src1_sel:DWORD
	v_mul_u32_u24_sdwa v20, v20, v11 dst_sel:DWORD dst_unused:UNUSED_PAD src0_sel:WORD_1 src1_sel:DWORD
	v_pk_fma_f16 v26, v23, v29, v26
	v_pk_fma_f16 v19, v23, v19, v27
	v_pk_fma_f16 v25, v23, v30, v25
	v_pk_fma_f16 v9, v23, v20, v9
	v_mul_u32_u24_sdwa v20, v21, v11 dst_sel:DWORD dst_unused:UNUSED_PAD src0_sel:WORD_0 src1_sel:DWORD
	v_mul_u32_u24_sdwa v21, v21, v11 dst_sel:DWORD dst_unused:UNUSED_PAD src0_sel:WORD_1 src1_sel:DWORD
	v_mul_u32_u24_sdwa v23, v22, v11 dst_sel:DWORD dst_unused:UNUSED_PAD src0_sel:WORD_0 src1_sel:DWORD
	v_mul_u32_u24_sdwa v22, v22, v11 dst_sel:DWORD dst_unused:UNUSED_PAD src0_sel:WORD_1 src1_sel:DWORD
	v_pk_fma_f16 v26, v24, v20, v26
	v_pk_fma_f16 v27, v24, v21, v19
	v_pk_fma_f16 v25, v24, v23, v25
	v_pk_fma_f16 v9, v24, v22, v9
	ds_read2_b32 v[23:24], v28 offset0:64 offset1:96
	ds_read_b128 v[19:22], v10 offset:19280
	s_waitcnt lgkmcnt(0)
	v_mul_u32_u24_sdwa v29, v19, v11 dst_sel:DWORD dst_unused:UNUSED_PAD src0_sel:WORD_0 src1_sel:DWORD
	v_mul_u32_u24_sdwa v19, v19, v11 dst_sel:DWORD dst_unused:UNUSED_PAD src0_sel:WORD_1 src1_sel:DWORD
	v_mul_u32_u24_sdwa v30, v20, v11 dst_sel:DWORD dst_unused:UNUSED_PAD src0_sel:WORD_0 src1_sel:DWORD
	v_mul_u32_u24_sdwa v20, v20, v11 dst_sel:DWORD dst_unused:UNUSED_PAD src0_sel:WORD_1 src1_sel:DWORD
	v_pk_fma_f16 v26, v23, v29, v26
	v_pk_fma_f16 v19, v23, v19, v27
	v_pk_fma_f16 v25, v23, v30, v25
	v_pk_fma_f16 v9, v23, v20, v9
	v_mul_u32_u24_sdwa v20, v21, v11 dst_sel:DWORD dst_unused:UNUSED_PAD src0_sel:WORD_0 src1_sel:DWORD
	v_mul_u32_u24_sdwa v21, v21, v11 dst_sel:DWORD dst_unused:UNUSED_PAD src0_sel:WORD_1 src1_sel:DWORD
	v_mul_u32_u24_sdwa v23, v22, v11 dst_sel:DWORD dst_unused:UNUSED_PAD src0_sel:WORD_0 src1_sel:DWORD
	v_mul_u32_u24_sdwa v22, v22, v11 dst_sel:DWORD dst_unused:UNUSED_PAD src0_sel:WORD_1 src1_sel:DWORD
	v_pk_fma_f16 v26, v24, v20, v26
	v_pk_fma_f16 v27, v24, v21, v19
	v_pk_fma_f16 v25, v24, v23, v25
	v_pk_fma_f16 v9, v24, v22, v9
	ds_read2_b32 v[23:24], v28 offset0:128 offset1:160
	;; [unrolled: 19-line block ×3, first 2 shown]
	ds_read_b128 v[19:22], v10 offset:19312
	s_waitcnt lgkmcnt(0)
	v_mul_u32_u24_sdwa v28, v19, v11 dst_sel:DWORD dst_unused:UNUSED_PAD src0_sel:WORD_0 src1_sel:DWORD
	v_mul_u32_u24_sdwa v19, v19, v11 dst_sel:DWORD dst_unused:UNUSED_PAD src0_sel:WORD_1 src1_sel:DWORD
	v_mul_u32_u24_sdwa v29, v20, v11 dst_sel:DWORD dst_unused:UNUSED_PAD src0_sel:WORD_0 src1_sel:DWORD
	v_mul_u32_u24_sdwa v20, v20, v11 dst_sel:DWORD dst_unused:UNUSED_PAD src0_sel:WORD_1 src1_sel:DWORD
	v_pk_fma_f16 v26, v23, v28, v26
	v_pk_fma_f16 v19, v23, v19, v27
	;; [unrolled: 1-line block ×4, first 2 shown]
	v_mul_u32_u24_sdwa v20, v21, v11 dst_sel:DWORD dst_unused:UNUSED_PAD src0_sel:WORD_0 src1_sel:DWORD
	v_mul_u32_u24_sdwa v21, v21, v11 dst_sel:DWORD dst_unused:UNUSED_PAD src0_sel:WORD_1 src1_sel:DWORD
	v_mul_u32_u24_sdwa v23, v22, v11 dst_sel:DWORD dst_unused:UNUSED_PAD src0_sel:WORD_0 src1_sel:DWORD
	v_mul_u32_u24_sdwa v22, v22, v11 dst_sel:DWORD dst_unused:UNUSED_PAD src0_sel:WORD_1 src1_sel:DWORD
	v_add_nc_u32_e32 v28, 0x3800, v47
	v_pk_fma_f16 v26, v24, v20, v26
	v_pk_fma_f16 v27, v24, v21, v19
	;; [unrolled: 1-line block ×4, first 2 shown]
	ds_read2_b32 v[23:24], v28 offset1:32
	ds_read_b128 v[19:22], v10 offset:19328
	s_waitcnt lgkmcnt(0)
	v_mul_u32_u24_sdwa v29, v19, v11 dst_sel:DWORD dst_unused:UNUSED_PAD src0_sel:WORD_0 src1_sel:DWORD
	v_mul_u32_u24_sdwa v19, v19, v11 dst_sel:DWORD dst_unused:UNUSED_PAD src0_sel:WORD_1 src1_sel:DWORD
	v_mul_u32_u24_sdwa v30, v20, v11 dst_sel:DWORD dst_unused:UNUSED_PAD src0_sel:WORD_0 src1_sel:DWORD
	v_mul_u32_u24_sdwa v20, v20, v11 dst_sel:DWORD dst_unused:UNUSED_PAD src0_sel:WORD_1 src1_sel:DWORD
	v_pk_fma_f16 v26, v23, v29, v26
	v_pk_fma_f16 v19, v23, v19, v27
	v_pk_fma_f16 v25, v23, v30, v25
	v_pk_fma_f16 v9, v23, v20, v9
	v_mul_u32_u24_sdwa v20, v21, v11 dst_sel:DWORD dst_unused:UNUSED_PAD src0_sel:WORD_0 src1_sel:DWORD
	v_mul_u32_u24_sdwa v21, v21, v11 dst_sel:DWORD dst_unused:UNUSED_PAD src0_sel:WORD_1 src1_sel:DWORD
	v_mul_u32_u24_sdwa v23, v22, v11 dst_sel:DWORD dst_unused:UNUSED_PAD src0_sel:WORD_0 src1_sel:DWORD
	v_mul_u32_u24_sdwa v22, v22, v11 dst_sel:DWORD dst_unused:UNUSED_PAD src0_sel:WORD_1 src1_sel:DWORD
	v_pk_fma_f16 v26, v24, v20, v26
	v_pk_fma_f16 v27, v24, v21, v19
	v_pk_fma_f16 v25, v24, v23, v25
	v_pk_fma_f16 v9, v24, v22, v9
	ds_read2_b32 v[23:24], v28 offset0:64 offset1:96
	ds_read_b128 v[19:22], v10 offset:19344
	s_waitcnt lgkmcnt(0)
	v_mul_u32_u24_sdwa v29, v19, v11 dst_sel:DWORD dst_unused:UNUSED_PAD src0_sel:WORD_0 src1_sel:DWORD
	v_mul_u32_u24_sdwa v19, v19, v11 dst_sel:DWORD dst_unused:UNUSED_PAD src0_sel:WORD_1 src1_sel:DWORD
	v_mul_u32_u24_sdwa v30, v20, v11 dst_sel:DWORD dst_unused:UNUSED_PAD src0_sel:WORD_0 src1_sel:DWORD
	v_mul_u32_u24_sdwa v20, v20, v11 dst_sel:DWORD dst_unused:UNUSED_PAD src0_sel:WORD_1 src1_sel:DWORD
	v_pk_fma_f16 v26, v23, v29, v26
	v_pk_fma_f16 v19, v23, v19, v27
	v_pk_fma_f16 v25, v23, v30, v25
	v_pk_fma_f16 v9, v23, v20, v9
	v_mul_u32_u24_sdwa v20, v21, v11 dst_sel:DWORD dst_unused:UNUSED_PAD src0_sel:WORD_0 src1_sel:DWORD
	v_mul_u32_u24_sdwa v21, v21, v11 dst_sel:DWORD dst_unused:UNUSED_PAD src0_sel:WORD_1 src1_sel:DWORD
	v_mul_u32_u24_sdwa v23, v22, v11 dst_sel:DWORD dst_unused:UNUSED_PAD src0_sel:WORD_0 src1_sel:DWORD
	v_mul_u32_u24_sdwa v22, v22, v11 dst_sel:DWORD dst_unused:UNUSED_PAD src0_sel:WORD_1 src1_sel:DWORD
	v_pk_fma_f16 v26, v24, v20, v26
	v_pk_fma_f16 v27, v24, v21, v19
	v_pk_fma_f16 v25, v24, v23, v25
	v_pk_fma_f16 v9, v24, v22, v9
	ds_read2_b32 v[23:24], v28 offset0:128 offset1:160
	;; [unrolled: 19-line block ×3, first 2 shown]
	ds_read_b128 v[19:22], v10 offset:19376
	s_waitcnt lgkmcnt(0)
	v_mul_u32_u24_sdwa v28, v19, v11 dst_sel:DWORD dst_unused:UNUSED_PAD src0_sel:WORD_0 src1_sel:DWORD
	v_mul_u32_u24_sdwa v19, v19, v11 dst_sel:DWORD dst_unused:UNUSED_PAD src0_sel:WORD_1 src1_sel:DWORD
	v_mul_u32_u24_sdwa v29, v20, v11 dst_sel:DWORD dst_unused:UNUSED_PAD src0_sel:WORD_0 src1_sel:DWORD
	v_mul_u32_u24_sdwa v20, v20, v11 dst_sel:DWORD dst_unused:UNUSED_PAD src0_sel:WORD_1 src1_sel:DWORD
	v_pk_fma_f16 v26, v23, v28, v26
	v_pk_fma_f16 v19, v23, v19, v27
	;; [unrolled: 1-line block ×4, first 2 shown]
	v_mul_u32_u24_sdwa v20, v21, v11 dst_sel:DWORD dst_unused:UNUSED_PAD src0_sel:WORD_0 src1_sel:DWORD
	v_mul_u32_u24_sdwa v21, v21, v11 dst_sel:DWORD dst_unused:UNUSED_PAD src0_sel:WORD_1 src1_sel:DWORD
	v_mul_u32_u24_sdwa v23, v22, v11 dst_sel:DWORD dst_unused:UNUSED_PAD src0_sel:WORD_0 src1_sel:DWORD
	v_mul_u32_u24_sdwa v22, v22, v11 dst_sel:DWORD dst_unused:UNUSED_PAD src0_sel:WORD_1 src1_sel:DWORD
	v_add_nc_u32_e32 v28, 0x3c00, v47
	v_pk_fma_f16 v26, v24, v20, v26
	v_pk_fma_f16 v27, v24, v21, v19
	v_pk_fma_f16 v25, v24, v23, v25
	v_pk_fma_f16 v9, v24, v22, v9
	ds_read2_b32 v[23:24], v28 offset1:32
	ds_read_b128 v[19:22], v10 offset:19392
	s_waitcnt lgkmcnt(0)
	v_mul_u32_u24_sdwa v29, v19, v11 dst_sel:DWORD dst_unused:UNUSED_PAD src0_sel:WORD_0 src1_sel:DWORD
	v_mul_u32_u24_sdwa v19, v19, v11 dst_sel:DWORD dst_unused:UNUSED_PAD src0_sel:WORD_1 src1_sel:DWORD
	v_mul_u32_u24_sdwa v30, v20, v11 dst_sel:DWORD dst_unused:UNUSED_PAD src0_sel:WORD_0 src1_sel:DWORD
	v_mul_u32_u24_sdwa v20, v20, v11 dst_sel:DWORD dst_unused:UNUSED_PAD src0_sel:WORD_1 src1_sel:DWORD
	v_pk_fma_f16 v26, v23, v29, v26
	v_pk_fma_f16 v19, v23, v19, v27
	v_pk_fma_f16 v25, v23, v30, v25
	v_pk_fma_f16 v9, v23, v20, v9
	v_mul_u32_u24_sdwa v20, v21, v11 dst_sel:DWORD dst_unused:UNUSED_PAD src0_sel:WORD_0 src1_sel:DWORD
	v_mul_u32_u24_sdwa v21, v21, v11 dst_sel:DWORD dst_unused:UNUSED_PAD src0_sel:WORD_1 src1_sel:DWORD
	v_mul_u32_u24_sdwa v23, v22, v11 dst_sel:DWORD dst_unused:UNUSED_PAD src0_sel:WORD_0 src1_sel:DWORD
	v_mul_u32_u24_sdwa v22, v22, v11 dst_sel:DWORD dst_unused:UNUSED_PAD src0_sel:WORD_1 src1_sel:DWORD
	v_pk_fma_f16 v26, v24, v20, v26
	v_pk_fma_f16 v27, v24, v21, v19
	v_pk_fma_f16 v25, v24, v23, v25
	v_pk_fma_f16 v9, v24, v22, v9
	ds_read2_b32 v[23:24], v28 offset0:64 offset1:96
	ds_read_b128 v[19:22], v10 offset:19408
	s_waitcnt lgkmcnt(0)
	v_mul_u32_u24_sdwa v29, v19, v11 dst_sel:DWORD dst_unused:UNUSED_PAD src0_sel:WORD_0 src1_sel:DWORD
	v_mul_u32_u24_sdwa v19, v19, v11 dst_sel:DWORD dst_unused:UNUSED_PAD src0_sel:WORD_1 src1_sel:DWORD
	v_mul_u32_u24_sdwa v30, v20, v11 dst_sel:DWORD dst_unused:UNUSED_PAD src0_sel:WORD_0 src1_sel:DWORD
	v_mul_u32_u24_sdwa v20, v20, v11 dst_sel:DWORD dst_unused:UNUSED_PAD src0_sel:WORD_1 src1_sel:DWORD
	v_pk_fma_f16 v26, v23, v29, v26
	v_pk_fma_f16 v19, v23, v19, v27
	v_pk_fma_f16 v25, v23, v30, v25
	v_pk_fma_f16 v9, v23, v20, v9
	v_mul_u32_u24_sdwa v20, v21, v11 dst_sel:DWORD dst_unused:UNUSED_PAD src0_sel:WORD_0 src1_sel:DWORD
	v_mul_u32_u24_sdwa v21, v21, v11 dst_sel:DWORD dst_unused:UNUSED_PAD src0_sel:WORD_1 src1_sel:DWORD
	v_mul_u32_u24_sdwa v23, v22, v11 dst_sel:DWORD dst_unused:UNUSED_PAD src0_sel:WORD_0 src1_sel:DWORD
	v_mul_u32_u24_sdwa v22, v22, v11 dst_sel:DWORD dst_unused:UNUSED_PAD src0_sel:WORD_1 src1_sel:DWORD
	v_pk_fma_f16 v26, v24, v20, v26
	v_pk_fma_f16 v27, v24, v21, v19
	v_pk_fma_f16 v25, v24, v23, v25
	v_pk_fma_f16 v9, v24, v22, v9
	ds_read2_b32 v[23:24], v28 offset0:128 offset1:160
	;; [unrolled: 19-line block ×3, first 2 shown]
	ds_read_b128 v[19:22], v10 offset:19440
	s_waitcnt lgkmcnt(0)
	s_barrier
	buffer_gl0_inv
	v_mul_u32_u24_sdwa v10, v19, v11 dst_sel:DWORD dst_unused:UNUSED_PAD src0_sel:WORD_0 src1_sel:DWORD
	v_mul_u32_u24_sdwa v19, v19, v11 dst_sel:DWORD dst_unused:UNUSED_PAD src0_sel:WORD_1 src1_sel:DWORD
	v_mul_u32_u24_sdwa v28, v20, v11 dst_sel:DWORD dst_unused:UNUSED_PAD src0_sel:WORD_0 src1_sel:DWORD
	v_mul_u32_u24_sdwa v20, v20, v11 dst_sel:DWORD dst_unused:UNUSED_PAD src0_sel:WORD_1 src1_sel:DWORD
	v_pk_fma_f16 v10, v23, v10, v26
	v_pk_fma_f16 v19, v23, v19, v27
	;; [unrolled: 1-line block ×4, first 2 shown]
	v_mul_u32_u24_sdwa v20, v21, v11 dst_sel:DWORD dst_unused:UNUSED_PAD src0_sel:WORD_0 src1_sel:DWORD
	v_mul_u32_u24_sdwa v21, v21, v11 dst_sel:DWORD dst_unused:UNUSED_PAD src0_sel:WORD_1 src1_sel:DWORD
	v_mul_u32_u24_sdwa v23, v22, v11 dst_sel:DWORD dst_unused:UNUSED_PAD src0_sel:WORD_0 src1_sel:DWORD
	v_mul_u32_u24_sdwa v11, v22, v11 dst_sel:DWORD dst_unused:UNUSED_PAD src0_sel:WORD_1 src1_sel:DWORD
	v_pk_fma_f16 v50, v24, v20, v10
	v_pk_fma_f16 v49, v24, v21, v19
	;; [unrolled: 1-line block ×4, first 2 shown]
	v_mov_b32_e32 v9, v5
	v_mov_b32_e32 v8, v4
	;; [unrolled: 1-line block ×4, first 2 shown]
.LBB59_128:
	v_cmp_lt_i32_e32 vcc_lo, v18, v17
	s_cmp_eq_u64 s[20:21], 0
	s_cselect_b32 s6, -1, 0
	s_cmp_lg_u32 s34, 0
	v_cndmask_b32_e32 v1, v46, v18, vcc_lo
	v_cmp_lt_i32_e32 vcc_lo, v15, v17
	s_cselect_b32 s7, -1, 0
	s_or_b32 s6, s7, s6
	v_lshlrev_b32_e32 v1, 2, v1
	v_cndmask_b32_e32 v5, v46, v15, vcc_lo
	v_cmp_lt_i32_e32 vcc_lo, v14, v17
	ds_bpermute_b32 v2, v1, v88
	ds_bpermute_b32 v3, v1, v90
	;; [unrolled: 1-line block ×4, first 2 shown]
	v_lshlrev_b32_e32 v5, 2, v5
	v_cndmask_b32_e32 v14, v46, v14, vcc_lo
	v_cmp_lt_i32_e32 vcc_lo, v13, v17
	v_lshlrev_b32_e32 v14, 2, v14
	v_cndmask_b32_e32 v13, v46, v13, vcc_lo
	v_cmp_lt_i32_e32 vcc_lo, v12, v17
	v_lshlrev_b32_e32 v13, 2, v13
	v_cndmask_b32_e32 v12, v46, v12, vcc_lo
	s_and_b32 vcc_lo, exec_lo, s6
	s_waitcnt lgkmcnt(3)
	v_add_f32_e32 v2, v88, v2
	s_waitcnt lgkmcnt(2)
	v_add_f32_e32 v3, v90, v3
	;; [unrolled: 2-line block ×4, first 2 shown]
	v_lshlrev_b32_e32 v12, 2, v12
	ds_bpermute_b32 v10, v5, v2
	ds_bpermute_b32 v11, v5, v3
	ds_bpermute_b32 v15, v5, v4
	ds_bpermute_b32 v5, v5, v1
	s_waitcnt lgkmcnt(3)
	v_add_f32_e32 v2, v2, v10
	s_waitcnt lgkmcnt(2)
	v_add_f32_e32 v3, v3, v11
	s_waitcnt lgkmcnt(1)
	v_add_f32_e32 v4, v4, v15
	s_waitcnt lgkmcnt(0)
	v_add_f32_e32 v1, v1, v5
	ds_bpermute_b32 v5, v14, v2
	ds_bpermute_b32 v10, v14, v3
	ds_bpermute_b32 v11, v14, v4
	ds_bpermute_b32 v14, v14, v1
	s_waitcnt lgkmcnt(3)
	v_add_f32_e32 v2, v2, v5
	s_waitcnt lgkmcnt(2)
	v_add_f32_e32 v3, v3, v10
	s_waitcnt lgkmcnt(1)
	v_add_f32_e32 v4, v4, v11
	s_waitcnt lgkmcnt(0)
	v_add_f32_e32 v1, v1, v14
	;; [unrolled: 12-line block ×4, first 2 shown]
	s_cbranch_vccnz .LBB59_131
; %bb.129:
	s_lshl_b64 s[6:7], s[44:45], 2
	v_mov_b32_e32 v5, 0
	s_add_u32 s6, s20, s6
	s_addc_u32 s7, s21, s7
	v_max_f32_e32 v10, v6, v6
	v_max_f32_e32 v12, v7, v7
	global_load_dword v5, v5, s[6:7]
	v_max_f32_e32 v13, v8, v8
	v_max_f32_e32 v14, v9, v9
	v_mov_b32_e32 v15, 0x10001
	s_waitcnt vmcnt(0)
	v_max_f32_e32 v11, v5, v5
	v_max_f32_e32 v17, v10, v11
	;; [unrolled: 1-line block ×5, first 2 shown]
	v_sub_f32_e32 v6, v6, v17
	v_sub_f32_e32 v10, v5, v17
	;; [unrolled: 1-line block ×5, first 2 shown]
	v_mul_f32_e32 v13, 0x3fb8aa3b, v6
	v_mul_f32_e32 v14, 0x3fb8aa3b, v10
	;; [unrolled: 1-line block ×4, first 2 shown]
	v_sub_f32_e32 v12, v5, v19
	v_fma_f32 v27, 0x3fb8aa3b, v6, -v13
	v_rndne_f32_e32 v28, v13
	v_fma_f32 v29, 0x3fb8aa3b, v10, -v14
	v_rndne_f32_e32 v30, v14
	v_fma_f32 v31, 0x3fb8aa3b, v7, -v21
	v_fmac_f32_e32 v27, 0x32a5705f, v6
	v_sub_f32_e32 v13, v13, v28
	v_rndne_f32_e32 v32, v21
	v_fmac_f32_e32 v29, 0x32a5705f, v10
	v_sub_f32_e32 v14, v14, v30
	v_mul_f32_e32 v23, 0x3fb8aa3b, v8
	v_add_f32_e32 v13, v13, v27
	v_fma_f32 v33, 0x3fb8aa3b, v11, -v22
	v_rndne_f32_e32 v34, v22
	v_fmac_f32_e32 v31, 0x32a5705f, v7
	v_sub_f32_e32 v21, v21, v32
	v_add_f32_e32 v14, v14, v29
	v_exp_f32_e32 v13, v13
	v_sub_f32_e32 v9, v9, v20
	v_mul_f32_e32 v24, 0x3fb8aa3b, v12
	v_fma_f32 v35, 0x3fb8aa3b, v8, -v23
	v_rndne_f32_e32 v36, v23
	v_cvt_i32_f32_e32 v28, v28
	v_fmac_f32_e32 v33, 0x32a5705f, v11
	v_sub_f32_e32 v22, v22, v34
	v_add_f32_e32 v21, v21, v31
	v_exp_f32_e32 v14, v14
	v_sub_f32_e32 v5, v5, v20
	v_mul_f32_e32 v25, 0x3fb8aa3b, v9
	v_fma_f32 v37, 0x3fb8aa3b, v12, -v24
	v_rndne_f32_e32 v46, v24
	v_cvt_i32_f32_e32 v30, v30
	v_fmac_f32_e32 v35, 0x32a5705f, v8
	v_sub_f32_e32 v23, v23, v36
	v_add_f32_e32 v22, v22, v33
	v_exp_f32_e32 v21, v21
	v_ldexp_f32 v13, v13, v28
	v_cmp_ngt_f32_e32 vcc_lo, 0xc2ce8ed0, v6
	v_mul_f32_e32 v26, 0x3fb8aa3b, v5
	v_fma_f32 v47, 0x3fb8aa3b, v9, -v25
	v_rndne_f32_e32 v51, v25
	v_cvt_i32_f32_e32 v32, v32
	v_fmac_f32_e32 v37, 0x32a5705f, v12
	v_sub_f32_e32 v24, v24, v46
	v_add_f32_e32 v23, v23, v35
	v_exp_f32_e32 v22, v22
	v_ldexp_f32 v14, v14, v30
	v_cndmask_b32_e32 v13, 0, v13, vcc_lo
	v_cmp_ngt_f32_e32 vcc_lo, 0xc2ce8ed0, v10
	v_fma_f32 v52, 0x3fb8aa3b, v5, -v26
	v_rndne_f32_e32 v53, v26
	v_cvt_i32_f32_e32 v34, v34
	v_fmac_f32_e32 v47, 0x32a5705f, v9
	v_sub_f32_e32 v25, v25, v51
	v_add_f32_e32 v24, v24, v37
	v_exp_f32_e32 v23, v23
	v_ldexp_f32 v21, v21, v32
	v_cndmask_b32_e32 v14, 0, v14, vcc_lo
	v_cmp_ngt_f32_e32 vcc_lo, 0xc2ce8ed0, v7
	v_cvt_i32_f32_e32 v36, v36
	v_fmac_f32_e32 v52, 0x32a5705f, v5
	v_sub_f32_e32 v26, v26, v53
	v_add_f32_e32 v25, v25, v47
	v_exp_f32_e32 v24, v24
	v_ldexp_f32 v22, v22, v34
	v_cndmask_b32_e32 v21, 0, v21, vcc_lo
	v_cmp_ngt_f32_e32 vcc_lo, 0xc2ce8ed0, v11
	v_cvt_i32_f32_e32 v46, v46
	v_add_f32_e32 v26, v26, v52
	v_exp_f32_e32 v25, v25
	v_ldexp_f32 v23, v23, v36
	v_cndmask_b32_e32 v22, 0, v22, vcc_lo
	v_cmp_ngt_f32_e32 vcc_lo, 0xc2ce8ed0, v8
	v_exp_f32_e32 v26, v26
	v_cvt_i32_f32_e32 v27, v51
	v_ldexp_f32 v24, v24, v46
	v_cvt_i32_f32_e32 v29, v53
	v_cndmask_b32_e32 v23, 0, v23, vcc_lo
	v_cmp_ngt_f32_e32 vcc_lo, 0xc2ce8ed0, v12
	v_ldexp_f32 v25, v25, v27
	v_cndmask_b32_e32 v24, 0, v24, vcc_lo
	v_cmp_ngt_f32_e32 vcc_lo, 0xc2ce8ed0, v9
	v_ldexp_f32 v26, v26, v29
	v_cndmask_b32_e32 v25, 0, v25, vcc_lo
	v_cmp_ngt_f32_e32 vcc_lo, 0xc2ce8ed0, v5
	v_cndmask_b32_e32 v26, 0, v26, vcc_lo
	v_cmp_nlt_f32_e32 vcc_lo, 0x42b17218, v6
	v_cndmask_b32_e32 v6, 0x7f800000, v13, vcc_lo
	v_cmp_nlt_f32_e32 vcc_lo, 0x42b17218, v10
	v_cndmask_b32_e32 v10, 0x7f800000, v14, vcc_lo
	v_cmp_nlt_f32_e32 vcc_lo, 0x42b17218, v7
	v_fmac_f32_e32 v10, v1, v6
	v_cndmask_b32_e32 v7, 0x7f800000, v21, vcc_lo
	v_cmp_nlt_f32_e32 vcc_lo, 0x42b17218, v11
	v_cvt_f16_f32_e32 v1, v6
	v_cndmask_b32_e32 v11, 0x7f800000, v22, vcc_lo
	v_cmp_nlt_f32_e32 vcc_lo, 0x42b17218, v8
	v_mul_u32_u24_sdwa v6, v1, v15 dst_sel:DWORD dst_unused:UNUSED_PAD src0_sel:WORD_0 src1_sel:DWORD
	v_fmac_f32_e32 v11, v2, v7
	v_cndmask_b32_e32 v8, 0x7f800000, v23, vcc_lo
	v_cmp_nlt_f32_e32 vcc_lo, 0x42b17218, v12
	v_cvt_f16_f32_e32 v2, v7
	v_pk_mul_f16 v50, v50, v6
	v_cndmask_b32_e32 v12, 0x7f800000, v24, vcc_lo
	v_cmp_nlt_f32_e32 vcc_lo, 0x42b17218, v9
	v_mul_u32_u24_sdwa v7, v2, v15 dst_sel:DWORD dst_unused:UNUSED_PAD src0_sel:WORD_0 src1_sel:DWORD
	v_fmac_f32_e32 v12, v3, v8
	v_cndmask_b32_e32 v9, 0x7f800000, v25, vcc_lo
	v_cmp_nlt_f32_e32 vcc_lo, 0x42b17218, v5
	v_cvt_f16_f32_e32 v3, v8
	v_pk_mul_f16 v49, v49, v7
	v_cvt_f16_f32_e32 v5, v9
	v_cndmask_b32_e32 v13, 0x7f800000, v26, vcc_lo
	v_mul_u32_u24_sdwa v8, v3, v15 dst_sel:DWORD dst_unused:UNUSED_PAD src0_sel:WORD_0 src1_sel:DWORD
	v_mul_u32_u24_sdwa v5, v5, v15 dst_sel:DWORD dst_unused:UNUSED_PAD src0_sel:WORD_0 src1_sel:DWORD
	v_fmac_f32_e32 v13, v4, v9
	v_mov_b32_e32 v1, v10
	v_pk_mul_f16 v48, v48, v8
	v_mov_b32_e32 v6, v17
	v_mov_b32_e32 v2, v11
	;; [unrolled: 1-line block ×4, first 2 shown]
	v_pk_mul_f16 v55, v55, v5
	v_mov_b32_e32 v7, v18
	v_mov_b32_e32 v8, v19
	;; [unrolled: 1-line block ×3, first 2 shown]
	s_mov_b32 s6, exec_lo
	v_cmpx_gt_i32_e64 s30, v45
	s_cbranch_execnz .LBB59_132
.LBB59_130:
	s_endpgm
.LBB59_131:
	v_mov_b32_e32 v10, v1
	v_mov_b32_e32 v11, v2
	;; [unrolled: 1-line block ×4, first 2 shown]
	s_mov_b32 s6, exec_lo
	v_cmpx_gt_i32_e64 s30, v45
	s_cbranch_execz .LBB59_130
.LBB59_132:
	s_load_dword s5, s[4:5], 0xd4
	v_mov_b32_e32 v5, 1.0
	s_waitcnt lgkmcnt(0)
	s_cmp_lg_u32 s5, 1
	s_cselect_b32 s8, -1, 0
	s_cmp_eq_u32 s5, 1
	s_cselect_b32 s7, -1, 0
	s_and_b32 vcc_lo, exec_lo, s8
	s_cbranch_vccnz .LBB59_134
; %bb.133:
	v_div_scale_f32 v5, null, v10, v10, 1.0
	v_rcp_f32_e32 v14, v5
	v_fma_f32 v15, -v5, v14, 1.0
	v_fmac_f32_e32 v14, v15, v14
	v_div_scale_f32 v15, vcc_lo, 1.0, v10, 1.0
	v_mul_f32_e32 v17, v15, v14
	v_fma_f32 v18, -v5, v17, v15
	v_fmac_f32_e32 v17, v18, v14
	v_fma_f32 v5, -v5, v17, v15
	v_div_fmas_f32 v5, v5, v14, v17
	v_div_fixup_f32 v5, v5, v10, 1.0
.LBB59_134:
	s_mul_i32 s6, s33, s30
	v_mov_b32_e32 v18, 0
	s_add_i32 s6, s6, s19
	v_cmp_eq_u32_e32 vcc_lo, 0, v0
	v_add_nc_u32_e32 v10, s6, v43
	v_mad_u64_u32 v[14:15], null, v10, s31, s[44:45]
	v_cvt_f32_f16_e32 v10, v50
	v_mul_f32_e32 v19, v5, v10
	v_mad_u64_u32 v[14:15], null, s5, v14, s[34:35]
	v_cvt_f32_f16_sdwa v15, v50 dst_sel:DWORD dst_unused:UNUSED_PAD src0_sel:WORD_1
	v_mul_f32_e32 v20, v5, v15
	v_lshl_add_u32 v17, v14, 6, v16
	v_lshlrev_b64 v[17:18], 2, v[17:18]
	v_add_co_u32 v17, s4, s24, v17
	v_add_co_ci_u32_e64 v18, null, s25, v18, s4
	s_and_b32 s4, vcc_lo, s8
	global_store_dwordx2 v[17:18], v[19:20], off
	s_and_saveexec_b32 s8, s4
	s_cbranch_execz .LBB59_136
; %bb.135:
	v_ashrrev_i32_e32 v15, 31, v14
	v_mov_b32_e32 v0, v6
	v_lshlrev_b64 v[14:15], 3, v[14:15]
	v_add_co_u32 v5, vcc_lo, s26, v14
	v_add_co_ci_u32_e64 v6, null, s27, v15, vcc_lo
	global_store_dwordx2 v[5:6], v[0:1], off
.LBB59_136:
	s_or_b32 exec_lo, exec_lo, s8
	v_cmp_gt_i32_e32 vcc_lo, s30, v44
	s_and_b32 exec_lo, exec_lo, vcc_lo
	s_cbranch_execz .LBB59_130
; %bb.137:
	v_cndmask_b32_e64 v5, 0, 1, s7
	v_mov_b32_e32 v6, 1.0
	s_andn2_b32 vcc_lo, exec_lo, s7
	s_cbranch_vccnz .LBB59_139
; %bb.138:
	v_div_scale_f32 v0, null, v11, v11, 1.0
	v_rcp_f32_e32 v1, v0
	v_fma_f32 v6, -v0, v1, 1.0
	v_fmac_f32_e32 v1, v6, v1
	v_div_scale_f32 v6, vcc_lo, 1.0, v11, 1.0
	v_mul_f32_e32 v10, v6, v1
	v_fma_f32 v14, -v0, v10, v6
	v_fmac_f32_e32 v10, v14, v1
	v_fma_f32 v0, -v0, v10, v6
	v_div_fmas_f32 v0, v0, v1, v10
	v_div_fixup_f32 v6, v0, v11, 1.0
.LBB59_139:
	v_add_nc_u32_e32 v0, s6, v41
	v_mov_b32_e32 v11, 0
	v_cvt_f32_f16_sdwa v15, v49 dst_sel:DWORD dst_unused:UNUSED_PAD src0_sel:WORD_1
	v_mad_u64_u32 v[0:1], null, v0, s31, s[44:45]
	v_mul_f32_e32 v15, v6, v15
	v_mad_u64_u32 v[0:1], null, s5, v0, s[34:35]
	v_cvt_f32_f16_e32 v1, v49
	v_mul_f32_e32 v14, v6, v1
	v_lshl_add_u32 v10, v0, 6, v16
	v_lshlrev_b64 v[10:11], 2, v[10:11]
	v_add_co_u32 v10, vcc_lo, s24, v10
	v_add_co_ci_u32_e64 v11, null, s25, v11, vcc_lo
	global_store_dwordx2 v[10:11], v[14:15], off
	s_and_saveexec_b32 s7, s4
	s_cbranch_execz .LBB59_141
; %bb.140:
	v_ashrrev_i32_e32 v1, 31, v0
	v_lshlrev_b64 v[0:1], 3, v[0:1]
	v_add_co_u32 v10, vcc_lo, s26, v0
	v_add_co_ci_u32_e64 v11, null, s27, v1, vcc_lo
	v_mov_b32_e32 v1, v7
	global_store_dwordx2 v[10:11], v[1:2], off
.LBB59_141:
	s_or_b32 exec_lo, exec_lo, s7
	v_cmp_gt_i32_e32 vcc_lo, s30, v42
	s_and_b32 exec_lo, exec_lo, vcc_lo
	s_cbranch_execz .LBB59_130
; %bb.142:
	v_cmp_ne_u32_e32 vcc_lo, 1, v5
	v_mov_b32_e32 v2, 1.0
	s_cbranch_vccnz .LBB59_144
; %bb.143:
	v_div_scale_f32 v0, null, v12, v12, 1.0
	v_rcp_f32_e32 v1, v0
	v_fma_f32 v2, -v0, v1, 1.0
	v_fmac_f32_e32 v1, v2, v1
	v_div_scale_f32 v2, vcc_lo, 1.0, v12, 1.0
	v_mul_f32_e32 v6, v2, v1
	v_fma_f32 v7, -v0, v6, v2
	v_fmac_f32_e32 v6, v7, v1
	v_fma_f32 v0, -v0, v6, v2
	v_div_fmas_f32 v0, v0, v1, v6
	v_div_fixup_f32 v2, v0, v12, 1.0
.LBB59_144:
	v_add_nc_u32_e32 v0, s6, v40
	v_mov_b32_e32 v7, 0
	v_cvt_f32_f16_sdwa v10, v48 dst_sel:DWORD dst_unused:UNUSED_PAD src0_sel:WORD_1
	v_mad_u64_u32 v[0:1], null, v0, s31, s[44:45]
	v_mad_u64_u32 v[0:1], null, s5, v0, s[34:35]
	v_cvt_f32_f16_e32 v1, v48
	v_mul_f32_e32 v1, v2, v1
	v_lshl_add_u32 v6, v0, 6, v16
	v_mul_f32_e32 v2, v2, v10
	v_lshlrev_b64 v[6:7], 2, v[6:7]
	v_add_co_u32 v6, vcc_lo, s24, v6
	v_add_co_ci_u32_e64 v7, null, s25, v7, vcc_lo
	global_store_dwordx2 v[6:7], v[1:2], off
	s_and_saveexec_b32 s7, s4
	s_cbranch_execz .LBB59_146
; %bb.145:
	v_ashrrev_i32_e32 v1, 31, v0
	v_mov_b32_e32 v2, v8
	v_lshlrev_b64 v[0:1], 3, v[0:1]
	v_add_co_u32 v0, vcc_lo, s26, v0
	v_add_co_ci_u32_e64 v1, null, s27, v1, vcc_lo
	global_store_dwordx2 v[0:1], v[2:3], off
.LBB59_146:
	s_or_b32 exec_lo, exec_lo, s7
	v_cmp_gt_i32_e32 vcc_lo, s30, v39
	s_and_b32 exec_lo, exec_lo, vcc_lo
	s_cbranch_execz .LBB59_130
; %bb.147:
	v_cmp_ne_u32_e32 vcc_lo, 1, v5
	v_mov_b32_e32 v2, 1.0
	s_cbranch_vccnz .LBB59_149
; %bb.148:
	v_div_scale_f32 v0, null, v13, v13, 1.0
	v_rcp_f32_e32 v1, v0
	v_fma_f32 v2, -v0, v1, 1.0
	v_fmac_f32_e32 v1, v2, v1
	v_div_scale_f32 v2, vcc_lo, 1.0, v13, 1.0
	v_mul_f32_e32 v3, v2, v1
	v_fma_f32 v5, -v0, v3, v2
	v_fmac_f32_e32 v3, v5, v1
	v_fma_f32 v0, -v0, v3, v2
	v_div_fmas_f32 v0, v0, v1, v3
	v_div_fixup_f32 v2, v0, v13, 1.0
.LBB59_149:
	v_add_nc_u32_e32 v0, s6, v38
	v_mov_b32_e32 v6, 0
	v_cvt_f32_f16_sdwa v3, v55 dst_sel:DWORD dst_unused:UNUSED_PAD src0_sel:WORD_1
	v_mad_u64_u32 v[0:1], null, v0, s31, s[44:45]
	v_mad_u64_u32 v[0:1], null, s5, v0, s[34:35]
	v_cvt_f32_f16_e32 v1, v55
	v_mul_f32_e32 v1, v2, v1
	v_lshl_add_u32 v5, v0, 6, v16
	v_mul_f32_e32 v2, v2, v3
	v_lshlrev_b64 v[5:6], 2, v[5:6]
	v_add_co_u32 v5, vcc_lo, s24, v5
	v_add_co_ci_u32_e64 v6, null, s25, v6, vcc_lo
	global_store_dwordx2 v[5:6], v[1:2], off
	s_and_b32 exec_lo, exec_lo, s4
	s_cbranch_execz .LBB59_130
; %bb.150:
	v_ashrrev_i32_e32 v1, 31, v0
	v_mov_b32_e32 v3, v9
	v_lshlrev_b64 v[0:1], 3, v[0:1]
	v_add_co_u32 v0, vcc_lo, s26, v0
	v_add_co_ci_u32_e64 v1, null, s27, v1, vcc_lo
	global_store_dwordx2 v[0:1], v[3:4], off
	s_endpgm
	.section	.rodata,"a",@progbits
	.p2align	6, 0x0
	.amdhsa_kernel _ZL15flash_attn_tileILi64ELi64ELi16ELi1ELb0EEvPKcS1_S1_S1_S1_PKiPfP15HIP_vector_typeIfLj2EEffffjfiS5_IjLj3EEiiiiiiiiiiiliiliiiiil
		.amdhsa_group_segment_fixed_size 24576
		.amdhsa_private_segment_fixed_size 32
		.amdhsa_kernarg_size 464
		.amdhsa_user_sgpr_count 8
		.amdhsa_user_sgpr_private_segment_buffer 1
		.amdhsa_user_sgpr_dispatch_ptr 0
		.amdhsa_user_sgpr_queue_ptr 0
		.amdhsa_user_sgpr_kernarg_segment_ptr 1
		.amdhsa_user_sgpr_dispatch_id 0
		.amdhsa_user_sgpr_flat_scratch_init 1
		.amdhsa_user_sgpr_private_segment_size 0
		.amdhsa_wavefront_size32 1
		.amdhsa_uses_dynamic_stack 0
		.amdhsa_system_sgpr_private_segment_wavefront_offset 1
		.amdhsa_system_sgpr_workgroup_id_x 1
		.amdhsa_system_sgpr_workgroup_id_y 1
		.amdhsa_system_sgpr_workgroup_id_z 1
		.amdhsa_system_sgpr_workgroup_info 0
		.amdhsa_system_vgpr_workitem_id 1
		.amdhsa_next_free_vgpr 166
		.amdhsa_next_free_sgpr 52
		.amdhsa_reserve_vcc 1
		.amdhsa_reserve_flat_scratch 1
		.amdhsa_float_round_mode_32 0
		.amdhsa_float_round_mode_16_64 0
		.amdhsa_float_denorm_mode_32 3
		.amdhsa_float_denorm_mode_16_64 3
		.amdhsa_dx10_clamp 1
		.amdhsa_ieee_mode 1
		.amdhsa_fp16_overflow 0
		.amdhsa_workgroup_processor_mode 1
		.amdhsa_memory_ordered 1
		.amdhsa_forward_progress 1
		.amdhsa_shared_vgpr_count 0
		.amdhsa_exception_fp_ieee_invalid_op 0
		.amdhsa_exception_fp_denorm_src 0
		.amdhsa_exception_fp_ieee_div_zero 0
		.amdhsa_exception_fp_ieee_overflow 0
		.amdhsa_exception_fp_ieee_underflow 0
		.amdhsa_exception_fp_ieee_inexact 0
		.amdhsa_exception_int_div_zero 0
	.end_amdhsa_kernel
	.section	.text._ZL15flash_attn_tileILi64ELi64ELi16ELi1ELb0EEvPKcS1_S1_S1_S1_PKiPfP15HIP_vector_typeIfLj2EEffffjfiS5_IjLj3EEiiiiiiiiiiiliiliiiiil,"axG",@progbits,_ZL15flash_attn_tileILi64ELi64ELi16ELi1ELb0EEvPKcS1_S1_S1_S1_PKiPfP15HIP_vector_typeIfLj2EEffffjfiS5_IjLj3EEiiiiiiiiiiiliiliiiiil,comdat
.Lfunc_end59:
	.size	_ZL15flash_attn_tileILi64ELi64ELi16ELi1ELb0EEvPKcS1_S1_S1_S1_PKiPfP15HIP_vector_typeIfLj2EEffffjfiS5_IjLj3EEiiiiiiiiiiiliiliiiiil, .Lfunc_end59-_ZL15flash_attn_tileILi64ELi64ELi16ELi1ELb0EEvPKcS1_S1_S1_S1_PKiPfP15HIP_vector_typeIfLj2EEffffjfiS5_IjLj3EEiiiiiiiiiiiliiliiiiil
                                        ; -- End function
	.set _ZL15flash_attn_tileILi64ELi64ELi16ELi1ELb0EEvPKcS1_S1_S1_S1_PKiPfP15HIP_vector_typeIfLj2EEffffjfiS5_IjLj3EEiiiiiiiiiiiliiliiiiil.num_vgpr, 166
	.set _ZL15flash_attn_tileILi64ELi64ELi16ELi1ELb0EEvPKcS1_S1_S1_S1_PKiPfP15HIP_vector_typeIfLj2EEffffjfiS5_IjLj3EEiiiiiiiiiiiliiliiiiil.num_agpr, 0
	.set _ZL15flash_attn_tileILi64ELi64ELi16ELi1ELb0EEvPKcS1_S1_S1_S1_PKiPfP15HIP_vector_typeIfLj2EEffffjfiS5_IjLj3EEiiiiiiiiiiiliiliiiiil.numbered_sgpr, 52
	.set _ZL15flash_attn_tileILi64ELi64ELi16ELi1ELb0EEvPKcS1_S1_S1_S1_PKiPfP15HIP_vector_typeIfLj2EEffffjfiS5_IjLj3EEiiiiiiiiiiiliiliiiiil.num_named_barrier, 0
	.set _ZL15flash_attn_tileILi64ELi64ELi16ELi1ELb0EEvPKcS1_S1_S1_S1_PKiPfP15HIP_vector_typeIfLj2EEffffjfiS5_IjLj3EEiiiiiiiiiiiliiliiiiil.private_seg_size, 32
	.set _ZL15flash_attn_tileILi64ELi64ELi16ELi1ELb0EEvPKcS1_S1_S1_S1_PKiPfP15HIP_vector_typeIfLj2EEffffjfiS5_IjLj3EEiiiiiiiiiiiliiliiiiil.uses_vcc, 1
	.set _ZL15flash_attn_tileILi64ELi64ELi16ELi1ELb0EEvPKcS1_S1_S1_S1_PKiPfP15HIP_vector_typeIfLj2EEffffjfiS5_IjLj3EEiiiiiiiiiiiliiliiiiil.uses_flat_scratch, 1
	.set _ZL15flash_attn_tileILi64ELi64ELi16ELi1ELb0EEvPKcS1_S1_S1_S1_PKiPfP15HIP_vector_typeIfLj2EEffffjfiS5_IjLj3EEiiiiiiiiiiiliiliiiiil.has_dyn_sized_stack, 0
	.set _ZL15flash_attn_tileILi64ELi64ELi16ELi1ELb0EEvPKcS1_S1_S1_S1_PKiPfP15HIP_vector_typeIfLj2EEffffjfiS5_IjLj3EEiiiiiiiiiiiliiliiiiil.has_recursion, 0
	.set _ZL15flash_attn_tileILi64ELi64ELi16ELi1ELb0EEvPKcS1_S1_S1_S1_PKiPfP15HIP_vector_typeIfLj2EEffffjfiS5_IjLj3EEiiiiiiiiiiiliiliiiiil.has_indirect_call, 0
	.section	.AMDGPU.csdata,"",@progbits
; Kernel info:
; codeLenInByte = 59048
; TotalNumSgprs: 54
; NumVgprs: 166
; ScratchSize: 32
; MemoryBound: 0
; FloatMode: 240
; IeeeMode: 1
; LDSByteSize: 24576 bytes/workgroup (compile time only)
; SGPRBlocks: 0
; VGPRBlocks: 20
; NumSGPRsForWavesPerEU: 54
; NumVGPRsForWavesPerEU: 166
; Occupancy: 5
; WaveLimiterHint : 0
; COMPUTE_PGM_RSRC2:SCRATCH_EN: 1
; COMPUTE_PGM_RSRC2:USER_SGPR: 8
; COMPUTE_PGM_RSRC2:TRAP_HANDLER: 0
; COMPUTE_PGM_RSRC2:TGID_X_EN: 1
; COMPUTE_PGM_RSRC2:TGID_Y_EN: 1
; COMPUTE_PGM_RSRC2:TGID_Z_EN: 1
; COMPUTE_PGM_RSRC2:TIDIG_COMP_CNT: 1
	.section	.text._ZL33flash_attn_stream_k_fixup_uniformILi64ELi16ELi1EEvPfPK15HIP_vector_typeIfLj2EEiiiiiiS1_IjLj3EES5_S5_,"axG",@progbits,_ZL33flash_attn_stream_k_fixup_uniformILi64ELi16ELi1EEvPfPK15HIP_vector_typeIfLj2EEiiiiiiS1_IjLj3EES5_S5_,comdat
	.globl	_ZL33flash_attn_stream_k_fixup_uniformILi64ELi16ELi1EEvPfPK15HIP_vector_typeIfLj2EEiiiiiiS1_IjLj3EES5_S5_ ; -- Begin function _ZL33flash_attn_stream_k_fixup_uniformILi64ELi16ELi1EEvPfPK15HIP_vector_typeIfLj2EEiiiiiiS1_IjLj3EES5_S5_
	.p2align	8
	.type	_ZL33flash_attn_stream_k_fixup_uniformILi64ELi16ELi1EEvPfPK15HIP_vector_typeIfLj2EEiiiiiiS1_IjLj3EES5_S5_,@function
_ZL33flash_attn_stream_k_fixup_uniformILi64ELi16ELi1EEvPfPK15HIP_vector_typeIfLj2EEiiiiiiS1_IjLj3EES5_S5_: ; @_ZL33flash_attn_stream_k_fixup_uniformILi64ELi16ELi1EEvPfPK15HIP_vector_typeIfLj2EEiiiiiiS1_IjLj3EES5_S5_
; %bb.0:
	s_clause 0x2
	s_load_dwordx8 s[12:19], s[4:5], 0x1c
	s_load_dwordx4 s[20:23], s[4:5], 0x3c
	s_load_dwordx2 s[10:11], s[4:5], 0x10
	s_waitcnt lgkmcnt(0)
	s_mul_hi_u32 s0, s15, s6
	s_add_i32 s0, s6, s0
	s_lshr_b32 s0, s0, s16
	s_mul_i32 s1, s0, s17
	s_sub_i32 s2, s6, s1
	s_mul_hi_u32 s1, s2, s18
	s_add_i32 s1, s2, s1
	s_lshr_b32 s1, s1, s19
	s_mul_i32 s3, s1, s20
	s_sub_i32 s2, s2, s3
	;; [unrolled: 5-line block ×3, first 2 shown]
	s_lshl_b32 s2, s15, 4
	s_add_i32 s2, s2, s7
	s_cmp_lt_i32 s2, s10
	s_cselect_b32 s2, -1, 0
	s_add_i32 s3, s9, s8
	s_cmp_lt_i32 s3, s13
	s_cselect_b32 s3, -1, 0
	s_and_b32 s2, s2, s3
	s_andn2_b32 vcc_lo, exec_lo, s2
	s_cbranch_vccnz .LBB60_6
; %bb.1:
	s_mul_i32 s0, s0, s10
	s_mul_i32 s10, s1, s13
	s_add_i32 s0, s0, s7
	s_mul_i32 s0, s0, s11
	s_add_i32 s13, s0, s8
	s_load_dwordx4 s[0:3], s[4:5], 0x0
	s_add_i32 s4, s13, s10
	s_mul_i32 s5, s11, s15
	s_add_i32 s4, s4, s9
	s_lshl_b32 s5, s5, 10
	s_lshl_b32 s4, s4, 6
	s_add_i32 s8, s7, s8
	s_add_i32 s5, s5, s4
	s_mul_i32 s4, s14, s6
	v_or_b32_e32 v1, s5, v0
	s_add_i32 s9, s4, s14
	v_ashrrev_i32_e32 v2, 31, v1
	v_lshlrev_b64 v[1:2], 2, v[1:2]
	s_waitcnt lgkmcnt(0)
	v_add_co_u32 v1, vcc_lo, s0, v1
	v_add_co_ci_u32_e64 v2, null, s1, v2, vcc_lo
	s_lshl_b32 s0, s9, 4
	s_add_i32 s0, s8, s0
	global_load_dword v5, v[1:2], off
	s_add_i32 s0, s0, -16
	s_ashr_i32 s1, s0, 31
	s_lshl_b64 s[0:1], s[0:1], 3
	s_add_u32 s0, s2, s0
	s_addc_u32 s1, s3, s1
	s_add_i32 s5, s9, -2
	s_load_dword s10, s[0:1], 0x4
	s_cmp_lt_i32 s5, s4
	s_cbranch_scc1 .LBB60_4
; %bb.2:
	s_lshl_b32 s16, s12, 6
	s_load_dword s11, s[0:1], 0x0
	s_ashr_i32 s17, s16, 31
	s_waitcnt lgkmcnt(0)
	v_mov_b32_e32 v6, s10
	s_lshl_b64 s[0:1], s[16:17], 2
	s_add_u32 s5, s2, s0
	s_addc_u32 s7, s3, s1
	s_add_i32 s6, s6, 1
	s_lshl_b32 s1, s8, 6
	s_mul_i32 s0, s14, s6
	s_lshl_b32 s6, s0, 10
	s_lshl_b32 s0, s0, 4
	s_add_i32 s1, s1, s6
	s_add_i32 s0, s8, s0
	v_or_b32_e32 v0, s1, v0
	s_lshl_b32 s1, s12, 4
	s_add_i32 s6, s9, -1
	s_add_i32 s0, s0, s1
	v_add_nc_u32_e32 v3, 0xfffff800, v0
	v_mov_b32_e32 v0, s11
	s_sub_i32 s0, s0, 32
.LBB60_3:                               ; =>This Inner Loop Header: Depth=1
	v_ashrrev_i32_e32 v4, 31, v3
	s_ashr_i32 s1, s0, 31
	s_lshl_b64 s[8:9], s[0:1], 3
	s_add_u32 s8, s2, s8
	v_lshlrev_b64 v[7:8], 2, v[3:4]
	s_addc_u32 s9, s3, s9
	v_add_nc_u32_e32 v3, 0xfffffc00, v3
	s_add_i32 s6, s6, -1
	s_add_i32 s0, s0, -16
	s_cmp_le_i32 s6, s4
	v_add_co_u32 v7, vcc_lo, s5, v7
	v_add_co_ci_u32_e64 v8, null, s7, v8, vcc_lo
	s_load_dwordx2 s[8:9], s[8:9], 0x0
	global_load_dword v4, v[7:8], off
	v_max_f32_e32 v7, v0, v0
	s_waitcnt lgkmcnt(0)
	v_max_f32_e64 v8, s8, s8
	v_max_f32_e32 v7, v7, v8
	v_sub_f32_e32 v8, s8, v7
	v_sub_f32_e32 v0, v0, v7
	v_mul_f32_e32 v9, 0x3fb8aa3b, v8
	v_mul_f32_e32 v12, 0x3fb8aa3b, v0
	v_cmp_ngt_f32_e32 vcc_lo, 0xc2ce8ed0, v8
	v_fma_f32 v10, 0x3fb8aa3b, v8, -v9
	v_rndne_f32_e32 v11, v9
	v_fma_f32 v13, 0x3fb8aa3b, v0, -v12
	v_rndne_f32_e32 v14, v12
	v_fmac_f32_e32 v10, 0x32a5705f, v8
	v_sub_f32_e32 v9, v9, v11
	v_fmac_f32_e32 v13, 0x32a5705f, v0
	v_cvt_i32_f32_e32 v11, v11
	v_add_f32_e32 v9, v9, v10
	v_sub_f32_e32 v10, v12, v14
	v_exp_f32_e32 v9, v9
	v_add_f32_e32 v10, v10, v13
	v_exp_f32_e32 v10, v10
	v_ldexp_f32 v9, v9, v11
	v_cvt_i32_f32_e32 v11, v14
	v_cndmask_b32_e32 v9, 0, v9, vcc_lo
	v_cmp_nlt_f32_e32 vcc_lo, 0x42b17218, v8
	v_ldexp_f32 v10, v10, v11
	v_mov_b32_e32 v11, v6
	v_cndmask_b32_e32 v9, 0x7f800000, v9, vcc_lo
	v_cmp_ngt_f32_e32 vcc_lo, 0xc2ce8ed0, v0
	v_cndmask_b32_e32 v10, 0, v10, vcc_lo
	v_cmp_le_f32_e32 vcc_lo, 0xc1a00000, v8
	v_cndmask_b32_e32 v8, 0, v9, vcc_lo
	v_cmp_nlt_f32_e32 vcc_lo, 0x42b17218, v0
	s_waitcnt vmcnt(1)
	v_mov_b32_e32 v9, v5
	v_cndmask_b32_e32 v5, 0x7f800000, v10, vcc_lo
	v_mul_f32_e32 v10, s9, v8
	v_cmp_le_f32_e32 vcc_lo, 0xc1a00000, v0
	v_mov_b32_e32 v0, v7
	v_mov_b32_e32 v6, v10
	v_cndmask_b32_e32 v12, 0, v5, vcc_lo
	v_fmac_f32_e32 v6, v11, v12
	s_waitcnt vmcnt(0)
	v_mul_f32_e32 v5, v4, v8
	v_fmac_f32_e32 v5, v9, v12
	s_cbranch_scc0 .LBB60_3
	s_branch .LBB60_5
.LBB60_4:
	s_waitcnt lgkmcnt(0)
	v_mov_b32_e32 v6, s10
.LBB60_5:
	s_waitcnt vmcnt(0)
	v_div_scale_f32 v0, null, v6, v6, v5
	v_rcp_f32_e32 v3, v0
	v_fma_f32 v4, -v0, v3, 1.0
	v_fmac_f32_e32 v3, v4, v3
	v_div_scale_f32 v4, vcc_lo, v5, v6, v5
	v_mul_f32_e32 v7, v4, v3
	v_fma_f32 v8, -v0, v7, v4
	v_fmac_f32_e32 v7, v8, v3
	v_fma_f32 v0, -v0, v7, v4
	v_div_fmas_f32 v0, v0, v3, v7
	v_div_fixup_f32 v0, v0, v6, v5
	global_store_dword v[1:2], v0, off
.LBB60_6:
	s_endpgm
	.section	.rodata,"a",@progbits
	.p2align	6, 0x0
	.amdhsa_kernel _ZL33flash_attn_stream_k_fixup_uniformILi64ELi16ELi1EEvPfPK15HIP_vector_typeIfLj2EEiiiiiiS1_IjLj3EES5_S5_
		.amdhsa_group_segment_fixed_size 0
		.amdhsa_private_segment_fixed_size 0
		.amdhsa_kernarg_size 76
		.amdhsa_user_sgpr_count 6
		.amdhsa_user_sgpr_private_segment_buffer 1
		.amdhsa_user_sgpr_dispatch_ptr 0
		.amdhsa_user_sgpr_queue_ptr 0
		.amdhsa_user_sgpr_kernarg_segment_ptr 1
		.amdhsa_user_sgpr_dispatch_id 0
		.amdhsa_user_sgpr_flat_scratch_init 0
		.amdhsa_user_sgpr_private_segment_size 0
		.amdhsa_wavefront_size32 1
		.amdhsa_uses_dynamic_stack 0
		.amdhsa_system_sgpr_private_segment_wavefront_offset 0
		.amdhsa_system_sgpr_workgroup_id_x 1
		.amdhsa_system_sgpr_workgroup_id_y 1
		.amdhsa_system_sgpr_workgroup_id_z 1
		.amdhsa_system_sgpr_workgroup_info 0
		.amdhsa_system_vgpr_workitem_id 0
		.amdhsa_next_free_vgpr 15
		.amdhsa_next_free_sgpr 24
		.amdhsa_reserve_vcc 1
		.amdhsa_reserve_flat_scratch 0
		.amdhsa_float_round_mode_32 0
		.amdhsa_float_round_mode_16_64 0
		.amdhsa_float_denorm_mode_32 3
		.amdhsa_float_denorm_mode_16_64 3
		.amdhsa_dx10_clamp 1
		.amdhsa_ieee_mode 1
		.amdhsa_fp16_overflow 0
		.amdhsa_workgroup_processor_mode 1
		.amdhsa_memory_ordered 1
		.amdhsa_forward_progress 1
		.amdhsa_shared_vgpr_count 0
		.amdhsa_exception_fp_ieee_invalid_op 0
		.amdhsa_exception_fp_denorm_src 0
		.amdhsa_exception_fp_ieee_div_zero 0
		.amdhsa_exception_fp_ieee_overflow 0
		.amdhsa_exception_fp_ieee_underflow 0
		.amdhsa_exception_fp_ieee_inexact 0
		.amdhsa_exception_int_div_zero 0
	.end_amdhsa_kernel
	.section	.text._ZL33flash_attn_stream_k_fixup_uniformILi64ELi16ELi1EEvPfPK15HIP_vector_typeIfLj2EEiiiiiiS1_IjLj3EES5_S5_,"axG",@progbits,_ZL33flash_attn_stream_k_fixup_uniformILi64ELi16ELi1EEvPfPK15HIP_vector_typeIfLj2EEiiiiiiS1_IjLj3EES5_S5_,comdat
.Lfunc_end60:
	.size	_ZL33flash_attn_stream_k_fixup_uniformILi64ELi16ELi1EEvPfPK15HIP_vector_typeIfLj2EEiiiiiiS1_IjLj3EES5_S5_, .Lfunc_end60-_ZL33flash_attn_stream_k_fixup_uniformILi64ELi16ELi1EEvPfPK15HIP_vector_typeIfLj2EEiiiiiiS1_IjLj3EES5_S5_
                                        ; -- End function
	.set _ZL33flash_attn_stream_k_fixup_uniformILi64ELi16ELi1EEvPfPK15HIP_vector_typeIfLj2EEiiiiiiS1_IjLj3EES5_S5_.num_vgpr, 15
	.set _ZL33flash_attn_stream_k_fixup_uniformILi64ELi16ELi1EEvPfPK15HIP_vector_typeIfLj2EEiiiiiiS1_IjLj3EES5_S5_.num_agpr, 0
	.set _ZL33flash_attn_stream_k_fixup_uniformILi64ELi16ELi1EEvPfPK15HIP_vector_typeIfLj2EEiiiiiiS1_IjLj3EES5_S5_.numbered_sgpr, 24
	.set _ZL33flash_attn_stream_k_fixup_uniformILi64ELi16ELi1EEvPfPK15HIP_vector_typeIfLj2EEiiiiiiS1_IjLj3EES5_S5_.num_named_barrier, 0
	.set _ZL33flash_attn_stream_k_fixup_uniformILi64ELi16ELi1EEvPfPK15HIP_vector_typeIfLj2EEiiiiiiS1_IjLj3EES5_S5_.private_seg_size, 0
	.set _ZL33flash_attn_stream_k_fixup_uniformILi64ELi16ELi1EEvPfPK15HIP_vector_typeIfLj2EEiiiiiiS1_IjLj3EES5_S5_.uses_vcc, 1
	.set _ZL33flash_attn_stream_k_fixup_uniformILi64ELi16ELi1EEvPfPK15HIP_vector_typeIfLj2EEiiiiiiS1_IjLj3EES5_S5_.uses_flat_scratch, 0
	.set _ZL33flash_attn_stream_k_fixup_uniformILi64ELi16ELi1EEvPfPK15HIP_vector_typeIfLj2EEiiiiiiS1_IjLj3EES5_S5_.has_dyn_sized_stack, 0
	.set _ZL33flash_attn_stream_k_fixup_uniformILi64ELi16ELi1EEvPfPK15HIP_vector_typeIfLj2EEiiiiiiS1_IjLj3EES5_S5_.has_recursion, 0
	.set _ZL33flash_attn_stream_k_fixup_uniformILi64ELi16ELi1EEvPfPK15HIP_vector_typeIfLj2EEiiiiiiS1_IjLj3EES5_S5_.has_indirect_call, 0
	.section	.AMDGPU.csdata,"",@progbits
; Kernel info:
; codeLenInByte = 828
; TotalNumSgprs: 26
; NumVgprs: 15
; ScratchSize: 0
; MemoryBound: 0
; FloatMode: 240
; IeeeMode: 1
; LDSByteSize: 0 bytes/workgroup (compile time only)
; SGPRBlocks: 0
; VGPRBlocks: 1
; NumSGPRsForWavesPerEU: 26
; NumVGPRsForWavesPerEU: 15
; Occupancy: 16
; WaveLimiterHint : 0
; COMPUTE_PGM_RSRC2:SCRATCH_EN: 0
; COMPUTE_PGM_RSRC2:USER_SGPR: 6
; COMPUTE_PGM_RSRC2:TRAP_HANDLER: 0
; COMPUTE_PGM_RSRC2:TGID_X_EN: 1
; COMPUTE_PGM_RSRC2:TGID_Y_EN: 1
; COMPUTE_PGM_RSRC2:TGID_Z_EN: 1
; COMPUTE_PGM_RSRC2:TIDIG_COMP_CNT: 0
	.section	.text._ZL33flash_attn_stream_k_fixup_generalILi64ELi16ELi1EEvPfPK15HIP_vector_typeIfLj2EEiiiiS1_IjLj3EES5_S5_S5_,"axG",@progbits,_ZL33flash_attn_stream_k_fixup_generalILi64ELi16ELi1EEvPfPK15HIP_vector_typeIfLj2EEiiiiS1_IjLj3EES5_S5_S5_,comdat
	.globl	_ZL33flash_attn_stream_k_fixup_generalILi64ELi16ELi1EEvPfPK15HIP_vector_typeIfLj2EEiiiiS1_IjLj3EES5_S5_S5_ ; -- Begin function _ZL33flash_attn_stream_k_fixup_generalILi64ELi16ELi1EEvPfPK15HIP_vector_typeIfLj2EEiiiiS1_IjLj3EES5_S5_S5_
	.p2align	8
	.type	_ZL33flash_attn_stream_k_fixup_generalILi64ELi16ELi1EEvPfPK15HIP_vector_typeIfLj2EEiiiiS1_IjLj3EES5_S5_S5_,@function
_ZL33flash_attn_stream_k_fixup_generalILi64ELi16ELi1EEvPfPK15HIP_vector_typeIfLj2EEiiiiS1_IjLj3EES5_S5_S5_: ; @_ZL33flash_attn_stream_k_fixup_generalILi64ELi16ELi1EEvPfPK15HIP_vector_typeIfLj2EEiiiiS1_IjLj3EES5_S5_S5_
; %bb.0:
	s_clause 0x1
	s_load_dwordx4 s[0:3], s[4:5], 0x10
	s_load_dword s9, s[4:5], 0x50
	s_mov_b32 s16, 0
	s_waitcnt lgkmcnt(0)
	s_mul_hi_i32 s17, s3, s6
	s_mul_i32 s18, s3, s6
	s_cmp_lg_u64 s[16:17], 0
	s_cbranch_scc0 .LBB61_21
; %bb.1:
	s_add_u32 s10, s9, 0
	s_addc_u32 s11, 0, 0
	s_xor_b64 s[10:11], s[10:11], 0
	v_cvt_f32_u32_e32 v1, s10
	v_cvt_f32_u32_e32 v2, s11
	s_sub_u32 s14, 0, s10
	s_subb_u32 s15, 0, s11
	v_fmamk_f32 v1, v2, 0x4f800000, v1
	v_rcp_f32_e32 v1, v1
	v_mul_f32_e32 v1, 0x5f7ffffc, v1
	v_mul_f32_e32 v2, 0x2f800000, v1
	v_trunc_f32_e32 v2, v2
	v_fmamk_f32 v1, v2, 0xcf800000, v1
	v_cvt_u32_f32_e32 v2, v2
	v_cvt_u32_f32_e32 v1, v1
	v_readfirstlane_b32 s12, v2
	v_readfirstlane_b32 s13, v1
	s_mul_i32 s19, s14, s12
	s_mul_hi_u32 s21, s14, s13
	s_mul_i32 s20, s15, s13
	s_add_i32 s19, s21, s19
	s_mul_i32 s22, s14, s13
	s_add_i32 s19, s19, s20
	s_mul_hi_u32 s21, s13, s22
	s_mul_i32 s24, s13, s19
	s_mul_hi_u32 s23, s12, s22
	s_mul_i32 s20, s12, s22
	s_mul_hi_u32 s22, s13, s19
	s_add_u32 s21, s21, s24
	s_addc_u32 s22, 0, s22
	s_mul_hi_u32 s25, s12, s19
	s_add_u32 s20, s21, s20
	s_mul_i32 s19, s12, s19
	s_addc_u32 s20, s22, s23
	s_addc_u32 s21, s25, 0
	s_add_u32 s19, s20, s19
	s_addc_u32 s20, 0, s21
	s_add_u32 s13, s13, s19
	s_cselect_b32 s19, -1, 0
	s_mul_hi_u32 s21, s14, s13
	s_cmp_lg_u32 s19, 0
	s_mul_i32 s19, s14, s13
	s_addc_u32 s12, s12, s20
	s_mul_i32 s15, s15, s13
	s_mul_i32 s14, s14, s12
	s_mul_hi_u32 s20, s13, s19
	s_add_i32 s14, s21, s14
	s_mul_hi_u32 s21, s12, s19
	s_add_i32 s14, s14, s15
	s_mul_i32 s15, s12, s19
	s_mul_i32 s23, s13, s14
	s_mul_hi_u32 s22, s13, s14
	s_add_u32 s20, s20, s23
	s_addc_u32 s22, 0, s22
	s_mul_hi_u32 s19, s12, s14
	s_add_u32 s15, s20, s15
	s_mul_i32 s14, s12, s14
	s_addc_u32 s15, s22, s21
	s_addc_u32 s19, s19, 0
	s_add_u32 s14, s15, s14
	s_addc_u32 s15, 0, s19
	s_add_u32 s19, s13, s14
	s_cselect_b32 s13, -1, 0
	s_cmp_lg_u32 s13, 0
	s_addc_u32 s20, s12, s15
	s_ashr_i32 s12, s17, 31
	s_add_u32 s14, s18, s12
	s_mov_b32 s13, s12
	s_addc_u32 s15, s17, s12
	s_xor_b64 s[14:15], s[14:15], s[12:13]
	s_mul_i32 s21, s14, s20
	s_mul_hi_u32 s22, s14, s19
	s_mul_hi_u32 s17, s14, s20
	;; [unrolled: 1-line block ×3, first 2 shown]
	s_mul_i32 s19, s15, s19
	s_add_u32 s21, s22, s21
	s_addc_u32 s17, 0, s17
	s_mul_hi_u32 s23, s15, s20
	s_add_u32 s19, s21, s19
	s_mul_i32 s20, s15, s20
	s_addc_u32 s17, s17, s24
	s_addc_u32 s19, s23, 0
	s_add_u32 s17, s17, s20
	s_addc_u32 s19, 0, s19
	s_mul_hi_u32 s20, s10, s17
	s_mul_i32 s21, s10, s19
	s_mul_i32 s22, s11, s17
	s_add_i32 s20, s20, s21
	s_mul_i32 s21, s10, s17
	s_add_i32 s20, s20, s22
	s_sub_i32 s22, s15, s20
	s_sub_u32 s14, s14, s21
	s_cselect_b32 s21, -1, 0
	s_cmp_lg_u32 s21, 0
	s_subb_u32 s22, s22, s11
	s_sub_u32 s23, s14, s10
	s_cselect_b32 s24, -1, 0
	s_cmp_lg_u32 s24, 0
	s_subb_u32 s22, s22, 0
	s_cmp_ge_u32 s22, s11
	s_cselect_b32 s24, -1, 0
	s_cmp_ge_u32 s23, s10
	s_cselect_b32 s23, -1, 0
	s_cmp_eq_u32 s22, s11
	s_cselect_b32 s22, s23, s24
	s_add_u32 s23, s17, 1
	s_addc_u32 s24, s19, 0
	s_add_u32 s25, s17, 2
	s_addc_u32 s26, s19, 0
	s_cmp_lg_u32 s22, 0
	s_cselect_b32 s22, s25, s23
	s_cselect_b32 s23, s26, s24
	s_cmp_lg_u32 s21, 0
	s_subb_u32 s15, s15, s20
	s_cmp_ge_u32 s15, s11
	s_cselect_b32 s20, -1, 0
	s_cmp_ge_u32 s14, s10
	s_cselect_b32 s10, -1, 0
	s_cmp_eq_u32 s15, s11
	s_cselect_b32 s10, s10, s20
	s_cmp_lg_u32 s10, 0
	s_cselect_b32 s11, s23, s19
	s_cselect_b32 s10, s22, s17
	s_xor_b64 s[12:13], s[12:13], 0
	s_xor_b64 s[10:11], s[10:11], s[12:13]
	s_sub_u32 s10, s10, s12
	s_load_dwordx4 s[12:15], s[4:5], 0x44
	s_andn2_b32 vcc_lo, exec_lo, s16
	s_cbranch_vccnz .LBB61_3
.LBB61_2:
	v_cvt_f32_u32_e32 v1, s9
	s_sub_i32 s11, 0, s9
	v_rcp_iflag_f32_e32 v1, v1
	v_mul_f32_e32 v1, 0x4f7ffffe, v1
	v_cvt_u32_f32_e32 v1, v1
	v_readfirstlane_b32 s10, v1
	s_mul_i32 s11, s11, s10
	s_mul_hi_u32 s11, s10, s11
	s_add_i32 s10, s10, s11
	s_mul_hi_u32 s10, s18, s10
	s_mul_i32 s11, s10, s9
	s_waitcnt lgkmcnt(0)
	s_add_i32 s15, s10, 1
	s_sub_i32 s11, s18, s11
	s_sub_i32 s16, s11, s9
	s_cmp_ge_u32 s11, s9
	s_cselect_b32 s10, s15, s10
	s_cselect_b32 s11, s16, s11
	s_add_i32 s15, s10, 1
	s_cmp_ge_u32 s11, s9
	s_cselect_b32 s10, s15, s10
.LBB61_3:
	s_add_i32 s11, s6, 1
	s_mov_b32 s16, 0
	s_mul_hi_i32 s17, s3, s11
	s_mul_i32 s11, s3, s11
	s_cmp_lg_u64 s[16:17], 0
	s_cbranch_scc0 .LBB61_22
; %bb.4:
	s_add_u32 s18, s9, 0
	s_addc_u32 s19, 0, 0
	s_xor_b64 s[18:19], s[18:19], 0
	v_cvt_f32_u32_e32 v1, s18
	v_cvt_f32_u32_e32 v2, s19
	s_sub_u32 s21, 0, s18
	s_subb_u32 s22, 0, s19
	v_fmamk_f32 v1, v2, 0x4f800000, v1
	v_rcp_f32_e32 v1, v1
	v_mul_f32_e32 v1, 0x5f7ffffc, v1
	v_mul_f32_e32 v2, 0x2f800000, v1
	v_trunc_f32_e32 v2, v2
	v_fmamk_f32 v1, v2, 0xcf800000, v1
	v_cvt_u32_f32_e32 v2, v2
	v_cvt_u32_f32_e32 v1, v1
	s_waitcnt lgkmcnt(0)
	v_readfirstlane_b32 s15, v2
	v_readfirstlane_b32 s20, v1
	s_mul_i32 s23, s21, s15
	s_mul_hi_u32 s25, s21, s20
	s_mul_i32 s24, s22, s20
	s_add_i32 s23, s25, s23
	s_mul_i32 s26, s21, s20
	s_add_i32 s23, s23, s24
	s_mul_hi_u32 s25, s20, s26
	s_mul_i32 s28, s20, s23
	s_mul_hi_u32 s27, s15, s26
	s_mul_i32 s24, s15, s26
	s_mul_hi_u32 s26, s20, s23
	s_add_u32 s25, s25, s28
	s_addc_u32 s26, 0, s26
	s_mul_hi_u32 s29, s15, s23
	s_add_u32 s24, s25, s24
	s_mul_i32 s23, s15, s23
	s_addc_u32 s24, s26, s27
	s_addc_u32 s25, s29, 0
	s_add_u32 s23, s24, s23
	s_addc_u32 s24, 0, s25
	s_add_u32 s20, s20, s23
	s_cselect_b32 s23, -1, 0
	s_mul_hi_u32 s25, s21, s20
	s_cmp_lg_u32 s23, 0
	s_mul_i32 s23, s21, s20
	s_addc_u32 s15, s15, s24
	s_mul_i32 s22, s22, s20
	s_mul_i32 s21, s21, s15
	s_mul_hi_u32 s24, s20, s23
	s_add_i32 s21, s25, s21
	s_mul_hi_u32 s25, s15, s23
	s_add_i32 s21, s21, s22
	s_mul_i32 s22, s15, s23
	s_mul_i32 s27, s20, s21
	s_mul_hi_u32 s26, s20, s21
	s_add_u32 s24, s24, s27
	s_addc_u32 s26, 0, s26
	s_mul_hi_u32 s23, s15, s21
	s_add_u32 s22, s24, s22
	s_mul_i32 s21, s15, s21
	s_addc_u32 s22, s26, s25
	s_addc_u32 s23, s23, 0
	s_add_u32 s21, s22, s21
	s_addc_u32 s22, 0, s23
	s_add_u32 s24, s20, s21
	s_cselect_b32 s20, -1, 0
	s_cmp_lg_u32 s20, 0
	s_addc_u32 s15, s15, s22
	s_ashr_i32 s20, s17, 31
	s_add_u32 s22, s11, s20
	s_mov_b32 s21, s20
	s_addc_u32 s23, s17, s20
	s_xor_b64 s[22:23], s[22:23], s[20:21]
	s_mul_i32 s25, s22, s15
	s_mul_hi_u32 s26, s22, s24
	s_mul_hi_u32 s17, s22, s15
	;; [unrolled: 1-line block ×3, first 2 shown]
	s_mul_i32 s24, s23, s24
	s_add_u32 s25, s26, s25
	s_addc_u32 s17, 0, s17
	s_mul_hi_u32 s27, s23, s15
	s_add_u32 s24, s25, s24
	s_mul_i32 s15, s23, s15
	s_addc_u32 s17, s17, s28
	s_addc_u32 s24, s27, 0
	s_add_u32 s15, s17, s15
	s_addc_u32 s17, 0, s24
	s_mul_hi_u32 s24, s18, s15
	s_mul_i32 s25, s18, s17
	s_mul_i32 s26, s19, s15
	s_add_i32 s24, s24, s25
	s_mul_i32 s25, s18, s15
	s_add_i32 s24, s24, s26
	s_sub_i32 s26, s23, s24
	s_sub_u32 s22, s22, s25
	s_cselect_b32 s25, -1, 0
	s_cmp_lg_u32 s25, 0
	s_subb_u32 s26, s26, s19
	s_sub_u32 s27, s22, s18
	s_cselect_b32 s28, -1, 0
	s_cmp_lg_u32 s28, 0
	s_subb_u32 s26, s26, 0
	s_cmp_ge_u32 s26, s19
	s_cselect_b32 s28, -1, 0
	s_cmp_ge_u32 s27, s18
	s_cselect_b32 s27, -1, 0
	s_cmp_eq_u32 s26, s19
	s_cselect_b32 s26, s27, s28
	s_add_u32 s27, s15, 1
	s_addc_u32 s28, s17, 0
	s_add_u32 s29, s15, 2
	s_addc_u32 s30, s17, 0
	s_cmp_lg_u32 s26, 0
	s_cselect_b32 s26, s29, s27
	s_cselect_b32 s27, s30, s28
	s_cmp_lg_u32 s25, 0
	s_subb_u32 s23, s23, s24
	s_cmp_ge_u32 s23, s19
	s_cselect_b32 s24, -1, 0
	s_cmp_ge_u32 s22, s18
	s_cselect_b32 s18, -1, 0
	s_cmp_eq_u32 s23, s19
	s_cselect_b32 s18, s18, s24
	s_cmp_lg_u32 s18, 0
	s_cselect_b32 s19, s27, s17
	s_cselect_b32 s18, s26, s15
	s_xor_b64 s[20:21], s[20:21], 0
	s_xor_b64 s[18:19], s[18:19], s[20:21]
	s_sub_u32 s18, s18, s20
	s_andn2_b32 vcc_lo, exec_lo, s16
	s_cbranch_vccnz .LBB61_6
.LBB61_5:
	v_cvt_f32_u32_e32 v1, s9
	s_sub_i32 s16, 0, s9
	v_rcp_iflag_f32_e32 v1, v1
	v_mul_f32_e32 v1, 0x4f7ffffe, v1
	v_cvt_u32_f32_e32 v1, v1
	s_waitcnt lgkmcnt(0)
	v_readfirstlane_b32 s15, v1
	s_mul_i32 s16, s16, s15
	s_mul_hi_u32 s16, s15, s16
	s_add_i32 s15, s15, s16
	s_mul_hi_u32 s15, s11, s15
	s_mul_i32 s16, s15, s9
	s_sub_i32 s11, s11, s16
	s_add_i32 s16, s15, 1
	s_sub_i32 s17, s11, s9
	s_cmp_ge_u32 s11, s9
	s_cselect_b32 s15, s16, s15
	s_cselect_b32 s11, s17, s11
	s_add_i32 s16, s15, 1
	s_cmp_ge_u32 s11, s9
	s_cselect_b32 s18, s16, s15
.LBB61_6:
	s_cmp_eq_u32 s10, s18
	s_waitcnt lgkmcnt(0)
	s_mul_hi_u32 s11, s10, s12
	s_cselect_b32 s15, -1, 0
	s_add_i32 s11, s11, s10
	s_lshr_b32 s11, s11, s13
	s_mul_i32 s16, s11, s14
	s_cmp_eq_u32 s16, s10
	s_mul_hi_u32 s16, s18, s12
	s_cselect_b32 s17, -1, 0
	s_add_i32 s16, s16, s18
	s_lshr_b32 s16, s16, s13
	s_cmp_eq_u32 s11, s16
	s_mul_i32 s16, s16, s14
	s_cselect_b32 s19, -1, 0
	s_cmp_lg_u32 s16, s18
	s_cselect_b32 s16, -1, 0
	s_or_b32 s15, s15, s17
	s_and_b32 s16, s19, s16
	s_or_b32 s15, s15, s16
	s_and_b32 vcc_lo, exec_lo, s15
	s_cbranch_vccnz .LBB61_24
; %bb.7:
	s_load_dwordx8 s[20:27], s[4:5], 0x20
	s_waitcnt lgkmcnt(0)
	s_mul_hi_u32 s15, s10, s20
	s_add_i32 s15, s15, s10
	s_lshr_b32 s20, s15, s21
	s_load_dword s15, s[4:5], 0x40
	s_mul_i32 s16, s20, s22
	s_sub_i32 s16, s10, s16
	s_mul_hi_u32 s17, s16, s23
	s_add_i32 s17, s16, s17
	s_lshr_b32 s22, s17, s24
	s_mul_i32 s17, s22, s25
	s_sub_i32 s16, s16, s17
	s_mul_hi_u32 s17, s16, s26
	s_add_i32 s17, s16, s17
	s_lshr_b32 s23, s17, s27
	s_waitcnt lgkmcnt(0)
	s_mul_i32 s15, s23, s15
	s_sub_i32 s15, s16, s15
	s_mul_hi_u32 s16, s15, s12
	s_add_i32 s15, s15, s16
	s_lshr_b32 s24, s15, s13
	s_lshl_b32 s15, s24, 4
	s_add_i32 s15, s15, s7
	s_cmp_lt_i32 s15, s0
	s_cselect_b32 s15, -1, 0
	s_add_i32 s16, s23, s8
	s_cmp_lt_i32 s16, s2
	s_cselect_b32 s16, -1, 0
	s_and_b32 s15, s15, s16
	s_andn2_b32 vcc_lo, exec_lo, s15
	s_cbranch_vccnz .LBB61_24
; %bb.8:
	s_load_dwordx4 s[16:19], s[4:5], 0x0
	s_mov_b32 s4, 0
	s_lshl_b32 s26, s9, 6
	s_mov_b32 s27, s4
	s_add_i32 s15, s7, s8
	s_lshl_b64 s[26:27], s[26:27], 2
	s_mul_i32 s0, s20, s0
	s_mul_i32 s22, s22, s2
	v_cvt_f32_u32_e32 v4, s9
	v_rcp_iflag_f32_e32 v4, v4
	s_waitcnt lgkmcnt(0)
	s_add_u32 s20, s18, s26
	s_addc_u32 s21, s19, s27
	s_add_i32 s0, s0, s7
	v_mul_f32_e32 v4, 0x4f7ffffe, v4
	s_mul_i32 s0, s0, s1
	s_mul_i32 s1, s1, s24
	s_add_i32 s0, s0, s8
	s_lshl_b32 s1, s1, 10
	s_add_i32 s0, s0, s22
	v_cvt_u32_f32_e32 v4, v4
	s_add_i32 s0, s0, s23
	s_lshl_b32 s0, s0, 6
	s_add_i32 s1, s1, s0
	s_lshl_b32 s0, s6, 4
	v_or_b32_e32 v1, s1, v0
	s_add_i32 s0, s0, s15
	v_lshl_or_b32 v0, s15, 6, v0
	s_ashr_i32 s1, s0, 31
	v_ashrrev_i32_e32 v2, 31, v1
	s_lshl_b64 s[0:1], s[0:1], 3
	s_add_u32 s0, s18, s0
	s_addc_u32 s1, s19, s1
	v_lshlrev_b64 v[1:2], 2, v[1:2]
	s_load_dwordx2 s[0:1], s[0:1], 0x0
	s_add_i32 s8, s6, -1
	s_sub_i32 s2, 0, s9
	v_add_co_u32 v1, vcc_lo, s16, v1
	v_add_co_ci_u32_e64 v2, null, s17, v2, vcc_lo
	global_load_dword v3, v[1:2], off
	s_waitcnt lgkmcnt(0)
	v_mov_b32_e32 v5, s1
	v_mov_b32_e32 v6, s0
.LBB61_9:                               ; =>This Inner Loop Header: Depth=1
	s_mul_hi_i32 s5, s8, s3
	s_mul_i32 s6, s8, s3
	s_cmp_lg_u64 s[4:5], 0
	s_mov_b32 s7, -1
                                        ; implicit-def: $sgpr0_sgpr1
	s_cbranch_scc0 .LBB61_11
; %bb.10:                               ;   in Loop: Header=BB61_9 Depth=1
	s_add_u32 s0, s9, 0
	s_addc_u32 s1, 0, 0
	s_xor_b64 s[0:1], s[0:1], 0
	v_cvt_f32_u32_e32 v7, s0
	v_cvt_f32_u32_e32 v8, s1
	s_sub_u32 s17, 0, s0
	s_subb_u32 s22, 0, s1
	v_fmac_f32_e32 v7, 0x4f800000, v8
	v_rcp_f32_e32 v7, v7
	v_mul_f32_e32 v7, 0x5f7ffffc, v7
	v_mul_f32_e32 v8, 0x2f800000, v7
	v_trunc_f32_e32 v8, v8
	v_fmac_f32_e32 v7, 0xcf800000, v8
	v_cvt_u32_f32_e32 v8, v8
	v_cvt_u32_f32_e32 v7, v7
	v_readfirstlane_b32 s7, v8
	v_readfirstlane_b32 s16, v7
	s_mul_i32 s23, s17, s7
	s_mul_hi_u32 s25, s17, s16
	s_mul_i32 s24, s22, s16
	s_add_i32 s23, s25, s23
	s_mul_i32 s26, s17, s16
	s_add_i32 s23, s23, s24
	s_mul_hi_u32 s25, s16, s26
	s_mul_i32 s28, s16, s23
	s_mul_hi_u32 s27, s7, s26
	s_mul_i32 s24, s7, s26
	s_mul_hi_u32 s26, s16, s23
	s_add_u32 s25, s25, s28
	s_addc_u32 s26, 0, s26
	s_mul_hi_u32 s29, s7, s23
	s_add_u32 s24, s25, s24
	s_mul_i32 s23, s7, s23
	s_addc_u32 s24, s26, s27
	s_addc_u32 s25, s29, 0
	s_add_u32 s23, s24, s23
	s_addc_u32 s24, 0, s25
	s_add_u32 s16, s16, s23
	s_cselect_b32 s23, -1, 0
	s_mul_hi_u32 s25, s17, s16
	s_cmp_lg_u32 s23, 0
	s_mul_i32 s23, s17, s16
	s_addc_u32 s7, s7, s24
	s_mul_i32 s22, s22, s16
	s_mul_i32 s17, s17, s7
	s_mul_hi_u32 s24, s16, s23
	s_add_i32 s17, s25, s17
	s_mul_hi_u32 s25, s7, s23
	s_add_i32 s17, s17, s22
	s_mul_i32 s22, s7, s23
	s_mul_i32 s27, s16, s17
	s_mul_hi_u32 s26, s16, s17
	s_add_u32 s24, s24, s27
	s_addc_u32 s26, 0, s26
	s_mul_hi_u32 s23, s7, s17
	s_add_u32 s22, s24, s22
	s_mul_i32 s17, s7, s17
	s_addc_u32 s22, s26, s25
	s_addc_u32 s23, s23, 0
	s_add_u32 s17, s22, s17
	s_addc_u32 s22, 0, s23
	s_add_u32 s24, s16, s17
	s_cselect_b32 s16, -1, 0
	s_cmp_lg_u32 s16, 0
	s_addc_u32 s7, s7, s22
	s_ashr_i32 s16, s5, 31
	s_add_u32 s22, s6, s16
	s_mov_b32 s17, s16
	s_addc_u32 s23, s5, s16
	s_xor_b64 s[22:23], s[22:23], s[16:17]
	s_mul_i32 s25, s22, s7
	s_mul_hi_u32 s26, s22, s24
	s_mul_hi_u32 s5, s22, s7
	;; [unrolled: 1-line block ×3, first 2 shown]
	s_mul_i32 s24, s23, s24
	s_add_u32 s25, s26, s25
	s_addc_u32 s5, 0, s5
	s_mul_hi_u32 s27, s23, s7
	s_add_u32 s24, s25, s24
	s_mul_i32 s7, s23, s7
	s_addc_u32 s5, s5, s28
	s_addc_u32 s24, s27, 0
	s_add_u32 s5, s5, s7
	s_addc_u32 s7, 0, s24
	s_mul_hi_u32 s24, s0, s5
	s_mul_i32 s25, s0, s7
	s_mul_i32 s26, s1, s5
	s_add_i32 s24, s24, s25
	s_mul_i32 s25, s0, s5
	s_add_i32 s24, s24, s26
	s_sub_i32 s26, s23, s24
	s_sub_u32 s22, s22, s25
	s_cselect_b32 s25, -1, 0
	s_cmp_lg_u32 s25, 0
	s_subb_u32 s26, s26, s1
	s_sub_u32 s27, s22, s0
	s_cselect_b32 s28, -1, 0
	s_cmp_lg_u32 s28, 0
	s_subb_u32 s26, s26, 0
	s_cmp_ge_u32 s26, s1
	s_cselect_b32 s28, -1, 0
	s_cmp_ge_u32 s27, s0
	s_cselect_b32 s27, -1, 0
	s_cmp_eq_u32 s26, s1
	s_cselect_b32 s26, s27, s28
	s_add_u32 s27, s5, 1
	s_addc_u32 s28, s7, 0
	s_add_u32 s29, s5, 2
	s_addc_u32 s30, s7, 0
	s_cmp_lg_u32 s26, 0
	s_cselect_b32 s26, s29, s27
	s_cselect_b32 s27, s30, s28
	s_cmp_lg_u32 s25, 0
	s_subb_u32 s23, s23, s24
	s_cmp_ge_u32 s23, s1
	s_cselect_b32 s24, -1, 0
	s_cmp_ge_u32 s22, s0
	s_cselect_b32 s0, -1, 0
	s_cmp_eq_u32 s23, s1
	s_cselect_b32 s0, s0, s24
	s_cmp_lg_u32 s0, 0
	s_cselect_b32 s1, s27, s7
	s_cselect_b32 s0, s26, s5
	s_xor_b64 s[16:17], s[16:17], 0
	s_mov_b32 s7, 0
	s_xor_b64 s[0:1], s[0:1], s[16:17]
	s_sub_u32 s0, s0, s16
.LBB61_11:                              ;   in Loop: Header=BB61_9 Depth=1
	s_andn2_b32 vcc_lo, exec_lo, s7
	s_cbranch_vccnz .LBB61_13
; %bb.12:                               ;   in Loop: Header=BB61_9 Depth=1
	v_readfirstlane_b32 s0, v4
	s_mul_i32 s1, s2, s0
	s_mul_hi_u32 s1, s0, s1
	s_add_i32 s0, s0, s1
	s_mul_hi_u32 s0, s6, s0
	s_mul_i32 s1, s0, s9
	s_add_i32 s5, s0, 1
	s_sub_i32 s1, s6, s1
	s_sub_i32 s6, s1, s9
	s_cmp_ge_u32 s1, s9
	s_cselect_b32 s0, s5, s0
	s_cselect_b32 s1, s6, s1
	s_add_i32 s5, s0, 1
	s_cmp_ge_u32 s1, s9
	s_cselect_b32 s0, s5, s0
.LBB61_13:                              ;   in Loop: Header=BB61_9 Depth=1
	s_cmp_lg_u32 s10, s0
	s_mov_b32 s6, -1
                                        ; implicit-def: $sgpr5
                                        ; implicit-def: $vgpr8
                                        ; implicit-def: $vgpr7
                                        ; implicit-def: $vgpr9
                                        ; implicit-def: $sgpr1
                                        ; implicit-def: $sgpr16
	s_cbranch_scc0 .LBB61_18
; %bb.14:                               ;   in Loop: Header=BB61_9 Depth=1
	s_add_i32 s1, s8, s9
	s_mov_b32 s7, s4
	s_lshl_b32 s1, s1, 4
	s_mov_b32 s16, s10
	s_add_i32 s6, s1, s15
	s_mul_hi_u32 s1, s0, s12
	s_lshl_b64 s[6:7], s[6:7], 3
	s_add_u32 s6, s18, s6
	s_addc_u32 s7, s19, s7
	s_add_i32 s1, s1, s0
	s_lshr_b32 s1, s1, s13
	s_mul_i32 s5, s1, s14
	s_cmp_eq_u32 s5, s0
	s_cselect_b32 s5, -1, 0
	s_cmp_lt_u32 s1, s11
	s_cselect_b32 s1, -1, 0
	s_or_b32 s1, s1, s5
	s_mov_b32 s5, -1
	s_and_b32 vcc_lo, exec_lo, s1
	s_mov_b32 s1, s8
	s_cbranch_vccnz .LBB61_16
; %bb.15:                               ;   in Loop: Header=BB61_9 Depth=1
	s_add_i32 s1, s8, -1
	s_mov_b32 s5, 0
	s_mov_b32 s16, s0
.LBB61_16:                              ;   in Loop: Header=BB61_9 Depth=1
	v_lshl_add_u32 v7, s8, 10, v0
	s_load_dwordx2 s[6:7], s[6:7], 0x0
	v_ashrrev_i32_e32 v8, 31, v7
	v_lshlrev_b64 v[7:8], 2, v[7:8]
	v_add_co_u32 v7, vcc_lo, s20, v7
	v_add_co_ci_u32_e64 v8, null, s21, v8, vcc_lo
	s_waitcnt lgkmcnt(0)
	v_max_f32_e64 v9, s6, s6
	global_load_dword v8, v[7:8], off
	v_max_f32_e32 v7, v6, v6
	v_max_f32_e32 v7, v7, v9
	v_sub_f32_e32 v9, s6, v7
	v_sub_f32_e32 v10, v6, v7
	v_mul_f32_e32 v11, 0x3fb8aa3b, v9
	v_mul_f32_e32 v12, 0x3fb8aa3b, v10
	v_cmp_ngt_f32_e32 vcc_lo, 0xc2ce8ed0, v9
	v_fma_f32 v13, 0x3fb8aa3b, v9, -v11
	v_rndne_f32_e32 v14, v11
	v_fma_f32 v15, 0x3fb8aa3b, v10, -v12
	v_rndne_f32_e32 v16, v12
	v_fmac_f32_e32 v13, 0x32a5705f, v9
	v_sub_f32_e32 v11, v11, v14
	v_fmac_f32_e32 v15, 0x32a5705f, v10
	v_sub_f32_e32 v12, v12, v16
	v_add_f32_e32 v11, v11, v13
	v_cvt_i32_f32_e32 v13, v14
	v_add_f32_e32 v12, v12, v15
	v_cvt_i32_f32_e32 v14, v16
	v_exp_f32_e32 v11, v11
	v_exp_f32_e32 v12, v12
	v_ldexp_f32 v11, v11, v13
	v_ldexp_f32 v12, v12, v14
	v_cndmask_b32_e32 v11, 0, v11, vcc_lo
	v_cmp_ngt_f32_e32 vcc_lo, 0xc2ce8ed0, v10
	v_cndmask_b32_e32 v12, 0, v12, vcc_lo
	v_cmp_nlt_f32_e32 vcc_lo, 0x42b17218, v9
	v_cndmask_b32_e32 v11, 0x7f800000, v11, vcc_lo
	v_cmp_nlt_f32_e32 vcc_lo, 0x42b17218, v10
	v_cndmask_b32_e32 v12, 0x7f800000, v12, vcc_lo
	v_cmp_le_f32_e32 vcc_lo, 0xc1a00000, v9
	v_cndmask_b32_e32 v9, 0, v11, vcc_lo
	v_cmp_le_f32_e32 vcc_lo, 0xc1a00000, v10
	v_cndmask_b32_e32 v10, 0, v12, vcc_lo
	s_waitcnt vmcnt(0)
	v_mul_f32_e32 v8, v8, v9
	v_mul_f32_e32 v9, s7, v9
	v_fmac_f32_e32 v8, v3, v10
	v_fmac_f32_e32 v9, v5, v10
	s_cbranch_execz .LBB61_19
.LBB61_17:                              ;   in Loop: Header=BB61_9 Depth=1
	s_andn2_b32 vcc_lo, exec_lo, s5
	s_cbranch_vccnz .LBB61_20
	s_branch .LBB61_23
.LBB61_18:                              ;   in Loop: Header=BB61_9 Depth=1
	s_andn2_b32 vcc_lo, exec_lo, s6
	s_cbranch_vccnz .LBB61_17
.LBB61_19:                              ;   in Loop: Header=BB61_9 Depth=1
	v_mov_b32_e32 v9, v5
	v_mov_b32_e32 v7, v6
	s_waitcnt vmcnt(0)
	v_mov_b32_e32 v8, v3
	s_add_i32 s1, s8, -1
	s_mov_b32 s16, s10
	s_cbranch_execz .LBB61_23
.LBB61_20:                              ;   in Loop: Header=BB61_9 Depth=1
	v_mov_b32_e32 v5, v9
	v_mov_b32_e32 v6, v7
	s_waitcnt vmcnt(0)
	v_mov_b32_e32 v3, v8
	s_mov_b32 s10, s16
	s_mov_b32 s8, s1
	s_branch .LBB61_9
.LBB61_21:
                                        ; implicit-def: $sgpr10_sgpr11
	s_load_dwordx4 s[12:15], s[4:5], 0x44
	s_branch .LBB61_2
.LBB61_22:
                                        ; implicit-def: $sgpr18_sgpr19
	s_branch .LBB61_5
.LBB61_23:
	v_div_scale_f32 v0, null, v9, v9, v8
	s_waitcnt vmcnt(0)
	v_rcp_f32_e32 v3, v0
	v_fma_f32 v4, -v0, v3, 1.0
	v_fmac_f32_e32 v3, v4, v3
	v_div_scale_f32 v4, vcc_lo, v8, v9, v8
	v_mul_f32_e32 v5, v4, v3
	v_fma_f32 v6, -v0, v5, v4
	v_fmac_f32_e32 v5, v6, v3
	v_fma_f32 v0, -v0, v5, v4
	v_div_fmas_f32 v0, v0, v3, v5
	v_div_fixup_f32 v0, v0, v9, v8
	global_store_dword v[1:2], v0, off
.LBB61_24:
	s_endpgm
	.section	.rodata,"a",@progbits
	.p2align	6, 0x0
	.amdhsa_kernel _ZL33flash_attn_stream_k_fixup_generalILi64ELi16ELi1EEvPfPK15HIP_vector_typeIfLj2EEiiiiS1_IjLj3EES5_S5_S5_
		.amdhsa_group_segment_fixed_size 0
		.amdhsa_private_segment_fixed_size 0
		.amdhsa_kernarg_size 336
		.amdhsa_user_sgpr_count 6
		.amdhsa_user_sgpr_private_segment_buffer 1
		.amdhsa_user_sgpr_dispatch_ptr 0
		.amdhsa_user_sgpr_queue_ptr 0
		.amdhsa_user_sgpr_kernarg_segment_ptr 1
		.amdhsa_user_sgpr_dispatch_id 0
		.amdhsa_user_sgpr_flat_scratch_init 0
		.amdhsa_user_sgpr_private_segment_size 0
		.amdhsa_wavefront_size32 1
		.amdhsa_uses_dynamic_stack 0
		.amdhsa_system_sgpr_private_segment_wavefront_offset 0
		.amdhsa_system_sgpr_workgroup_id_x 1
		.amdhsa_system_sgpr_workgroup_id_y 1
		.amdhsa_system_sgpr_workgroup_id_z 1
		.amdhsa_system_sgpr_workgroup_info 0
		.amdhsa_system_vgpr_workitem_id 0
		.amdhsa_next_free_vgpr 17
		.amdhsa_next_free_sgpr 31
		.amdhsa_reserve_vcc 1
		.amdhsa_reserve_flat_scratch 0
		.amdhsa_float_round_mode_32 0
		.amdhsa_float_round_mode_16_64 0
		.amdhsa_float_denorm_mode_32 3
		.amdhsa_float_denorm_mode_16_64 3
		.amdhsa_dx10_clamp 1
		.amdhsa_ieee_mode 1
		.amdhsa_fp16_overflow 0
		.amdhsa_workgroup_processor_mode 1
		.amdhsa_memory_ordered 1
		.amdhsa_forward_progress 1
		.amdhsa_shared_vgpr_count 0
		.amdhsa_exception_fp_ieee_invalid_op 0
		.amdhsa_exception_fp_denorm_src 0
		.amdhsa_exception_fp_ieee_div_zero 0
		.amdhsa_exception_fp_ieee_overflow 0
		.amdhsa_exception_fp_ieee_underflow 0
		.amdhsa_exception_fp_ieee_inexact 0
		.amdhsa_exception_int_div_zero 0
	.end_amdhsa_kernel
	.section	.text._ZL33flash_attn_stream_k_fixup_generalILi64ELi16ELi1EEvPfPK15HIP_vector_typeIfLj2EEiiiiS1_IjLj3EES5_S5_S5_,"axG",@progbits,_ZL33flash_attn_stream_k_fixup_generalILi64ELi16ELi1EEvPfPK15HIP_vector_typeIfLj2EEiiiiS1_IjLj3EES5_S5_S5_,comdat
.Lfunc_end61:
	.size	_ZL33flash_attn_stream_k_fixup_generalILi64ELi16ELi1EEvPfPK15HIP_vector_typeIfLj2EEiiiiS1_IjLj3EES5_S5_S5_, .Lfunc_end61-_ZL33flash_attn_stream_k_fixup_generalILi64ELi16ELi1EEvPfPK15HIP_vector_typeIfLj2EEiiiiS1_IjLj3EES5_S5_S5_
                                        ; -- End function
	.set _ZL33flash_attn_stream_k_fixup_generalILi64ELi16ELi1EEvPfPK15HIP_vector_typeIfLj2EEiiiiS1_IjLj3EES5_S5_S5_.num_vgpr, 17
	.set _ZL33flash_attn_stream_k_fixup_generalILi64ELi16ELi1EEvPfPK15HIP_vector_typeIfLj2EEiiiiS1_IjLj3EES5_S5_S5_.num_agpr, 0
	.set _ZL33flash_attn_stream_k_fixup_generalILi64ELi16ELi1EEvPfPK15HIP_vector_typeIfLj2EEiiiiS1_IjLj3EES5_S5_S5_.numbered_sgpr, 31
	.set _ZL33flash_attn_stream_k_fixup_generalILi64ELi16ELi1EEvPfPK15HIP_vector_typeIfLj2EEiiiiS1_IjLj3EES5_S5_S5_.num_named_barrier, 0
	.set _ZL33flash_attn_stream_k_fixup_generalILi64ELi16ELi1EEvPfPK15HIP_vector_typeIfLj2EEiiiiS1_IjLj3EES5_S5_S5_.private_seg_size, 0
	.set _ZL33flash_attn_stream_k_fixup_generalILi64ELi16ELi1EEvPfPK15HIP_vector_typeIfLj2EEiiiiS1_IjLj3EES5_S5_S5_.uses_vcc, 1
	.set _ZL33flash_attn_stream_k_fixup_generalILi64ELi16ELi1EEvPfPK15HIP_vector_typeIfLj2EEiiiiS1_IjLj3EES5_S5_S5_.uses_flat_scratch, 0
	.set _ZL33flash_attn_stream_k_fixup_generalILi64ELi16ELi1EEvPfPK15HIP_vector_typeIfLj2EEiiiiS1_IjLj3EES5_S5_S5_.has_dyn_sized_stack, 0
	.set _ZL33flash_attn_stream_k_fixup_generalILi64ELi16ELi1EEvPfPK15HIP_vector_typeIfLj2EEiiiiS1_IjLj3EES5_S5_S5_.has_recursion, 0
	.set _ZL33flash_attn_stream_k_fixup_generalILi64ELi16ELi1EEvPfPK15HIP_vector_typeIfLj2EEiiiiS1_IjLj3EES5_S5_S5_.has_indirect_call, 0
	.section	.AMDGPU.csdata,"",@progbits
; Kernel info:
; codeLenInByte = 2936
; TotalNumSgprs: 33
; NumVgprs: 17
; ScratchSize: 0
; MemoryBound: 0
; FloatMode: 240
; IeeeMode: 1
; LDSByteSize: 0 bytes/workgroup (compile time only)
; SGPRBlocks: 0
; VGPRBlocks: 2
; NumSGPRsForWavesPerEU: 33
; NumVGPRsForWavesPerEU: 17
; Occupancy: 16
; WaveLimiterHint : 0
; COMPUTE_PGM_RSRC2:SCRATCH_EN: 0
; COMPUTE_PGM_RSRC2:USER_SGPR: 6
; COMPUTE_PGM_RSRC2:TRAP_HANDLER: 0
; COMPUTE_PGM_RSRC2:TGID_X_EN: 1
; COMPUTE_PGM_RSRC2:TGID_Y_EN: 1
; COMPUTE_PGM_RSRC2:TGID_Z_EN: 1
; COMPUTE_PGM_RSRC2:TIDIG_COMP_CNT: 0
	.section	.text._ZL15flash_attn_tileILi64ELi64ELi8ELi1ELb0EEvPKcS1_S1_S1_S1_PKiPfP15HIP_vector_typeIfLj2EEffffjfiS5_IjLj3EEiiiiiiiiiiiliiliiiiil,"axG",@progbits,_ZL15flash_attn_tileILi64ELi64ELi8ELi1ELb0EEvPKcS1_S1_S1_S1_PKiPfP15HIP_vector_typeIfLj2EEffffjfiS5_IjLj3EEiiiiiiiiiiiliiliiiiil,comdat
	.globl	_ZL15flash_attn_tileILi64ELi64ELi8ELi1ELb0EEvPKcS1_S1_S1_S1_PKiPfP15HIP_vector_typeIfLj2EEffffjfiS5_IjLj3EEiiiiiiiiiiiliiliiiiil ; -- Begin function _ZL15flash_attn_tileILi64ELi64ELi8ELi1ELb0EEvPKcS1_S1_S1_S1_PKiPfP15HIP_vector_typeIfLj2EEffffjfiS5_IjLj3EEiiiiiiiiiiiliiliiiiil
	.p2align	8
	.type	_ZL15flash_attn_tileILi64ELi64ELi8ELi1ELb0EEvPKcS1_S1_S1_S1_PKiPfP15HIP_vector_typeIfLj2EEffffjfiS5_IjLj3EEiiiiiiiiiiiliiliiiiil,@function
_ZL15flash_attn_tileILi64ELi64ELi8ELi1ELb0EEvPKcS1_S1_S1_S1_PKiPfP15HIP_vector_typeIfLj2EEffffjfiS5_IjLj3EEiiiiiiiiiiiliiliiiiil: ; @_ZL15flash_attn_tileILi64ELi64ELi8ELi1ELb0EEvPKcS1_S1_S1_S1_PKiPfP15HIP_vector_typeIfLj2EEffffjfiS5_IjLj3EEiiiiiiiiiiiliiliiiiil
; %bb.0:
	s_add_u32 s6, s6, s11
	s_addc_u32 s7, s7, 0
	s_setreg_b32 hwreg(HW_REG_FLAT_SCR_LO), s6
	s_setreg_b32 hwreg(HW_REG_FLAT_SCR_HI), s7
	s_clause 0x1
	s_load_dwordx4 s[28:31], s[4:5], 0x5c
	s_load_dwordx2 s[48:49], s[4:5], 0x80
	s_add_u32 s0, s0, s11
	s_addc_u32 s1, s1, 0
	s_mov_b32 s34, s9
	s_load_dwordx2 s[50:51], s[4:5], 0xb8
	s_mov_b64 s[46:47], 0
	s_waitcnt lgkmcnt(0)
	v_cvt_f32_u32_e32 v2, s31
	s_sub_i32 s7, 0, s31
	v_rcp_iflag_f32_e32 v2, v2
	v_mul_f32_e32 v2, 0x4f7ffffe, v2
	v_cvt_u32_f32_e32 v2, v2
	v_readfirstlane_b32 s6, v2
	s_mul_i32 s7, s7, s6
	s_mul_hi_u32 s7, s6, s7
	s_add_i32 s6, s6, s7
	s_mul_hi_u32 s6, s10, s6
	s_mul_i32 s7, s6, s31
	s_add_i32 s9, s6, 1
	s_sub_i32 s7, s10, s7
	s_sub_i32 s11, s7, s31
	s_cmp_ge_u32 s7, s31
	s_cselect_b32 s6, s9, s6
	s_cselect_b32 s7, s11, s7
	s_add_i32 s9, s6, 1
	s_cmp_ge_u32 s7, s31
	s_cselect_b32 s33, s9, s6
	s_abs_i32 s6, s49
	s_abs_i32 s12, s31
	v_cvt_f32_u32_e32 v2, s6
	s_sub_i32 s9, 0, s6
	s_mul_i32 s11, s33, s31
	s_sub_i32 s44, s10, s11
	v_rcp_iflag_f32_e32 v2, v2
	v_mul_f32_e32 v2, 0x4f7ffffe, v2
	v_cvt_u32_f32_e32 v2, v2
	v_readfirstlane_b32 s7, v2
	s_mul_i32 s9, s9, s7
	s_mul_hi_u32 s9, s7, s9
	s_add_i32 s7, s7, s9
	s_xor_b32 s9, s31, s49
	s_mul_hi_u32 s7, s12, s7
	s_ashr_i32 s9, s9, 31
	s_mul_i32 s10, s7, s6
	s_add_i32 s11, s7, 1
	s_sub_i32 s10, s12, s10
	s_sub_i32 s12, s10, s6
	s_cmp_ge_u32 s10, s6
	s_cselect_b32 s7, s11, s7
	s_cselect_b32 s10, s12, s10
	s_add_i32 s11, s7, 1
	s_cmp_ge_u32 s10, s6
	s_load_dwordx16 s[12:27], s[4:5], 0x0
	s_cselect_b32 s6, s11, s7
	s_abs_i32 s52, s44
	s_xor_b32 s6, s6, s9
	s_sub_i32 s10, s6, s9
	s_abs_i32 s49, s10
	v_cvt_f32_u32_e32 v2, s49
	s_sub_i32 s7, 0, s49
	v_rcp_iflag_f32_e32 v2, v2
	v_mul_f32_e32 v2, 0x4f7ffffe, v2
	v_cvt_u32_f32_e32 v2, v2
	v_readfirstlane_b32 s6, v2
	s_mul_i32 s7, s7, s6
	s_mul_hi_u32 s7, s6, s7
	s_add_i32 s6, s6, s7
	s_waitcnt lgkmcnt(0)
	s_cmp_eq_u64 s[18:19], 0
	s_cbranch_scc1 .LBB62_2
; %bb.1:
	s_abs_i32 s7, s50
	s_abs_i32 s35, s33
	v_cvt_f32_u32_e32 v2, s7
	s_sub_i32 s11, 0, s7
	s_load_dwordx2 s[36:37], s[4:5], 0xc8
	v_rcp_iflag_f32_e32 v2, v2
	v_mul_f32_e32 v2, 0x4f7ffffe, v2
	v_cvt_u32_f32_e32 v2, v2
	v_readfirstlane_b32 s9, v2
	s_mul_i32 s11, s11, s9
	s_mul_hi_u32 s11, s9, s11
	s_add_i32 s9, s9, s11
	s_ashr_i32 s11, s33, 31
	s_mul_hi_u32 s9, s35, s9
	s_mul_i32 s9, s9, s7
	s_sub_i32 s9, s35, s9
	s_sub_i32 s35, s9, s7
	s_cmp_ge_u32 s9, s7
	s_cselect_b32 s9, s35, s9
	s_sub_i32 s35, s9, s7
	s_cmp_ge_u32 s9, s7
	s_cselect_b32 s7, s35, s9
	s_xor_b32 s7, s7, s11
	s_sub_i32 s7, s7, s11
	s_ashr_i32 s9, s7, 31
	s_waitcnt lgkmcnt(0)
	s_mul_hi_u32 s11, s36, s7
	s_mul_i32 s9, s36, s9
	s_add_i32 s9, s11, s9
	s_mul_i32 s11, s37, s7
	s_mul_i32 s7, s36, s7
	s_add_i32 s9, s9, s11
	s_add_u32 s46, s18, s7
	s_addc_u32 s47, s19, s9
.LBB62_2:
	s_clause 0x1
	s_load_dwordx4 s[36:39], s[4:5], 0x40
	s_load_dword s7, s[4:5], 0x50
	v_mov_b32_e32 v42, 1.0
	s_mul_hi_u32 s18, s52, s6
	s_waitcnt lgkmcnt(0)
	v_cmp_le_f32_e64 s9, s37, 0
	s_and_b32 vcc_lo, exec_lo, s9
	s_cbranch_vccnz .LBB62_4
; %bb.3:
	v_sub_co_u32 v3, vcc_lo, s44, s7
	v_mov_b32_e32 v2, s38
	s_add_i32 s6, s44, 1
	v_lshlrev_b32_e32 v3, 1, v3
	v_cndmask_b32_e32 v2, s39, v2, vcc_lo
	v_or_b32_e32 v3, 1, v3
	v_cndmask_b32_e64 v3, v3, s6, vcc_lo
	v_cmp_neq_f32_e32 vcc_lo, 1.0, v2
	s_mov_b32 s6, 0x3e76c4e1
	v_cvt_f32_i32_e32 v3, v3
	v_cndmask_b32_e32 v4, 1.0, v3, vcc_lo
	v_cmp_neq_f32_e32 vcc_lo, 0, v4
	v_cndmask_b32_e32 v5, 1.0, v2, vcc_lo
	v_frexp_mant_f32_e64 v2, |v5|
	v_cmp_eq_f32_e64 s9, 0, v5
	v_cmp_gt_f32_e32 vcc_lo, 0x3f2aaaab, v2
	v_cndmask_b32_e64 v3, 1.0, 2.0, vcc_lo
	v_mul_f32_e32 v2, v2, v3
	v_add_f32_e32 v3, 1.0, v2
	v_add_f32_e32 v7, -1.0, v2
	v_rcp_f32_e32 v6, v3
	v_add_f32_e32 v9, -1.0, v3
	v_sub_f32_e32 v2, v2, v9
	v_mul_f32_e32 v8, v7, v6
	v_mul_f32_e32 v10, v3, v8
	v_fma_f32 v3, v8, v3, -v10
	v_fmac_f32_e32 v3, v8, v2
	v_add_f32_e32 v2, v10, v3
	v_sub_f32_e32 v9, v7, v2
	v_sub_f32_e32 v10, v2, v10
	;; [unrolled: 1-line block ×5, first 2 shown]
	v_add_f32_e32 v2, v3, v2
	v_add_f32_e32 v2, v9, v2
	v_mul_f32_e32 v2, v6, v2
	v_add_f32_e32 v6, v8, v2
	v_sub_f32_e32 v3, v6, v8
	v_mul_f32_e32 v7, v6, v6
	v_sub_f32_e32 v8, v2, v3
	v_fma_f32 v2, v6, v6, -v7
	v_add_f32_e32 v3, v8, v8
	v_fmac_f32_e32 v2, v6, v3
	v_add_f32_e32 v9, v7, v2
	v_fmaak_f32 v3, s6, v9, 0x3e91f4c4
	v_sub_f32_e32 v7, v9, v7
	v_mul_f32_e32 v14, v6, v9
	v_fmaak_f32 v3, v9, v3, 0x3ecccdef
	v_sub_f32_e32 v7, v2, v7
	v_fma_f32 v15, v9, v6, -v14
	v_mul_f32_e32 v10, v9, v3
	v_fmac_f32_e32 v15, v9, v8
	v_ldexp_f32 v8, v8, 1
	v_fma_f32 v11, v9, v3, -v10
	v_fmac_f32_e32 v15, v7, v6
	v_fmac_f32_e32 v11, v7, v3
	v_cvt_f64_f32_e64 v[2:3], |v5|
	v_add_f32_e32 v12, v10, v11
	v_sub_f32_e32 v10, v12, v10
	v_add_f32_e32 v13, 0x3f2aaaaa, v12
	v_sub_f32_e32 v10, v11, v10
	v_add_f32_e32 v11, 0xbf2aaaaa, v13
	v_add_f32_e32 v10, 0x31739010, v10
	v_sub_f32_e32 v11, v12, v11
	v_frexp_exp_i32_f64_e32 v2, v[2:3]
	v_add_f32_e32 v9, v10, v11
	v_add_f32_e32 v10, v14, v15
	;; [unrolled: 1-line block ×3, first 2 shown]
	v_sub_f32_e32 v12, v10, v14
	v_sub_f32_e32 v3, v13, v7
	v_mul_f32_e32 v11, v10, v7
	v_sub_f32_e32 v12, v15, v12
	v_add_f32_e32 v3, v9, v3
	v_fma_f32 v9, v10, v7, -v11
	v_subrev_co_ci_u32_e64 v2, null, 0, v2, vcc_lo
	v_fmac_f32_e32 v9, v10, v3
	v_ldexp_f32 v3, v6, 1
	v_cvt_f32_i32_e32 v2, v2
	v_fmac_f32_e32 v9, v12, v7
	v_add_f32_e32 v6, v11, v9
	v_add_f32_e32 v7, v3, v6
	v_sub_f32_e32 v10, v6, v11
	v_mul_f32_e32 v11, 0x3f317218, v2
	v_sub_f32_e32 v3, v7, v3
	v_sub_f32_e32 v9, v9, v10
	v_fma_f32 v10, 0x3f317218, v2, -v11
	v_sub_f32_e32 v3, v6, v3
	v_add_f32_e32 v6, v8, v9
	v_fmamk_f32 v2, v2, 0xb102e308, v10
	v_add_f32_e32 v3, v6, v3
	v_add_f32_e32 v6, v11, v2
	;; [unrolled: 1-line block ×3, first 2 shown]
	v_sub_f32_e32 v11, v6, v11
	v_add_f32_e32 v9, v6, v8
	v_sub_f32_e32 v7, v8, v7
	v_sub_f32_e32 v2, v2, v11
	;; [unrolled: 1-line block ×6, first 2 shown]
	v_add_f32_e32 v8, v2, v3
	v_sub_f32_e32 v6, v6, v12
	v_add_f32_e32 v6, v7, v6
	v_sub_f32_e32 v7, v8, v2
	;; [unrolled: 2-line block ×3, first 2 shown]
	v_sub_f32_e32 v3, v3, v7
	v_add_f32_e32 v10, v9, v6
	v_sub_f32_e32 v2, v2, v8
	v_sub_f32_e32 v7, v10, v9
	v_add_f32_e32 v2, v3, v2
	v_sub_f32_e32 v3, v6, v7
	v_add_f32_e32 v2, v2, v3
	v_add_f32_e32 v3, v10, v2
	v_sub_f32_e32 v6, v3, v10
	v_mul_f32_e32 v7, v4, v3
	v_sub_f32_e32 v2, v2, v6
	v_fma_f32 v3, v4, v3, -v7
	v_cmp_class_f32_e64 vcc_lo, v7, 0x204
	v_fmac_f32_e32 v3, v4, v2
	v_add_f32_e32 v2, v7, v3
	v_cndmask_b32_e32 v6, v2, v7, vcc_lo
	v_sub_f32_e32 v2, v2, v7
	v_cmp_eq_f32_e32 vcc_lo, 0x42b17218, v6
	v_sub_f32_e32 v2, v3, v2
	v_cndmask_b32_e64 v8, 0, 0x37000000, vcc_lo
	v_cmp_neq_f32_e64 vcc_lo, 0x7f800000, |v6|
	v_sub_f32_e32 v9, v6, v8
	v_cndmask_b32_e32 v2, 0, v2, vcc_lo
	v_trunc_f32_e32 v6, v4
	v_mul_f32_e32 v10, 0x3fb8aa3b, v9
	v_cmp_ngt_f32_e32 vcc_lo, 0xc2ce8ed0, v9
	v_add_f32_e32 v2, v8, v2
	v_fma_f32 v11, 0x3fb8aa3b, v9, -v10
	v_rndne_f32_e32 v12, v10
	v_fmamk_f32 v11, v9, 0x32a5705f, v11
	v_sub_f32_e32 v10, v10, v12
	v_cvt_i32_f32_e32 v7, v12
	v_add_f32_e32 v10, v10, v11
	v_exp_f32_e32 v10, v10
	v_ldexp_f32 v3, v10, v7
	v_mul_f32_e32 v7, 0.5, v4
	v_cndmask_b32_e32 v3, 0, v3, vcc_lo
	v_cmp_nlt_f32_e32 vcc_lo, 0x42b17218, v9
	v_trunc_f32_e32 v10, v7
	v_cndmask_b32_e32 v3, 0x7f800000, v3, vcc_lo
	v_cmp_eq_f32_e32 vcc_lo, v6, v4
	v_cmp_neq_f32_e64 s6, v10, v7
	v_fma_f32 v2, v3, v2, v3
	v_cmp_class_f32_e64 s7, v3, 0x204
	s_and_b32 s6, vcc_lo, s6
	v_cndmask_b32_e64 v6, 1.0, v5, s6
	v_cndmask_b32_e64 v2, v2, v3, s7
	v_cmp_gt_f32_e64 s7, 0, v4
	v_bfi_b32 v2, 0x7fffffff, v2, v6
	s_xor_b32 s7, s7, s9
	v_cndmask_b32_e64 v6, 0, v5, s6
	v_cndmask_b32_e64 v3, 0x7f800000, 0, s7
	v_cmp_class_f32_e64 s6, v5, 0x204
	v_cndmask_b32_e32 v4, 0x7fc00000, v2, vcc_lo
	v_cmp_gt_f32_e32 vcc_lo, 0, v5
	v_bfi_b32 v3, 0x7fffffff, v3, v6
	v_cndmask_b32_e32 v2, v2, v4, vcc_lo
	s_or_b32 vcc_lo, s9, s6
	v_cndmask_b32_e32 v2, v2, v3, vcc_lo
	v_cmp_o_f32_e32 vcc_lo, v5, v5
	v_cndmask_b32_e32 v42, 0x7fc00000, v2, vcc_lo
.LBB62_4:
	v_lshlrev_b32_e32 v38, 1, v1
	s_lshl_b32 s19, s8, 3
	s_load_dwordx4 s[40:43], s[4:5], 0x70
	s_ashr_i32 s45, s44, 31
	s_ashr_i32 s37, s10, 31
	v_or_b32_e32 v36, 1, v38
	v_add_nc_u32_e32 v39, s19, v38
	v_lshlrev_b32_e32 v48, 8, v1
	v_mov_b32_e32 v49, 0
	v_add_nc_u32_e32 v37, s19, v36
	v_mul_hi_u32 v2, v39, s28
	v_mul_hi_u32 v3, v37, s28
	v_add_nc_u32_e32 v2, v39, v2
	s_waitcnt lgkmcnt(0)
	s_mul_i32 s6, s33, s42
	v_add_nc_u32_e32 v3, v37, v3
	v_lshrrev_b32_e32 v2, s29, v2
	s_mul_i32 s7, s44, s41
	s_ashr_i32 s9, s6, 31
	s_add_u32 s6, s12, s6
	v_lshrrev_b32_e32 v3, s29, v3
	v_mul_lo_u32 v2, v2, s30
	s_addc_u32 s9, s13, s9
	s_ashr_i32 s10, s7, 31
	s_add_u32 s11, s6, s7
	v_mul_lo_u32 v4, v3, s30
	s_addc_u32 s9, s9, s10
	s_ashr_i32 s41, s40, 31
	v_sub_nc_u32_e32 v46, v39, v2
	s_lshr_b64 s[6:7], s[40:41], 2
	s_mov_b32 s7, 0
	v_sub_nc_u32_e32 v8, v37, v4
	v_mad_u64_u32 v[2:3], null, s6, v46, 0
	v_mad_u64_u32 v[4:5], null, s6, v8, 0
	s_lshr_b32 s6, s41, 2
	s_cmp_eq_u64 s[22:23], 0
	v_mad_u64_u32 v[6:7], null, s6, v46, v[3:4]
	v_mov_b32_e32 v3, v5
	v_mad_u64_u32 v[7:8], null, s6, v8, v[3:4]
	v_mov_b32_e32 v3, v6
	v_lshlrev_b32_e32 v6, 3, v0
	v_lshlrev_b64 v[2:3], 2, v[2:3]
	v_mov_b32_e32 v5, v7
	v_add_co_u32 v6, s6, s11, v6
	v_add_co_ci_u32_e64 v7, null, s9, 0, s6
	v_lshlrev_b64 v[4:5], 2, v[4:5]
	v_add_co_u32 v2, vcc_lo, v6, v2
	v_add_co_ci_u32_e64 v3, null, v7, v3, vcc_lo
	v_add_co_u32 v4, vcc_lo, v6, v4
	v_add_co_ci_u32_e64 v5, null, v7, v5, vcc_lo
	s_clause 0x1
	global_load_dwordx2 v[2:3], v[2:3], off
	global_load_dwordx2 v[4:5], v[4:5], off
	v_lshl_or_b32 v6, v0, 2, 0x5000
	v_add_nc_u32_e32 v7, v6, v48
	v_lshl_add_u32 v6, v36, 7, v6
	s_waitcnt vmcnt(1)
	v_fma_mixlo_f16 v3, s36, v3, 0
	s_waitcnt vmcnt(0)
	v_fma_mixlo_f16 v5, s36, v5, 0
	v_fma_mixlo_f16 v2, s36, v2, 0
	;; [unrolled: 1-line block ×3, first 2 shown]
	v_lshlrev_b32_e32 v3, 16, v3
	v_lshlrev_b32_e32 v5, 16, v5
	v_or_b32_sdwa v2, v3, v2 dst_sel:DWORD dst_unused:UNUSED_PAD src0_sel:DWORD src1_sel:WORD_0
	v_or_b32_sdwa v3, v5, v4 dst_sel:DWORD dst_unused:UNUSED_PAD src0_sel:DWORD src1_sel:WORD_0
	ds_write_b32 v7, v2
	ds_write_b32 v6, v3
	s_waitcnt lgkmcnt(0)
	s_barrier
	buffer_gl0_inv
	s_cbranch_scc1 .LBB62_6
; %bb.5:
	s_load_dword s6, s[4:5], 0xd0
	s_waitcnt lgkmcnt(0)
	s_mul_i32 s6, s6, s33
	s_add_i32 s6, s6, s8
	s_lshl_b64 s[6:7], s[6:7], 2
	s_add_u32 s6, s22, s6
	s_addc_u32 s7, s23, s7
	s_load_dword s48, s[6:7], 0x0
.LBB62_6:
	s_clause 0x2
	s_load_dwordx2 s[6:7], s[4:5], 0x8c
	s_load_dwordx4 s[8:11], s[4:5], 0x98
	s_load_dwordx2 s[38:39], s[4:5], 0xa8
	s_ashr_i32 s13, s33, 31
	s_ashr_i32 s22, s51, 1
	s_mul_i32 s23, s18, s49
	v_lshrrev_b32_e32 v51, 3, v0
	v_lshlrev_b32_e32 v41, 2, v0
	v_mul_u32_u24_e32 v47, 0x90, v0
	v_or_b32_e32 v44, 1, v39
	v_mbcnt_lo_u32_b32 v40, -1, 0
	s_waitcnt lgkmcnt(0)
	s_ashr_i32 s12, s6, 2
	s_ashr_i32 s35, s10, 2
	s_mul_hi_u32 s6, s8, s33
	s_mul_i32 s10, s8, s13
	s_mul_i32 s9, s9, s33
	s_add_i32 s6, s6, s10
	s_mul_i32 s8, s8, s33
	s_add_i32 s6, s6, s9
	s_add_u32 s8, s14, s8
	s_addc_u32 s6, s15, s6
	s_sub_i32 s10, s52, s23
	s_xor_b32 s9, s45, s37
	s_add_i32 s14, s18, 1
	s_sub_i32 s15, s10, s49
	s_cmp_ge_u32 s10, s49
	s_mul_i32 s13, s38, s13
	s_cselect_b32 s14, s14, s18
	s_cselect_b32 s10, s15, s10
	s_add_i32 s15, s14, 1
	s_cmp_ge_u32 s10, s49
	s_mul_i32 s18, s38, s33
	s_cselect_b32 s10, s15, s14
	s_mul_hi_u32 s14, s38, s33
	s_xor_b32 s10, s10, s9
	s_mul_i32 s15, s39, s33
	s_sub_i32 s10, s10, s9
	s_mul_i32 s7, s10, s7
	s_mul_i32 s10, s10, s11
	s_ashr_i32 s9, s7, 31
	s_add_u32 s8, s8, s7
	s_addc_u32 s9, s6, s9
	s_add_i32 s6, s14, s13
	s_add_i32 s6, s6, s15
	s_add_u32 s7, s16, s18
	s_addc_u32 s6, s17, s6
	s_ashr_i32 s11, s10, 31
	s_add_u32 s37, s7, s10
	s_addc_u32 s36, s6, s11
	s_lshl_b32 s18, s34, 7
	s_add_i32 s10, s48, 0xffffff80
	s_cmp_ge_i32 s18, s10
	s_cbranch_scc1 .LBB62_27
; %bb.7:
	v_lshl_add_u32 v3, v1, 2, v51
	s_lshl_b32 s6, s12, 4
	s_cmp_lg_u64 s[46:47], 0
	v_mul_hi_u32 v4, s28, v44
	s_cselect_b32 s11, -1, 0
	v_mul_lo_u32 v2, s12, v3
	v_mul_lo_u32 v20, s35, v3
	s_lshl_b32 s7, s35, 4
	v_and_b32_e32 v45, 28, v41
	v_lshl_add_u32 v54, v1, 9, 0x4800
	v_mul_lo_u32 v53, v46, s22
	v_add_nc_u32_e32 v4, v44, v4
	v_mov_b32_e32 v43, 0
	v_add_nc_u32_e32 v6, s6, v2
	v_add_nc_u32_e32 v22, s7, v20
	v_lshlrev_b32_e32 v5, 2, v45
	v_lshrrev_b32_e32 v4, s29, v4
	v_ashrrev_i32_e32 v21, 31, v20
	v_add_nc_u32_e32 v8, s6, v6
	v_add_nc_u32_e32 v24, s7, v22
	v_mad_u32_u24 v55, 0x90, v3, v5
	v_mul_lo_u32 v4, v4, s30
	v_lshl_or_b32 v56, v3, 7, v5
	v_add_nc_u32_e32 v10, s6, v8
	v_add_nc_u32_e32 v26, s7, v24
	v_ashrrev_i32_e32 v3, 31, v2
	v_ashrrev_i32_e32 v7, 31, v6
	;; [unrolled: 1-line block ×3, first 2 shown]
	v_add_nc_u32_e32 v12, s6, v10
	v_add_nc_u32_e32 v28, s7, v26
	v_sub_nc_u32_e32 v4, v44, v4
	v_ashrrev_i32_e32 v11, 31, v10
	v_ashrrev_i32_e32 v23, 31, v22
	v_add_nc_u32_e32 v14, s6, v12
	v_add_nc_u32_e32 v30, s7, v28
	v_ashrrev_i32_e32 v13, 31, v12
	v_ashrrev_i32_e32 v25, 31, v24
	v_ashrrev_i32_e32 v27, 31, v26
	v_add_nc_u32_e32 v16, s6, v14
	v_add_nc_u32_e32 v32, s7, v30
	v_ashrrev_i32_e32 v15, 31, v14
	;; [unrolled: 5-line block ×3, first 2 shown]
	v_ashrrev_i32_e32 v33, 31, v32
	v_mul_lo_u32 v65, v4, s22
	v_ashrrev_i32_e32 v19, 31, v18
	v_ashrrev_i32_e32 v35, 31, v34
	v_lshlrev_b64 v[4:5], 2, v[2:3]
	v_lshlrev_b64 v[6:7], 2, v[6:7]
	;; [unrolled: 1-line block ×16, first 2 shown]
	v_add_nc_u32_e32 v52, 0x5000, v48
	v_add_nc_u32_e32 v57, 0x900, v55
	;; [unrolled: 1-line block ×15, first 2 shown]
	v_mov_b32_e32 v79, 0xfeffffff
	v_lshlrev_b32_e32 v72, 2, v45
	v_add_nc_u32_e32 v73, v54, v41
	v_mbcnt_lo_u32_b32 v74, -1, 0
	v_mov_b32_e32 v75, 0x10001
	v_mov_b32_e32 v45, 0
	;; [unrolled: 1-line block ×5, first 2 shown]
	s_add_u32 s6, s4, 0xd0
	s_addc_u32 s7, s5, 0
.LBB62_8:                               ; =>This Inner Loop Header: Depth=1
	s_mul_hi_i32 s15, s18, s12
	s_mul_i32 s14, s18, s12
	s_lshl_b64 s[14:15], s[14:15], 2
	s_add_u32 s13, s8, s14
	s_addc_u32 s14, s9, s15
	v_add_co_u32 v2, vcc_lo, s13, v4
	v_add_co_ci_u32_e64 v3, null, s14, v5, vcc_lo
	v_add_co_u32 v49, vcc_lo, s13, v6
	v_add_co_ci_u32_e64 v50, null, s14, v7, vcc_lo
	;; [unrolled: 2-line block ×4, first 2 shown]
	s_clause 0x1
	global_load_dwordx4 v[80:83], v[2:3], off
	global_load_dwordx4 v[84:87], v[49:50], off
	v_add_co_u32 v2, vcc_lo, s13, v8
	v_add_co_ci_u32_e64 v3, null, s14, v9, vcc_lo
	v_add_co_u32 v49, vcc_lo, s13, v10
	v_add_co_ci_u32_e64 v50, null, s14, v11, vcc_lo
	;; [unrolled: 2-line block ×12, first 2 shown]
	s_clause 0x5
	global_load_dwordx4 v[88:91], v[2:3], off
	global_load_dwordx4 v[92:95], v[49:50], off
	;; [unrolled: 1-line block ×6, first 2 shown]
	v_mov_b32_e32 v49, 0
	v_mov_b32_e32 v50, 0
	s_andn2_b32 vcc_lo, exec_lo, s11
	s_waitcnt vmcnt(7)
	ds_write_b128 v55, v[80:83]
	s_waitcnt vmcnt(6)
	ds_write_b128 v57, v[84:87]
	;; [unrolled: 2-line block ×8, first 2 shown]
	s_waitcnt lgkmcnt(0)
	s_barrier
	buffer_gl0_inv
	ds_read_b128 v[86:89], v47
	ds_read_b128 v[90:93], v52
	ds_read_b128 v[94:97], v52 offset:128
	ds_read_b128 v[98:101], v47 offset:4608
	v_mov_b32_e32 v82, 0
	ds_read_b128 v[102:105], v47 offset:9216
	ds_read_b128 v[106:109], v47 offset:13824
	s_waitcnt lgkmcnt(4)
	;;#ASMSTART
	v_dot2_f32_f16 v82, v86, v90, v82
	;;#ASMEND
	;;#ASMSTART
	v_dot2_f32_f16 v82, v87, v91, v82
	;;#ASMEND
	;;#ASMSTART
	v_dot2_f32_f16 v82, v88, v92, v82
	;;#ASMEND
	;;#ASMSTART
	v_dot2_f32_f16 v82, v89, v93, v82
	;;#ASMEND
	s_waitcnt lgkmcnt(3)
	;;#ASMSTART
	v_dot2_f32_f16 v49, v86, v94, v49
	;;#ASMEND
	;;#ASMSTART
	v_dot2_f32_f16 v49, v87, v95, v49
	;;#ASMEND
	v_mov_b32_e32 v83, 0
	;;#ASMSTART
	v_dot2_f32_f16 v49, v88, v96, v49
	;;#ASMEND
	;;#ASMSTART
	v_dot2_f32_f16 v49, v89, v97, v49
	;;#ASMEND
	s_waitcnt lgkmcnt(2)
	;;#ASMSTART
	v_dot2_f32_f16 v83, v98, v90, v83
	;;#ASMEND
	;;#ASMSTART
	v_dot2_f32_f16 v83, v99, v91, v83
	;;#ASMEND
	;; [unrolled: 3-line block ×6, first 2 shown]
	v_mov_b32_e32 v84, 0
	;;#ASMSTART
	v_dot2_f32_f16 v50, v100, v96, v50
	;;#ASMEND
	;;#ASMSTART
	v_dot2_f32_f16 v50, v101, v97, v50
	;;#ASMEND
	s_waitcnt lgkmcnt(1)
	;;#ASMSTART
	v_dot2_f32_f16 v84, v102, v90, v84
	;;#ASMEND
	;;#ASMSTART
	v_dot2_f32_f16 v84, v103, v91, v84
	;;#ASMEND
	v_mov_b32_e32 v80, 0
	;;#ASMSTART
	v_dot2_f32_f16 v84, v104, v92, v84
	;;#ASMEND
	;;#ASMSTART
	v_dot2_f32_f16 v84, v105, v93, v84
	;;#ASMEND
	;; [unrolled: 3-line block ×4, first 2 shown]
	v_mov_b32_e32 v85, 0
	;;#ASMSTART
	v_dot2_f32_f16 v80, v104, v96, v80
	;;#ASMEND
	;;#ASMSTART
	v_dot2_f32_f16 v80, v105, v97, v80
	;;#ASMEND
	s_waitcnt lgkmcnt(0)
	;;#ASMSTART
	v_dot2_f32_f16 v85, v106, v90, v85
	;;#ASMEND
	;;#ASMSTART
	v_dot2_f32_f16 v85, v107, v91, v85
	;;#ASMEND
	v_mov_b32_e32 v81, 0
	;;#ASMSTART
	v_dot2_f32_f16 v85, v108, v92, v85
	;;#ASMEND
	;;#ASMSTART
	v_dot2_f32_f16 v85, v109, v93, v85
	;;#ASMEND
	;; [unrolled: 3-line block ×6, first 2 shown]
	ds_read_b128 v[86:89], v47 offset:16
	ds_read_b128 v[90:93], v52 offset:16
	;; [unrolled: 1-line block ×6, first 2 shown]
	s_waitcnt lgkmcnt(4)
	;;#ASMSTART
	v_dot2_f32_f16 v82, v86, v90, v82
	;;#ASMEND
	;;#ASMSTART
	v_dot2_f32_f16 v82, v87, v91, v82
	;;#ASMEND
	;;#ASMSTART
	v_dot2_f32_f16 v82, v88, v92, v82
	;;#ASMEND
	;;#ASMSTART
	v_dot2_f32_f16 v82, v89, v93, v82
	;;#ASMEND
	s_waitcnt lgkmcnt(3)
	;;#ASMSTART
	v_dot2_f32_f16 v49, v86, v94, v49
	;;#ASMEND
	;;#ASMSTART
	v_dot2_f32_f16 v49, v87, v95, v49
	;;#ASMEND
	;;#ASMSTART
	v_dot2_f32_f16 v49, v88, v96, v49
	;;#ASMEND
	;;#ASMSTART
	v_dot2_f32_f16 v49, v89, v97, v49
	;;#ASMEND
	;; [unrolled: 13-line block ×3, first 2 shown]
	;;#ASMSTART
	v_dot2_f32_f16 v50, v98, v94, v50
	;;#ASMEND
	;;#ASMSTART
	v_dot2_f32_f16 v50, v99, v95, v50
	;;#ASMEND
	;; [unrolled: 3-line block ×4, first 2 shown]
	s_waitcnt lgkmcnt(1)
	;;#ASMSTART
	v_dot2_f32_f16 v84, v102, v90, v84
	;;#ASMEND
	;;#ASMSTART
	v_dot2_f32_f16 v84, v103, v91, v84
	;;#ASMEND
	;;#ASMSTART
	v_dot2_f32_f16 v84, v104, v92, v84
	;;#ASMEND
	;;#ASMSTART
	v_dot2_f32_f16 v84, v105, v93, v84
	;;#ASMEND
	;;#ASMSTART
	v_dot2_f32_f16 v80, v102, v94, v80
	;;#ASMEND
	;;#ASMSTART
	v_dot2_f32_f16 v80, v103, v95, v80
	;;#ASMEND
	;;#ASMSTART
	v_dot2_f32_f16 v80, v104, v96, v80
	;;#ASMEND
	;;#ASMSTART
	v_dot2_f32_f16 v80, v105, v97, v80
	;;#ASMEND
	s_waitcnt lgkmcnt(0)
	;;#ASMSTART
	v_dot2_f32_f16 v85, v106, v90, v85
	;;#ASMEND
	;;#ASMSTART
	v_dot2_f32_f16 v85, v107, v91, v85
	;;#ASMEND
	;; [unrolled: 3-line block ×8, first 2 shown]
	ds_read_b128 v[86:89], v47 offset:32
	ds_read_b128 v[90:93], v52 offset:32
	;; [unrolled: 1-line block ×6, first 2 shown]
	s_waitcnt lgkmcnt(4)
	;;#ASMSTART
	v_dot2_f32_f16 v82, v86, v90, v82
	;;#ASMEND
	;;#ASMSTART
	v_dot2_f32_f16 v82, v87, v91, v82
	;;#ASMEND
	;;#ASMSTART
	v_dot2_f32_f16 v82, v88, v92, v82
	;;#ASMEND
	;;#ASMSTART
	v_dot2_f32_f16 v82, v89, v93, v82
	;;#ASMEND
	s_waitcnt lgkmcnt(3)
	;;#ASMSTART
	v_dot2_f32_f16 v49, v86, v94, v49
	;;#ASMEND
	;;#ASMSTART
	v_dot2_f32_f16 v49, v87, v95, v49
	;;#ASMEND
	;;#ASMSTART
	v_dot2_f32_f16 v49, v88, v96, v49
	;;#ASMEND
	;;#ASMSTART
	v_dot2_f32_f16 v49, v89, v97, v49
	;;#ASMEND
	;; [unrolled: 13-line block ×3, first 2 shown]
	;;#ASMSTART
	v_dot2_f32_f16 v50, v98, v94, v50
	;;#ASMEND
	;;#ASMSTART
	v_dot2_f32_f16 v50, v99, v95, v50
	;;#ASMEND
	;; [unrolled: 3-line block ×4, first 2 shown]
	s_waitcnt lgkmcnt(1)
	;;#ASMSTART
	v_dot2_f32_f16 v84, v102, v90, v84
	;;#ASMEND
	;;#ASMSTART
	v_dot2_f32_f16 v84, v103, v91, v84
	;;#ASMEND
	;; [unrolled: 3-line block ×8, first 2 shown]
	s_waitcnt lgkmcnt(0)
	;;#ASMSTART
	v_dot2_f32_f16 v85, v106, v90, v85
	;;#ASMEND
	;;#ASMSTART
	v_dot2_f32_f16 v85, v107, v91, v85
	;;#ASMEND
	;; [unrolled: 3-line block ×8, first 2 shown]
	ds_read_b128 v[86:89], v47 offset:48
	ds_read_b128 v[90:93], v52 offset:48
	;; [unrolled: 1-line block ×6, first 2 shown]
	s_waitcnt lgkmcnt(4)
	;;#ASMSTART
	v_dot2_f32_f16 v82, v86, v90, v82
	;;#ASMEND
	;;#ASMSTART
	v_dot2_f32_f16 v82, v87, v91, v82
	;;#ASMEND
	;;#ASMSTART
	v_dot2_f32_f16 v82, v88, v92, v82
	;;#ASMEND
	;;#ASMSTART
	v_dot2_f32_f16 v82, v89, v93, v82
	;;#ASMEND
	s_waitcnt lgkmcnt(3)
	;;#ASMSTART
	v_dot2_f32_f16 v49, v86, v94, v49
	;;#ASMEND
	;;#ASMSTART
	v_dot2_f32_f16 v49, v87, v95, v49
	;;#ASMEND
	;;#ASMSTART
	v_dot2_f32_f16 v49, v88, v96, v49
	;;#ASMEND
	;;#ASMSTART
	v_dot2_f32_f16 v49, v89, v97, v49
	;;#ASMEND
	;; [unrolled: 13-line block ×3, first 2 shown]
	;;#ASMSTART
	v_dot2_f32_f16 v50, v98, v94, v50
	;;#ASMEND
	;;#ASMSTART
	v_dot2_f32_f16 v50, v99, v95, v50
	;;#ASMEND
	;; [unrolled: 3-line block ×4, first 2 shown]
	s_waitcnt lgkmcnt(1)
	;;#ASMSTART
	v_dot2_f32_f16 v84, v102, v90, v84
	;;#ASMEND
	;;#ASMSTART
	v_dot2_f32_f16 v84, v103, v91, v84
	;;#ASMEND
	;; [unrolled: 3-line block ×8, first 2 shown]
	s_waitcnt lgkmcnt(0)
	;;#ASMSTART
	v_dot2_f32_f16 v85, v106, v90, v85
	;;#ASMEND
	;;#ASMSTART
	v_dot2_f32_f16 v85, v107, v91, v85
	;;#ASMEND
	;; [unrolled: 3-line block ×8, first 2 shown]
	ds_read_b128 v[86:89], v47 offset:64
	ds_read_b128 v[90:93], v52 offset:64
	;; [unrolled: 1-line block ×6, first 2 shown]
	s_waitcnt lgkmcnt(4)
	;;#ASMSTART
	v_dot2_f32_f16 v82, v86, v90, v82
	;;#ASMEND
	;;#ASMSTART
	v_dot2_f32_f16 v82, v87, v91, v82
	;;#ASMEND
	;;#ASMSTART
	v_dot2_f32_f16 v82, v88, v92, v82
	;;#ASMEND
	;;#ASMSTART
	v_dot2_f32_f16 v82, v89, v93, v82
	;;#ASMEND
	s_waitcnt lgkmcnt(3)
	;;#ASMSTART
	v_dot2_f32_f16 v49, v86, v94, v49
	;;#ASMEND
	;;#ASMSTART
	v_dot2_f32_f16 v49, v87, v95, v49
	;;#ASMEND
	;;#ASMSTART
	v_dot2_f32_f16 v49, v88, v96, v49
	;;#ASMEND
	;;#ASMSTART
	v_dot2_f32_f16 v49, v89, v97, v49
	;;#ASMEND
	;; [unrolled: 13-line block ×3, first 2 shown]
	;;#ASMSTART
	v_dot2_f32_f16 v50, v98, v94, v50
	;;#ASMEND
	;;#ASMSTART
	v_dot2_f32_f16 v50, v99, v95, v50
	;;#ASMEND
	;; [unrolled: 3-line block ×4, first 2 shown]
	s_waitcnt lgkmcnt(1)
	;;#ASMSTART
	v_dot2_f32_f16 v84, v102, v90, v84
	;;#ASMEND
	;;#ASMSTART
	v_dot2_f32_f16 v84, v103, v91, v84
	;;#ASMEND
	;; [unrolled: 3-line block ×8, first 2 shown]
	s_waitcnt lgkmcnt(0)
	;;#ASMSTART
	v_dot2_f32_f16 v85, v106, v90, v85
	;;#ASMEND
	;;#ASMSTART
	v_dot2_f32_f16 v85, v107, v91, v85
	;;#ASMEND
	;; [unrolled: 3-line block ×8, first 2 shown]
	ds_read_b128 v[86:89], v47 offset:80
	ds_read_b128 v[90:93], v52 offset:80
	;; [unrolled: 1-line block ×6, first 2 shown]
	s_waitcnt lgkmcnt(4)
	;;#ASMSTART
	v_dot2_f32_f16 v82, v86, v90, v82
	;;#ASMEND
	;;#ASMSTART
	v_dot2_f32_f16 v82, v87, v91, v82
	;;#ASMEND
	;;#ASMSTART
	v_dot2_f32_f16 v82, v88, v92, v82
	;;#ASMEND
	;;#ASMSTART
	v_dot2_f32_f16 v82, v89, v93, v82
	;;#ASMEND
	s_waitcnt lgkmcnt(3)
	;;#ASMSTART
	v_dot2_f32_f16 v49, v86, v94, v49
	;;#ASMEND
	;;#ASMSTART
	v_dot2_f32_f16 v49, v87, v95, v49
	;;#ASMEND
	;;#ASMSTART
	v_dot2_f32_f16 v49, v88, v96, v49
	;;#ASMEND
	;;#ASMSTART
	v_dot2_f32_f16 v49, v89, v97, v49
	;;#ASMEND
	;; [unrolled: 13-line block ×3, first 2 shown]
	;;#ASMSTART
	v_dot2_f32_f16 v50, v98, v94, v50
	;;#ASMEND
	;;#ASMSTART
	v_dot2_f32_f16 v50, v99, v95, v50
	;;#ASMEND
	;; [unrolled: 3-line block ×4, first 2 shown]
	s_waitcnt lgkmcnt(1)
	;;#ASMSTART
	v_dot2_f32_f16 v84, v102, v90, v84
	;;#ASMEND
	;;#ASMSTART
	v_dot2_f32_f16 v84, v103, v91, v84
	;;#ASMEND
	;; [unrolled: 3-line block ×8, first 2 shown]
	s_waitcnt lgkmcnt(0)
	;;#ASMSTART
	v_dot2_f32_f16 v85, v106, v90, v85
	;;#ASMEND
	;;#ASMSTART
	v_dot2_f32_f16 v85, v107, v91, v85
	;;#ASMEND
	;; [unrolled: 3-line block ×8, first 2 shown]
	ds_read_b128 v[86:89], v47 offset:96
	ds_read_b128 v[90:93], v52 offset:96
	;; [unrolled: 1-line block ×6, first 2 shown]
	s_waitcnt lgkmcnt(4)
	;;#ASMSTART
	v_dot2_f32_f16 v82, v86, v90, v82
	;;#ASMEND
	;;#ASMSTART
	v_dot2_f32_f16 v82, v87, v91, v82
	;;#ASMEND
	;;#ASMSTART
	v_dot2_f32_f16 v82, v88, v92, v82
	;;#ASMEND
	;;#ASMSTART
	v_dot2_f32_f16 v82, v89, v93, v82
	;;#ASMEND
	s_waitcnt lgkmcnt(3)
	;;#ASMSTART
	v_dot2_f32_f16 v49, v86, v94, v49
	;;#ASMEND
	;;#ASMSTART
	v_dot2_f32_f16 v49, v87, v95, v49
	;;#ASMEND
	;;#ASMSTART
	v_dot2_f32_f16 v49, v88, v96, v49
	;;#ASMEND
	;;#ASMSTART
	v_dot2_f32_f16 v49, v89, v97, v49
	;;#ASMEND
	;; [unrolled: 13-line block ×3, first 2 shown]
	;;#ASMSTART
	v_dot2_f32_f16 v50, v98, v94, v50
	;;#ASMEND
	;;#ASMSTART
	v_dot2_f32_f16 v50, v99, v95, v50
	;;#ASMEND
	;; [unrolled: 3-line block ×4, first 2 shown]
	s_waitcnt lgkmcnt(1)
	;;#ASMSTART
	v_dot2_f32_f16 v84, v102, v90, v84
	;;#ASMEND
	;;#ASMSTART
	v_dot2_f32_f16 v84, v103, v91, v84
	;;#ASMEND
	;;#ASMSTART
	v_dot2_f32_f16 v84, v104, v92, v84
	;;#ASMEND
	;;#ASMSTART
	v_dot2_f32_f16 v84, v105, v93, v84
	;;#ASMEND
	;;#ASMSTART
	v_dot2_f32_f16 v80, v102, v94, v80
	;;#ASMEND
	;;#ASMSTART
	v_dot2_f32_f16 v80, v103, v95, v80
	;;#ASMEND
	;;#ASMSTART
	v_dot2_f32_f16 v80, v104, v96, v80
	;;#ASMEND
	;;#ASMSTART
	v_dot2_f32_f16 v80, v105, v97, v80
	;;#ASMEND
	s_waitcnt lgkmcnt(0)
	;;#ASMSTART
	v_dot2_f32_f16 v85, v106, v90, v85
	;;#ASMEND
	;;#ASMSTART
	v_dot2_f32_f16 v85, v107, v91, v85
	;;#ASMEND
	;; [unrolled: 3-line block ×8, first 2 shown]
	ds_read_b128 v[88:91], v47 offset:112
	ds_read_b128 v[95:98], v52 offset:112
	;; [unrolled: 1-line block ×6, first 2 shown]
	s_waitcnt lgkmcnt(4)
	;;#ASMSTART
	v_dot2_f32_f16 v82, v88, v95, v82
	;;#ASMEND
	;;#ASMSTART
	v_dot2_f32_f16 v82, v89, v96, v82
	;;#ASMEND
	;; [unrolled: 3-line block ×4, first 2 shown]
	s_waitcnt lgkmcnt(3)
	;;#ASMSTART
	v_dot2_f32_f16 v49, v88, v99, v49
	;;#ASMEND
	;;#ASMSTART
	v_dot2_f32_f16 v49, v89, v100, v49
	;;#ASMEND
	;; [unrolled: 3-line block ×4, first 2 shown]
	s_waitcnt lgkmcnt(2)
	;;#ASMSTART
	v_dot2_f32_f16 v83, v103, v95, v83
	;;#ASMEND
	;;#ASMSTART
	v_dot2_f32_f16 v83, v104, v96, v83
	;;#ASMEND
	;; [unrolled: 3-line block ×3, first 2 shown]
	v_add_nc_u32_e32 v94, s18, v0
	;;#ASMSTART
	v_dot2_f32_f16 v83, v106, v98, v83
	;;#ASMEND
	;;#ASMSTART
	v_dot2_f32_f16 v50, v103, v99, v50
	;;#ASMEND
	;; [unrolled: 3-line block ×5, first 2 shown]
	s_waitcnt lgkmcnt(1)
	;;#ASMSTART
	v_dot2_f32_f16 v84, v107, v95, v84
	;;#ASMEND
	;;#ASMSTART
	v_dot2_f32_f16 v84, v108, v96, v84
	;;#ASMEND
	v_add_nc_u32_e32 v2, v94, v53
	;;#ASMSTART
	v_dot2_f32_f16 v84, v109, v97, v84
	;;#ASMEND
	;;#ASMSTART
	v_dot2_f32_f16 v84, v110, v98, v84
	;;#ASMEND
	;; [unrolled: 3-line block ×6, first 2 shown]
	s_waitcnt lgkmcnt(0)
	;;#ASMSTART
	v_dot2_f32_f16 v85, v111, v95, v85
	;;#ASMEND
	v_mov_b32_e32 v87, 0
	v_ashrrev_i32_e32 v3, 31, v2
	;;#ASMSTART
	v_dot2_f32_f16 v85, v112, v96, v85
	;;#ASMEND
	;;#ASMSTART
	v_dot2_f32_f16 v85, v113, v97, v85
	;;#ASMEND
	;; [unrolled: 3-line block ×7, first 2 shown]
	s_cbranch_vccnz .LBB62_10
; %bb.9:                                ;   in Loop: Header=BB62_8 Depth=1
	v_lshlrev_b64 v[86:87], 1, v[2:3]
	v_add_co_u32 v86, vcc_lo, s46, v86
	v_add_co_ci_u32_e64 v87, null, s47, v87, vcc_lo
	global_load_ushort v86, v[86:87], off
	s_waitcnt vmcnt(0)
	v_cvt_f32_f16_e32 v86, v86
	v_mul_f32_e32 v87, v42, v86
.LBB62_10:                              ;   in Loop: Header=BB62_8 Depth=1
	v_mov_b32_e32 v88, 0
	v_mov_b32_e32 v89, 0
	s_andn2_b32 vcc_lo, exec_lo, s11
	s_cbranch_vccnz .LBB62_12
; %bb.11:                               ;   in Loop: Header=BB62_8 Depth=1
	v_lshlrev_b64 v[89:90], 1, v[2:3]
	v_add_co_u32 v89, vcc_lo, s46, v89
	v_add_co_ci_u32_e64 v90, null, s47, v90, vcc_lo
	global_load_ushort v86, v[89:90], off offset:64
	s_waitcnt vmcnt(0)
	v_cvt_f32_f16_e32 v86, v86
	v_mul_f32_e32 v89, v42, v86
.LBB62_12:                              ;   in Loop: Header=BB62_8 Depth=1
	s_andn2_b32 vcc_lo, exec_lo, s11
	s_cbranch_vccnz .LBB62_14
; %bb.13:                               ;   in Loop: Header=BB62_8 Depth=1
	v_lshlrev_b64 v[90:91], 1, v[2:3]
	v_add_co_u32 v90, vcc_lo, s46, v90
	v_add_co_ci_u32_e64 v91, null, s47, v91, vcc_lo
	global_load_ushort v86, v[90:91], off offset:128
	s_waitcnt vmcnt(0)
	v_cvt_f32_f16_e32 v86, v86
	v_mul_f32_e32 v88, v42, v86
.LBB62_14:                              ;   in Loop: Header=BB62_8 Depth=1
	v_mov_b32_e32 v86, 0
	v_mov_b32_e32 v90, 0
	s_andn2_b32 vcc_lo, exec_lo, s11
	s_cbranch_vccnz .LBB62_16
; %bb.15:                               ;   in Loop: Header=BB62_8 Depth=1
	v_lshlrev_b64 v[2:3], 1, v[2:3]
	v_add_co_u32 v2, vcc_lo, s46, v2
	v_add_co_ci_u32_e64 v3, null, s47, v3, vcc_lo
	global_load_ushort v2, v[2:3], off offset:192
	s_waitcnt vmcnt(0)
	v_cvt_f32_f16_e32 v2, v2
	v_mul_f32_e32 v90, v42, v2
.LBB62_16:                              ;   in Loop: Header=BB62_8 Depth=1
	v_add_f32_e32 v82, v82, v87
	v_add_f32_e32 v83, v83, v89
	v_xor_b32_e32 v2, 16, v74
	v_add_f32_e32 v84, v84, v88
	v_add_f32_e32 v87, v85, v90
	;; [unrolled: 1-line block ×4, first 2 shown]
	v_cmp_gt_i32_e32 vcc_lo, 32, v2
	v_add_f32_e32 v85, 0x40051340, v84
	v_max3_f32 v3, v79, v3, v88
	v_cndmask_b32_e32 v2, v74, v2, vcc_lo
	v_add_f32_e32 v88, 0x40051340, v87
	v_lshlrev_b32_e32 v89, 2, v2
	v_max3_f32 v2, v3, v85, v88
	v_xor_b32_e32 v85, 8, v74
	ds_bpermute_b32 v3, v89, v2
	v_cmp_gt_i32_e32 vcc_lo, 32, v85
	v_cndmask_b32_e32 v85, v74, v85, vcc_lo
	v_lshlrev_b32_e32 v90, 2, v85
	v_xor_b32_e32 v85, 4, v74
	v_cmp_gt_i32_e32 vcc_lo, 32, v85
	s_waitcnt lgkmcnt(0)
	v_max_f32_e32 v3, v3, v3
	v_cndmask_b32_e32 v85, v74, v85, vcc_lo
	v_max_f32_e32 v2, v2, v3
	v_lshlrev_b32_e32 v91, 2, v85
	v_xor_b32_e32 v85, 2, v74
	ds_bpermute_b32 v3, v90, v2
	v_cmp_gt_i32_e32 vcc_lo, 32, v85
	v_cndmask_b32_e32 v85, v74, v85, vcc_lo
	v_lshlrev_b32_e32 v88, 2, v85
	v_xor_b32_e32 v85, 1, v74
	v_cmp_gt_i32_e32 vcc_lo, 32, v85
	s_waitcnt lgkmcnt(0)
	v_max_f32_e32 v3, v3, v3
	v_cndmask_b32_e32 v85, v74, v85, vcc_lo
	v_max_f32_e32 v2, v2, v3
	s_andn2_b32 vcc_lo, exec_lo, s11
	v_lshlrev_b32_e32 v85, 2, v85
	ds_bpermute_b32 v3, v91, v2
	s_waitcnt lgkmcnt(0)
	v_max_f32_e32 v3, v3, v3
	v_max_f32_e32 v2, v2, v3
	ds_bpermute_b32 v3, v88, v2
	s_waitcnt lgkmcnt(0)
	v_max_f32_e32 v3, v3, v3
	v_max_f32_e32 v92, v2, v3
	v_add_nc_u32_e32 v2, v94, v65
	ds_bpermute_b32 v93, v85, v92
	v_ashrrev_i32_e32 v3, 31, v2
	s_cbranch_vccnz .LBB62_18
; %bb.17:                               ;   in Loop: Header=BB62_8 Depth=1
	v_lshlrev_b64 v[94:95], 1, v[2:3]
	v_add_co_u32 v94, vcc_lo, s46, v94
	v_add_co_ci_u32_e64 v95, null, s47, v95, vcc_lo
	global_load_ushort v86, v[94:95], off
	s_waitcnt vmcnt(0)
	v_cvt_f32_f16_e32 v86, v86
	v_mul_f32_e32 v86, v42, v86
.LBB62_18:                              ;   in Loop: Header=BB62_8 Depth=1
	v_mov_b32_e32 v94, 0
	v_mov_b32_e32 v95, 0
	s_andn2_b32 vcc_lo, exec_lo, s11
	s_cbranch_vccnz .LBB62_20
; %bb.19:                               ;   in Loop: Header=BB62_8 Depth=1
	v_lshlrev_b64 v[95:96], 1, v[2:3]
	v_add_co_u32 v95, vcc_lo, s46, v95
	v_add_co_ci_u32_e64 v96, null, s47, v96, vcc_lo
	global_load_ushort v95, v[95:96], off offset:64
	s_waitcnt vmcnt(0)
	v_cvt_f32_f16_e32 v95, v95
	v_mul_f32_e32 v95, v42, v95
.LBB62_20:                              ;   in Loop: Header=BB62_8 Depth=1
	s_andn2_b32 vcc_lo, exec_lo, s11
	s_cbranch_vccnz .LBB62_22
; %bb.21:                               ;   in Loop: Header=BB62_8 Depth=1
	v_lshlrev_b64 v[96:97], 1, v[2:3]
	v_add_co_u32 v96, vcc_lo, s46, v96
	v_add_co_ci_u32_e64 v97, null, s47, v97, vcc_lo
	global_load_ushort v94, v[96:97], off offset:128
	s_waitcnt vmcnt(0)
	v_cvt_f32_f16_e32 v94, v94
	v_mul_f32_e32 v94, v42, v94
.LBB62_22:                              ;   in Loop: Header=BB62_8 Depth=1
	s_andn2_b32 vcc_lo, exec_lo, s11
	s_cbranch_vccnz .LBB62_24
; %bb.23:                               ;   in Loop: Header=BB62_8 Depth=1
	v_lshlrev_b64 v[2:3], 1, v[2:3]
	v_add_co_u32 v2, vcc_lo, s46, v2
	v_add_co_ci_u32_e64 v3, null, s47, v3, vcc_lo
	global_load_ushort v2, v[2:3], off offset:192
	s_waitcnt vmcnt(0)
	v_cvt_f32_f16_e32 v2, v2
	v_mul_f32_e32 v2, v42, v2
	s_branch .LBB62_25
.LBB62_24:                              ;   in Loop: Header=BB62_8 Depth=1
	v_mov_b32_e32 v2, 0
.LBB62_25:                              ;   in Loop: Header=BB62_8 Depth=1
	s_mul_hi_i32 s15, s18, s35
	s_mul_i32 s14, s18, s35
	s_waitcnt lgkmcnt(0)
	s_lshl_b64 s[14:15], s[14:15], 2
	s_barrier
	s_add_u32 s13, s37, s14
	s_addc_u32 s14, s36, s15
	v_add_co_u32 v3, vcc_lo, s13, v20
	v_add_co_ci_u32_e64 v97, null, s14, v21, vcc_lo
	v_add_co_u32 v98, vcc_lo, s13, v22
	v_add_co_ci_u32_e64 v99, null, s14, v23, vcc_lo
	;; [unrolled: 2-line block ×16, first 2 shown]
	buffer_gl0_inv
	s_clause 0x7
	global_load_dwordx4 v[96:99], v[96:97], off
	global_load_dwordx4 v[100:103], v[100:101], off
	;; [unrolled: 1-line block ×8, first 2 shown]
	v_add_f32_e32 v49, v49, v86
	v_add_f32_e32 v86, v50, v95
	;; [unrolled: 1-line block ×8, first 2 shown]
	v_max3_f32 v2, v78, v2, v3
	v_max3_f32 v2, v2, v50, v94
	ds_bpermute_b32 v3, v89, v2
	v_max_f32_e32 v89, v92, v92
	s_waitcnt lgkmcnt(0)
	v_max_f32_e32 v3, v3, v3
	v_max_f32_e32 v2, v2, v3
	ds_bpermute_b32 v3, v90, v2
	s_waitcnt lgkmcnt(0)
	v_max_f32_e32 v3, v3, v3
	v_max_f32_e32 v3, v2, v3
	;; [unrolled: 1-line block ×3, first 2 shown]
	ds_bpermute_b32 v50, v91, v3
	v_max_f32_e32 v2, v89, v2
	v_sub_f32_e32 v90, v79, v2
	v_sub_f32_e32 v79, v82, v2
	;; [unrolled: 1-line block ×5, first 2 shown]
	v_mul_f32_e32 v84, 0x3fb8aa3b, v79
	v_mul_f32_e32 v89, 0x3fb8aa3b, v82
	;; [unrolled: 1-line block ×4, first 2 shown]
	v_cmp_ngt_f32_e32 vcc_lo, 0xc2ce8ed0, v79
	v_fma_f32 v93, 0x3fb8aa3b, v79, -v84
	v_rndne_f32_e32 v94, v84
	v_fma_f32 v95, 0x3fb8aa3b, v82, -v89
	s_waitcnt lgkmcnt(0)
	v_max_f32_e32 v50, v50, v50
	v_rndne_f32_e32 v128, v89
	v_fmac_f32_e32 v93, 0x32a5705f, v79
	v_sub_f32_e32 v84, v84, v94
	v_fma_f32 v129, 0x3fb8aa3b, v83, -v91
	v_max_f32_e32 v3, v3, v50
	v_mul_f32_e32 v50, 0x3fb8aa3b, v90
	v_rndne_f32_e32 v130, v91
	v_fma_f32 v131, 0x3fb8aa3b, v87, -v92
	v_rndne_f32_e32 v132, v92
	ds_bpermute_b32 v88, v88, v3
	v_fma_f32 v133, 0x3fb8aa3b, v90, -v50
	v_rndne_f32_e32 v134, v50
	v_fmac_f32_e32 v95, 0x32a5705f, v82
	v_sub_f32_e32 v89, v89, v128
	v_add_f32_e32 v84, v84, v93
	v_fmac_f32_e32 v129, 0x32a5705f, v83
	v_sub_f32_e32 v91, v91, v130
	v_fmac_f32_e32 v131, 0x32a5705f, v87
	v_sub_f32_e32 v92, v92, v132
	;; [unrolled: 2-line block ×3, first 2 shown]
	v_add_f32_e32 v89, v89, v95
	v_exp_f32_e32 v84, v84
	v_cvt_i32_f32_e32 v94, v94
	v_add_f32_e32 v91, v91, v129
	v_add_f32_e32 v92, v92, v131
	;; [unrolled: 1-line block ×3, first 2 shown]
	v_cvt_i32_f32_e32 v93, v130
	v_cvt_i32_f32_e32 v95, v132
	s_waitcnt lgkmcnt(0)
	v_max_f32_e32 v88, v88, v88
	v_exp_f32_e32 v129, v50
	v_ldexp_f32 v50, v84, v94
	v_max_f32_e32 v3, v3, v88
	v_exp_f32_e32 v88, v89
	v_exp_f32_e32 v89, v91
	;; [unrolled: 1-line block ×3, first 2 shown]
	v_cvt_i32_f32_e32 v92, v128
	ds_bpermute_b32 v85, v85, v3
	v_cndmask_b32_e32 v50, 0, v50, vcc_lo
	v_cmp_ngt_f32_e32 vcc_lo, 0xc2ce8ed0, v82
	v_cvt_i32_f32_e32 v128, v134
	v_ldexp_f32 v84, v88, v92
	v_ldexp_f32 v88, v89, v93
	;; [unrolled: 1-line block ×3, first 2 shown]
	v_cndmask_b32_e32 v91, 0, v84, vcc_lo
	v_cmp_ngt_f32_e32 vcc_lo, 0xc2ce8ed0, v83
	v_cndmask_b32_e32 v88, 0, v88, vcc_lo
	v_cmp_ngt_f32_e32 vcc_lo, 0xc2ce8ed0, v87
	v_cndmask_b32_e32 v89, 0, v89, vcc_lo
	v_cmp_nlt_f32_e32 vcc_lo, 0x42b17218, v79
	v_cndmask_b32_e32 v84, 0x7f800000, v50, vcc_lo
	s_waitcnt lgkmcnt(0)
	v_max_f32_e32 v50, v85, v85
	v_cmp_nlt_f32_e32 vcc_lo, 0x42b17218, v82
	v_cvt_f16_f32_e32 v82, v84
	v_max_f32_e32 v3, v3, v50
	v_cndmask_b32_e32 v85, 0x7f800000, v91, vcc_lo
	v_cmp_nlt_f32_e32 vcc_lo, 0x42b17218, v83
	v_sub_f32_e32 v49, v49, v3
	v_sub_f32_e32 v86, v86, v3
	;; [unrolled: 1-line block ×5, first 2 shown]
	v_mul_f32_e32 v79, 0x3fb8aa3b, v49
	v_mul_f32_e32 v78, 0x3fb8aa3b, v86
	;; [unrolled: 1-line block ×3, first 2 shown]
	v_cndmask_b32_e32 v83, 0x7f800000, v88, vcc_lo
	v_mul_f32_e32 v93, 0x3fb8aa3b, v81
	v_fma_f32 v94, 0x3fb8aa3b, v49, -v79
	v_rndne_f32_e32 v95, v79
	v_fma_f32 v130, 0x3fb8aa3b, v86, -v78
	v_rndne_f32_e32 v131, v78
	v_fma_f32 v132, 0x3fb8aa3b, v91, -v80
	v_fmac_f32_e32 v94, 0x32a5705f, v49
	v_sub_f32_e32 v79, v79, v95
	v_rndne_f32_e32 v133, v80
	v_fmac_f32_e32 v130, 0x32a5705f, v86
	v_sub_f32_e32 v78, v78, v131
	v_fma_f32 v134, 0x3fb8aa3b, v81, -v93
	v_add_f32_e32 v79, v79, v94
	v_rndne_f32_e32 v135, v93
	v_fmac_f32_e32 v132, 0x32a5705f, v91
	v_sub_f32_e32 v80, v80, v133
	v_add_f32_e32 v78, v78, v130
	v_exp_f32_e32 v79, v79
	v_cmp_nlt_f32_e32 vcc_lo, 0x42b17218, v87
	v_fmac_f32_e32 v134, 0x32a5705f, v81
	v_sub_f32_e32 v93, v93, v135
	v_add_f32_e32 v80, v80, v132
	v_exp_f32_e32 v78, v78
	v_cvt_i32_f32_e32 v95, v95
	v_cndmask_b32_e32 v50, 0x7f800000, v89, vcc_lo
	v_add_f32_e32 v93, v93, v134
	v_exp_f32_e32 v80, v80
	v_cvt_i32_f32_e32 v131, v131
	v_ldexp_f32 v79, v79, v95
	v_cmp_ngt_f32_e32 vcc_lo, 0xc2ce8ed0, v49
	v_exp_f32_e32 v93, v93
	v_cvt_i32_f32_e32 v132, v133
	v_ldexp_f32 v78, v78, v131
	v_cvt_i32_f32_e32 v133, v135
	v_cndmask_b32_e32 v79, 0, v79, vcc_lo
	v_cmp_ngt_f32_e32 vcc_lo, 0xc2ce8ed0, v86
	v_ldexp_f32 v80, v80, v132
	v_mul_f32_e32 v136, 0x3fb8aa3b, v92
	v_cvt_f16_f32_e32 v87, v85
	v_cvt_f16_f32_e32 v88, v83
	v_cndmask_b32_e32 v78, 0, v78, vcc_lo
	v_cmp_ngt_f32_e32 vcc_lo, 0xc2ce8ed0, v91
	v_ldexp_f32 v93, v93, v133
	v_fma_f32 v94, 0x3fb8aa3b, v92, -v136
	v_rndne_f32_e32 v130, v136
	v_cvt_f16_f32_e32 v89, v50
	v_cndmask_b32_e32 v95, 0, v80, vcc_lo
	v_cmp_ngt_f32_e32 vcc_lo, 0xc2ce8ed0, v81
	v_fmac_f32_e32 v94, 0x32a5705f, v92
	v_add_f32_e32 v84, v84, v85
	v_cndmask_b32_e32 v93, 0, v93, vcc_lo
	v_cmp_nlt_f32_e32 vcc_lo, 0x42b17218, v49
	v_cndmask_b32_e32 v79, 0x7f800000, v79, vcc_lo
	v_cmp_nlt_f32_e32 vcc_lo, 0x42b17218, v86
	v_cvt_f16_f32_e32 v86, v79
	v_cndmask_b32_e32 v80, 0x7f800000, v78, vcc_lo
	v_cmp_nlt_f32_e32 vcc_lo, 0x42b17218, v91
	v_pack_b32_f16 v82, v82, v86
	v_cvt_f16_f32_e32 v91, v80
	v_cndmask_b32_e32 v78, 0x7f800000, v95, vcc_lo
	v_cmp_nlt_f32_e32 vcc_lo, 0x42b17218, v81
	v_sub_f32_e32 v81, v136, v130
	v_add_f32_e32 v79, v79, v80
	v_pack_b32_f16 v86, v87, v91
	v_ldexp_f32 v91, v129, v128
	v_cndmask_b32_e32 v49, 0x7f800000, v93, vcc_lo
	v_add_f32_e32 v81, v81, v94
	v_cvt_f16_f32_e32 v93, v78
	v_cmp_ngt_f32_e32 vcc_lo, 0xc2ce8ed0, v90
	v_add_f32_e32 v78, v78, v79
	v_cvt_f16_f32_e32 v95, v49
	v_exp_f32_e32 v81, v81
	v_pack_b32_f16 v87, v88, v93
	v_cvt_i32_f32_e32 v93, v130
	v_add_f32_e32 v49, v49, v78
	v_pack_b32_f16 v88, v89, v95
	ds_write2_b32 v73, v82, v86 offset1:32
	ds_write2_b32 v73, v87, v88 offset0:64 offset1:96
	s_waitcnt vmcnt(7)
	ds_write_b128 v56, v[96:99]
	s_waitcnt vmcnt(6)
	ds_write_b128 v64, v[100:103]
	;; [unrolled: 2-line block ×8, first 2 shown]
	s_waitcnt lgkmcnt(0)
	s_barrier
	buffer_gl0_inv
	ds_read_b128 v[86:89], v54
	v_ldexp_f32 v81, v81, v93
	v_cndmask_b32_e32 v82, 0, v91, vcc_lo
	v_cmp_ngt_f32_e32 vcc_lo, 0xc2ce8ed0, v92
	ds_read2_b32 v[94:95], v41 offset1:32
	v_cndmask_b32_e32 v91, 0, v81, vcc_lo
	v_cmp_nlt_f32_e32 vcc_lo, 0x42b17218, v90
	v_cndmask_b32_e32 v81, 0x7f800000, v82, vcc_lo
	v_cmp_nlt_f32_e32 vcc_lo, 0x42b17218, v92
	v_cvt_f16_f32_e32 v98, v81
	v_cndmask_b32_e32 v82, 0x7f800000, v91, vcc_lo
	s_waitcnt lgkmcnt(1)
	v_mul_u32_u24_sdwa v100, v86, v75 dst_sel:DWORD dst_unused:UNUSED_PAD src0_sel:WORD_0 src1_sel:DWORD
	v_mul_u32_u24_sdwa v86, v86, v75 dst_sel:DWORD dst_unused:UNUSED_PAD src0_sel:WORD_1 src1_sel:DWORD
	ds_read2_b32 v[96:97], v41 offset0:64 offset1:96
	ds_read_b128 v[90:93], v54 offset:16
	v_mul_u32_u24_sdwa v101, v98, v75 dst_sel:DWORD dst_unused:UNUSED_PAD src0_sel:WORD_0 src1_sel:DWORD
	v_cvt_f16_f32_e32 v99, v82
	s_waitcnt lgkmcnt(2)
	v_pk_mul_f16 v100, v94, v100
	v_pk_mul_f16 v86, v94, v86
	v_mul_u32_u24_sdwa v94, v87, v75 dst_sel:DWORD dst_unused:UNUSED_PAD src0_sel:WORD_0 src1_sel:DWORD
	v_mul_u32_u24_sdwa v87, v87, v75 dst_sel:DWORD dst_unused:UNUSED_PAD src0_sel:WORD_1 src1_sel:DWORD
	v_mul_u32_u24_sdwa v102, v99, v75 dst_sel:DWORD dst_unused:UNUSED_PAD src0_sel:WORD_0 src1_sel:DWORD
	ds_read2_b32 v[98:99], v41 offset0:128 offset1:160
	v_pk_fma_f16 v45, v45, v101, v100
	v_mul_u32_u24_sdwa v101, v89, v75 dst_sel:DWORD dst_unused:UNUSED_PAD src0_sel:WORD_0 src1_sel:DWORD
	v_add_nc_u32_e32 v100, 0x400, v41
	v_pk_fma_f16 v43, v43, v102, v86
	v_mul_u32_u24_sdwa v86, v88, v75 dst_sel:DWORD dst_unused:UNUSED_PAD src0_sel:WORD_0 src1_sel:DWORD
	v_mul_u32_u24_sdwa v88, v88, v75 dst_sel:DWORD dst_unused:UNUSED_PAD src0_sel:WORD_1 src1_sel:DWORD
	v_pk_fma_f16 v45, v95, v94, v45
	v_mul_u32_u24_sdwa v102, v89, v75 dst_sel:DWORD dst_unused:UNUSED_PAD src0_sel:WORD_1 src1_sel:DWORD
	v_pk_fma_f16 v43, v95, v87, v43
	ds_read2_b32 v[94:95], v41 offset0:192 offset1:224
	v_fmac_f32_e32 v49, v77, v82
	s_waitcnt lgkmcnt(3)
	v_pk_fma_f16 v45, v96, v86, v45
	s_waitcnt lgkmcnt(2)
	v_mul_u32_u24_sdwa v103, v90, v75 dst_sel:DWORD dst_unused:UNUSED_PAD src0_sel:WORD_0 src1_sel:DWORD
	v_pk_fma_f16 v43, v96, v88, v43
	ds_read_b128 v[86:89], v54 offset:32
	v_mul_u32_u24_sdwa v90, v90, v75 dst_sel:DWORD dst_unused:UNUSED_PAD src0_sel:WORD_1 src1_sel:DWORD
	v_pk_fma_f16 v45, v97, v101, v45
	v_mul_u32_u24_sdwa v101, v91, v75 dst_sel:DWORD dst_unused:UNUSED_PAD src0_sel:WORD_0 src1_sel:DWORD
	v_pk_fma_f16 v43, v97, v102, v43
	ds_read2_b32 v[96:97], v100 offset1:32
	v_mul_u32_u24_sdwa v91, v91, v75 dst_sel:DWORD dst_unused:UNUSED_PAD src0_sel:WORD_1 src1_sel:DWORD
	s_waitcnt lgkmcnt(3)
	v_pk_fma_f16 v45, v98, v103, v45
	v_mul_u32_u24_sdwa v102, v93, v75 dst_sel:DWORD dst_unused:UNUSED_PAD src0_sel:WORD_1 src1_sel:DWORD
	v_pk_fma_f16 v43, v98, v90, v43
	v_mul_u32_u24_sdwa v90, v92, v75 dst_sel:DWORD dst_unused:UNUSED_PAD src0_sel:WORD_0 src1_sel:DWORD
	v_mul_u32_u24_sdwa v92, v92, v75 dst_sel:DWORD dst_unused:UNUSED_PAD src0_sel:WORD_1 src1_sel:DWORD
	v_pk_fma_f16 v45, v99, v101, v45
	v_mul_u32_u24_sdwa v101, v93, v75 dst_sel:DWORD dst_unused:UNUSED_PAD src0_sel:WORD_0 src1_sel:DWORD
	v_pk_fma_f16 v43, v99, v91, v43
	ds_read2_b32 v[98:99], v100 offset0:64 offset1:96
	s_waitcnt lgkmcnt(3)
	v_pk_fma_f16 v45, v94, v90, v45
	v_pk_fma_f16 v43, v94, v92, v43
	ds_read_b128 v[90:93], v54 offset:48
	s_waitcnt lgkmcnt(3)
	v_mul_u32_u24_sdwa v103, v86, v75 dst_sel:DWORD dst_unused:UNUSED_PAD src0_sel:WORD_0 src1_sel:DWORD
	v_mul_u32_u24_sdwa v86, v86, v75 dst_sel:DWORD dst_unused:UNUSED_PAD src0_sel:WORD_1 src1_sel:DWORD
	v_pk_fma_f16 v45, v95, v101, v45
	v_pk_fma_f16 v43, v95, v102, v43
	ds_read2_b32 v[94:95], v100 offset0:128 offset1:160
	v_mul_u32_u24_sdwa v101, v87, v75 dst_sel:DWORD dst_unused:UNUSED_PAD src0_sel:WORD_0 src1_sel:DWORD
	v_mul_u32_u24_sdwa v87, v87, v75 dst_sel:DWORD dst_unused:UNUSED_PAD src0_sel:WORD_1 src1_sel:DWORD
	s_waitcnt lgkmcnt(3)
	v_pk_fma_f16 v45, v96, v103, v45
	v_pk_fma_f16 v43, v96, v86, v43
	v_mul_u32_u24_sdwa v86, v88, v75 dst_sel:DWORD dst_unused:UNUSED_PAD src0_sel:WORD_0 src1_sel:DWORD
	v_mul_u32_u24_sdwa v88, v88, v75 dst_sel:DWORD dst_unused:UNUSED_PAD src0_sel:WORD_1 src1_sel:DWORD
	v_add_nc_u32_e32 v102, 0x800, v41
	v_pk_fma_f16 v45, v97, v101, v45
	v_pk_fma_f16 v43, v97, v87, v43
	ds_read2_b32 v[96:97], v100 offset0:192 offset1:224
	v_mul_u32_u24_sdwa v100, v89, v75 dst_sel:DWORD dst_unused:UNUSED_PAD src0_sel:WORD_0 src1_sel:DWORD
	v_mul_u32_u24_sdwa v101, v89, v75 dst_sel:DWORD dst_unused:UNUSED_PAD src0_sel:WORD_1 src1_sel:DWORD
	s_waitcnt lgkmcnt(3)
	v_pk_fma_f16 v45, v98, v86, v45
	v_pk_fma_f16 v43, v98, v88, v43
	ds_read_b128 v[86:89], v54 offset:64
	s_waitcnt lgkmcnt(3)
	v_mul_u32_u24_sdwa v103, v90, v75 dst_sel:DWORD dst_unused:UNUSED_PAD src0_sel:WORD_0 src1_sel:DWORD
	v_mul_u32_u24_sdwa v90, v90, v75 dst_sel:DWORD dst_unused:UNUSED_PAD src0_sel:WORD_1 src1_sel:DWORD
	v_pk_fma_f16 v45, v99, v100, v45
	v_pk_fma_f16 v43, v99, v101, v43
	ds_read2_b32 v[98:99], v102 offset1:32
	v_mul_u32_u24_sdwa v100, v91, v75 dst_sel:DWORD dst_unused:UNUSED_PAD src0_sel:WORD_0 src1_sel:DWORD
	v_mul_u32_u24_sdwa v91, v91, v75 dst_sel:DWORD dst_unused:UNUSED_PAD src0_sel:WORD_1 src1_sel:DWORD
	s_waitcnt lgkmcnt(3)
	v_pk_fma_f16 v45, v94, v103, v45
	v_pk_fma_f16 v43, v94, v90, v43
	v_mul_u32_u24_sdwa v90, v92, v75 dst_sel:DWORD dst_unused:UNUSED_PAD src0_sel:WORD_0 src1_sel:DWORD
	v_mul_u32_u24_sdwa v92, v92, v75 dst_sel:DWORD dst_unused:UNUSED_PAD src0_sel:WORD_1 src1_sel:DWORD
	v_mul_u32_u24_sdwa v101, v93, v75 dst_sel:DWORD dst_unused:UNUSED_PAD src0_sel:WORD_1 src1_sel:DWORD
	v_pk_fma_f16 v45, v95, v100, v45
	v_pk_fma_f16 v43, v95, v91, v43
	ds_read2_b32 v[94:95], v102 offset0:64 offset1:96
	v_mul_u32_u24_sdwa v100, v93, v75 dst_sel:DWORD dst_unused:UNUSED_PAD src0_sel:WORD_0 src1_sel:DWORD
	s_waitcnt lgkmcnt(3)
	v_pk_fma_f16 v45, v96, v90, v45
	v_pk_fma_f16 v43, v96, v92, v43
	ds_read_b128 v[90:93], v54 offset:80
	s_waitcnt lgkmcnt(3)
	v_mul_u32_u24_sdwa v103, v86, v75 dst_sel:DWORD dst_unused:UNUSED_PAD src0_sel:WORD_0 src1_sel:DWORD
	v_mul_u32_u24_sdwa v86, v86, v75 dst_sel:DWORD dst_unused:UNUSED_PAD src0_sel:WORD_1 src1_sel:DWORD
	v_pk_fma_f16 v45, v97, v100, v45
	v_pk_fma_f16 v43, v97, v101, v43
	ds_read2_b32 v[96:97], v102 offset0:128 offset1:160
	v_mul_u32_u24_sdwa v100, v87, v75 dst_sel:DWORD dst_unused:UNUSED_PAD src0_sel:WORD_0 src1_sel:DWORD
	v_mul_u32_u24_sdwa v87, v87, v75 dst_sel:DWORD dst_unused:UNUSED_PAD src0_sel:WORD_1 src1_sel:DWORD
	s_waitcnt lgkmcnt(3)
	v_pk_fma_f16 v45, v98, v103, v45
	v_pk_fma_f16 v43, v98, v86, v43
	v_mul_u32_u24_sdwa v86, v88, v75 dst_sel:DWORD dst_unused:UNUSED_PAD src0_sel:WORD_0 src1_sel:DWORD
	v_mul_u32_u24_sdwa v88, v88, v75 dst_sel:DWORD dst_unused:UNUSED_PAD src0_sel:WORD_1 src1_sel:DWORD
	v_add_nc_u32_e32 v101, 0xc00, v41
	v_pk_fma_f16 v45, v99, v100, v45
	v_pk_fma_f16 v43, v99, v87, v43
	ds_read2_b32 v[98:99], v102 offset0:192 offset1:224
	v_mul_u32_u24_sdwa v100, v89, v75 dst_sel:DWORD dst_unused:UNUSED_PAD src0_sel:WORD_0 src1_sel:DWORD
	v_mul_u32_u24_sdwa v102, v89, v75 dst_sel:DWORD dst_unused:UNUSED_PAD src0_sel:WORD_1 src1_sel:DWORD
	s_waitcnt lgkmcnt(3)
	v_pk_fma_f16 v45, v94, v86, v45
	v_pk_fma_f16 v43, v94, v88, v43
	ds_read_b128 v[86:89], v54 offset:96
	s_waitcnt lgkmcnt(3)
	v_mul_u32_u24_sdwa v103, v90, v75 dst_sel:DWORD dst_unused:UNUSED_PAD src0_sel:WORD_0 src1_sel:DWORD
	v_mul_u32_u24_sdwa v90, v90, v75 dst_sel:DWORD dst_unused:UNUSED_PAD src0_sel:WORD_1 src1_sel:DWORD
	v_pk_fma_f16 v45, v95, v100, v45
	v_pk_fma_f16 v43, v95, v102, v43
	ds_read2_b32 v[94:95], v101 offset1:32
	v_mul_u32_u24_sdwa v100, v91, v75 dst_sel:DWORD dst_unused:UNUSED_PAD src0_sel:WORD_0 src1_sel:DWORD
	v_mul_u32_u24_sdwa v91, v91, v75 dst_sel:DWORD dst_unused:UNUSED_PAD src0_sel:WORD_1 src1_sel:DWORD
	s_waitcnt lgkmcnt(3)
	v_pk_fma_f16 v45, v96, v103, v45
	v_pk_fma_f16 v43, v96, v90, v43
	v_mul_u32_u24_sdwa v90, v92, v75 dst_sel:DWORD dst_unused:UNUSED_PAD src0_sel:WORD_0 src1_sel:DWORD
	v_mul_u32_u24_sdwa v92, v92, v75 dst_sel:DWORD dst_unused:UNUSED_PAD src0_sel:WORD_1 src1_sel:DWORD
	v_mul_u32_u24_sdwa v102, v93, v75 dst_sel:DWORD dst_unused:UNUSED_PAD src0_sel:WORD_1 src1_sel:DWORD
	v_pk_fma_f16 v45, v97, v100, v45
	v_pk_fma_f16 v43, v97, v91, v43
	ds_read2_b32 v[96:97], v101 offset0:64 offset1:96
	v_mul_u32_u24_sdwa v100, v93, v75 dst_sel:DWORD dst_unused:UNUSED_PAD src0_sel:WORD_0 src1_sel:DWORD
	;; [unrolled: 45-line block ×10, first 2 shown]
	v_add_nc_u32_e32 v102, 0x3000, v41
	s_waitcnt lgkmcnt(3)
	v_pk_fma_f16 v45, v96, v90, v45
	v_pk_fma_f16 v43, v96, v92, v43
	ds_read_b128 v[90:93], v54 offset:368
	s_waitcnt lgkmcnt(3)
	v_mul_u32_u24_sdwa v104, v86, v75 dst_sel:DWORD dst_unused:UNUSED_PAD src0_sel:WORD_0 src1_sel:DWORD
	v_mul_u32_u24_sdwa v86, v86, v75 dst_sel:DWORD dst_unused:UNUSED_PAD src0_sel:WORD_1 src1_sel:DWORD
	v_pk_fma_f16 v45, v97, v100, v45
	v_pk_fma_f16 v43, v97, v103, v43
	ds_read2_b32 v[96:97], v101 offset0:128 offset1:160
	v_mul_u32_u24_sdwa v100, v87, v75 dst_sel:DWORD dst_unused:UNUSED_PAD src0_sel:WORD_0 src1_sel:DWORD
	v_mul_u32_u24_sdwa v87, v87, v75 dst_sel:DWORD dst_unused:UNUSED_PAD src0_sel:WORD_1 src1_sel:DWORD
	s_waitcnt lgkmcnt(3)
	v_pk_fma_f16 v45, v98, v104, v45
	v_pk_fma_f16 v43, v98, v86, v43
	v_mul_u32_u24_sdwa v86, v88, v75 dst_sel:DWORD dst_unused:UNUSED_PAD src0_sel:WORD_0 src1_sel:DWORD
	v_mul_u32_u24_sdwa v88, v88, v75 dst_sel:DWORD dst_unused:UNUSED_PAD src0_sel:WORD_1 src1_sel:DWORD
	v_add_nc_u32_e32 v103, 0x3400, v41
	v_pk_fma_f16 v45, v99, v100, v45
	v_pk_fma_f16 v43, v99, v87, v43
	ds_read2_b32 v[98:99], v101 offset0:192 offset1:224
	v_mul_u32_u24_sdwa v100, v89, v75 dst_sel:DWORD dst_unused:UNUSED_PAD src0_sel:WORD_0 src1_sel:DWORD
	v_mul_u32_u24_sdwa v101, v89, v75 dst_sel:DWORD dst_unused:UNUSED_PAD src0_sel:WORD_1 src1_sel:DWORD
	s_waitcnt lgkmcnt(3)
	v_pk_fma_f16 v45, v94, v86, v45
	v_pk_fma_f16 v43, v94, v88, v43
	ds_read_b128 v[86:89], v54 offset:384
	s_waitcnt lgkmcnt(3)
	v_mul_u32_u24_sdwa v104, v90, v75 dst_sel:DWORD dst_unused:UNUSED_PAD src0_sel:WORD_0 src1_sel:DWORD
	v_mul_u32_u24_sdwa v90, v90, v75 dst_sel:DWORD dst_unused:UNUSED_PAD src0_sel:WORD_1 src1_sel:DWORD
	v_pk_fma_f16 v45, v95, v100, v45
	v_pk_fma_f16 v43, v95, v101, v43
	ds_read2_b32 v[94:95], v102 offset1:32
	v_mul_u32_u24_sdwa v100, v91, v75 dst_sel:DWORD dst_unused:UNUSED_PAD src0_sel:WORD_0 src1_sel:DWORD
	v_mul_u32_u24_sdwa v91, v91, v75 dst_sel:DWORD dst_unused:UNUSED_PAD src0_sel:WORD_1 src1_sel:DWORD
	s_waitcnt lgkmcnt(3)
	v_pk_fma_f16 v45, v96, v104, v45
	v_pk_fma_f16 v43, v96, v90, v43
	v_mul_u32_u24_sdwa v90, v92, v75 dst_sel:DWORD dst_unused:UNUSED_PAD src0_sel:WORD_0 src1_sel:DWORD
	v_mul_u32_u24_sdwa v92, v92, v75 dst_sel:DWORD dst_unused:UNUSED_PAD src0_sel:WORD_1 src1_sel:DWORD
	v_mul_u32_u24_sdwa v104, v93, v75 dst_sel:DWORD dst_unused:UNUSED_PAD src0_sel:WORD_1 src1_sel:DWORD
	v_pk_fma_f16 v45, v97, v100, v45
	v_pk_fma_f16 v43, v97, v91, v43
	ds_read2_b32 v[96:97], v102 offset0:64 offset1:96
	v_mul_u32_u24_sdwa v100, v93, v75 dst_sel:DWORD dst_unused:UNUSED_PAD src0_sel:WORD_0 src1_sel:DWORD
	v_add_nc_u32_e32 v101, 0x3800, v41
	s_waitcnt lgkmcnt(3)
	v_pk_fma_f16 v45, v98, v90, v45
	v_pk_fma_f16 v43, v98, v92, v43
	ds_read_b128 v[90:93], v54 offset:400
	s_waitcnt lgkmcnt(3)
	v_mul_u32_u24_sdwa v105, v86, v75 dst_sel:DWORD dst_unused:UNUSED_PAD src0_sel:WORD_0 src1_sel:DWORD
	v_mul_u32_u24_sdwa v86, v86, v75 dst_sel:DWORD dst_unused:UNUSED_PAD src0_sel:WORD_1 src1_sel:DWORD
	v_pk_fma_f16 v45, v99, v100, v45
	v_pk_fma_f16 v43, v99, v104, v43
	ds_read2_b32 v[98:99], v102 offset0:128 offset1:160
	v_mul_u32_u24_sdwa v100, v87, v75 dst_sel:DWORD dst_unused:UNUSED_PAD src0_sel:WORD_0 src1_sel:DWORD
	v_mul_u32_u24_sdwa v87, v87, v75 dst_sel:DWORD dst_unused:UNUSED_PAD src0_sel:WORD_1 src1_sel:DWORD
	s_waitcnt lgkmcnt(3)
	v_pk_fma_f16 v45, v94, v105, v45
	v_pk_fma_f16 v43, v94, v86, v43
	v_mul_u32_u24_sdwa v86, v88, v75 dst_sel:DWORD dst_unused:UNUSED_PAD src0_sel:WORD_0 src1_sel:DWORD
	v_mul_u32_u24_sdwa v88, v88, v75 dst_sel:DWORD dst_unused:UNUSED_PAD src0_sel:WORD_1 src1_sel:DWORD
	v_add_nc_u32_e32 v104, 0x3c00, v41
	v_pk_fma_f16 v45, v95, v100, v45
	v_pk_fma_f16 v43, v95, v87, v43
	ds_read2_b32 v[94:95], v102 offset0:192 offset1:224
	v_mul_u32_u24_sdwa v100, v89, v75 dst_sel:DWORD dst_unused:UNUSED_PAD src0_sel:WORD_0 src1_sel:DWORD
	v_mul_u32_u24_sdwa v102, v89, v75 dst_sel:DWORD dst_unused:UNUSED_PAD src0_sel:WORD_1 src1_sel:DWORD
	s_waitcnt lgkmcnt(3)
	v_pk_fma_f16 v45, v96, v86, v45
	v_pk_fma_f16 v43, v96, v88, v43
	ds_read_b128 v[86:89], v54 offset:416
	s_waitcnt lgkmcnt(3)
	v_mul_u32_u24_sdwa v105, v90, v75 dst_sel:DWORD dst_unused:UNUSED_PAD src0_sel:WORD_0 src1_sel:DWORD
	v_mul_u32_u24_sdwa v90, v90, v75 dst_sel:DWORD dst_unused:UNUSED_PAD src0_sel:WORD_1 src1_sel:DWORD
	v_pk_fma_f16 v45, v97, v100, v45
	v_pk_fma_f16 v43, v97, v102, v43
	ds_read2_b32 v[96:97], v103 offset1:32
	v_mul_u32_u24_sdwa v100, v91, v75 dst_sel:DWORD dst_unused:UNUSED_PAD src0_sel:WORD_0 src1_sel:DWORD
	v_mul_u32_u24_sdwa v91, v91, v75 dst_sel:DWORD dst_unused:UNUSED_PAD src0_sel:WORD_1 src1_sel:DWORD
	s_waitcnt lgkmcnt(3)
	v_pk_fma_f16 v45, v98, v105, v45
	v_pk_fma_f16 v43, v98, v90, v43
	v_mul_u32_u24_sdwa v85, v92, v75 dst_sel:DWORD dst_unused:UNUSED_PAD src0_sel:WORD_0 src1_sel:DWORD
	v_mul_u32_u24_sdwa v90, v92, v75 dst_sel:DWORD dst_unused:UNUSED_PAD src0_sel:WORD_1 src1_sel:DWORD
	v_mul_u32_u24_sdwa v102, v93, v75 dst_sel:DWORD dst_unused:UNUSED_PAD src0_sel:WORD_1 src1_sel:DWORD
	v_pk_fma_f16 v45, v99, v100, v45
	v_pk_fma_f16 v43, v99, v91, v43
	ds_read2_b32 v[98:99], v103 offset0:64 offset1:96
	v_mul_u32_u24_sdwa v100, v93, v75 dst_sel:DWORD dst_unused:UNUSED_PAD src0_sel:WORD_0 src1_sel:DWORD
	s_waitcnt lgkmcnt(3)
	v_pk_fma_f16 v45, v94, v85, v45
	v_pk_fma_f16 v43, v94, v90, v43
	ds_read_b128 v[90:93], v54 offset:432
	s_waitcnt lgkmcnt(3)
	v_mul_u32_u24_sdwa v85, v86, v75 dst_sel:DWORD dst_unused:UNUSED_PAD src0_sel:WORD_0 src1_sel:DWORD
	v_mul_u32_u24_sdwa v86, v86, v75 dst_sel:DWORD dst_unused:UNUSED_PAD src0_sel:WORD_1 src1_sel:DWORD
	v_pk_fma_f16 v45, v95, v100, v45
	v_pk_fma_f16 v43, v95, v102, v43
	ds_read2_b32 v[94:95], v103 offset0:128 offset1:160
	v_mul_u32_u24_sdwa v100, v87, v75 dst_sel:DWORD dst_unused:UNUSED_PAD src0_sel:WORD_0 src1_sel:DWORD
	v_mul_u32_u24_sdwa v87, v87, v75 dst_sel:DWORD dst_unused:UNUSED_PAD src0_sel:WORD_1 src1_sel:DWORD
	s_waitcnt lgkmcnt(3)
	v_pk_fma_f16 v45, v96, v85, v45
	v_pk_fma_f16 v43, v96, v86, v43
	v_add_f32_e32 v102, v83, v84
	v_mul_u32_u24_sdwa v83, v88, v75 dst_sel:DWORD dst_unused:UNUSED_PAD src0_sel:WORD_0 src1_sel:DWORD
	v_mul_u32_u24_sdwa v84, v88, v75 dst_sel:DWORD dst_unused:UNUSED_PAD src0_sel:WORD_1 src1_sel:DWORD
	v_pk_fma_f16 v45, v97, v100, v45
	v_pk_fma_f16 v43, v97, v87, v43
	ds_read2_b32 v[96:97], v103 offset0:192 offset1:224
	v_mul_u32_u24_sdwa v87, v89, v75 dst_sel:DWORD dst_unused:UNUSED_PAD src0_sel:WORD_0 src1_sel:DWORD
	v_mul_u32_u24_sdwa v88, v89, v75 dst_sel:DWORD dst_unused:UNUSED_PAD src0_sel:WORD_1 src1_sel:DWORD
	s_waitcnt lgkmcnt(3)
	v_pk_fma_f16 v45, v98, v83, v45
	v_pk_fma_f16 v43, v98, v84, v43
	ds_read_b128 v[83:86], v54 offset:448
	s_waitcnt lgkmcnt(3)
	v_mul_u32_u24_sdwa v89, v90, v75 dst_sel:DWORD dst_unused:UNUSED_PAD src0_sel:WORD_0 src1_sel:DWORD
	v_mul_u32_u24_sdwa v90, v90, v75 dst_sel:DWORD dst_unused:UNUSED_PAD src0_sel:WORD_1 src1_sel:DWORD
	v_pk_fma_f16 v45, v99, v87, v45
	v_pk_fma_f16 v43, v99, v88, v43
	ds_read2_b32 v[98:99], v101 offset1:32
	v_mul_u32_u24_sdwa v87, v91, v75 dst_sel:DWORD dst_unused:UNUSED_PAD src0_sel:WORD_0 src1_sel:DWORD
	v_mul_u32_u24_sdwa v88, v91, v75 dst_sel:DWORD dst_unused:UNUSED_PAD src0_sel:WORD_1 src1_sel:DWORD
	s_waitcnt lgkmcnt(3)
	v_pk_fma_f16 v45, v94, v89, v45
	v_pk_fma_f16 v43, v94, v90, v43
	v_mul_u32_u24_sdwa v89, v92, v75 dst_sel:DWORD dst_unused:UNUSED_PAD src0_sel:WORD_0 src1_sel:DWORD
	v_mul_u32_u24_sdwa v90, v92, v75 dst_sel:DWORD dst_unused:UNUSED_PAD src0_sel:WORD_1 src1_sel:DWORD
	ds_read2_b32 v[91:92], v101 offset0:64 offset1:96
	v_pk_fma_f16 v45, v95, v87, v45
	v_pk_fma_f16 v43, v95, v88, v43
	v_mul_u32_u24_sdwa v94, v93, v75 dst_sel:DWORD dst_unused:UNUSED_PAD src0_sel:WORD_0 src1_sel:DWORD
	v_mul_u32_u24_sdwa v93, v93, v75 dst_sel:DWORD dst_unused:UNUSED_PAD src0_sel:WORD_1 src1_sel:DWORD
	v_add_f32_e32 v50, v50, v102
	s_waitcnt lgkmcnt(3)
	v_pk_fma_f16 v45, v96, v89, v45
	v_pk_fma_f16 v43, v96, v90, v43
	ds_read_b128 v[87:90], v54 offset:464
	s_waitcnt lgkmcnt(3)
	v_mul_u32_u24_sdwa v95, v83, v75 dst_sel:DWORD dst_unused:UNUSED_PAD src0_sel:WORD_0 src1_sel:DWORD
	v_mul_u32_u24_sdwa v83, v83, v75 dst_sel:DWORD dst_unused:UNUSED_PAD src0_sel:WORD_1 src1_sel:DWORD
	v_pk_fma_f16 v45, v97, v94, v45
	v_pk_fma_f16 v43, v97, v93, v43
	ds_read2_b32 v[93:94], v101 offset0:128 offset1:160
	v_mul_u32_u24_sdwa v97, v84, v75 dst_sel:DWORD dst_unused:UNUSED_PAD src0_sel:WORD_0 src1_sel:DWORD
	v_mul_u32_u24_sdwa v84, v84, v75 dst_sel:DWORD dst_unused:UNUSED_PAD src0_sel:WORD_1 src1_sel:DWORD
	s_waitcnt lgkmcnt(3)
	v_pk_fma_f16 v45, v98, v95, v45
	v_pk_fma_f16 v43, v98, v83, v43
	v_mul_u32_u24_sdwa v83, v85, v75 dst_sel:DWORD dst_unused:UNUSED_PAD src0_sel:WORD_0 src1_sel:DWORD
	v_mul_u32_u24_sdwa v85, v85, v75 dst_sel:DWORD dst_unused:UNUSED_PAD src0_sel:WORD_1 src1_sel:DWORD
	ds_read2_b32 v[95:96], v101 offset0:192 offset1:224
	v_pk_fma_f16 v45, v99, v97, v45
	v_pk_fma_f16 v43, v99, v84, v43
	v_mul_u32_u24_sdwa v99, v86, v75 dst_sel:DWORD dst_unused:UNUSED_PAD src0_sel:WORD_0 src1_sel:DWORD
	v_mul_u32_u24_sdwa v100, v86, v75 dst_sel:DWORD dst_unused:UNUSED_PAD src0_sel:WORD_1 src1_sel:DWORD
	ds_read2_b32 v[97:98], v104 offset1:32
	s_waitcnt lgkmcnt(4)
	v_pk_fma_f16 v45, v91, v83, v45
	v_pk_fma_f16 v43, v91, v85, v43
	ds_read_b128 v[83:86], v54 offset:480
	s_waitcnt lgkmcnt(4)
	v_mul_u32_u24_sdwa v91, v87, v75 dst_sel:DWORD dst_unused:UNUSED_PAD src0_sel:WORD_0 src1_sel:DWORD
	v_mul_u32_u24_sdwa v87, v87, v75 dst_sel:DWORD dst_unused:UNUSED_PAD src0_sel:WORD_1 src1_sel:DWORD
	v_pk_fma_f16 v45, v92, v99, v45
	v_pk_fma_f16 v43, v92, v100, v43
	v_mul_u32_u24_sdwa v92, v88, v75 dst_sel:DWORD dst_unused:UNUSED_PAD src0_sel:WORD_0 src1_sel:DWORD
	v_mul_u32_u24_sdwa v101, v88, v75 dst_sel:DWORD dst_unused:UNUSED_PAD src0_sel:WORD_1 src1_sel:DWORD
	v_mul_u32_u24_sdwa v102, v89, v75 dst_sel:DWORD dst_unused:UNUSED_PAD src0_sel:WORD_0 src1_sel:DWORD
	s_waitcnt lgkmcnt(3)
	v_pk_fma_f16 v45, v93, v91, v45
	v_pk_fma_f16 v43, v93, v87, v43
	v_mul_u32_u24_sdwa v89, v89, v75 dst_sel:DWORD dst_unused:UNUSED_PAD src0_sel:WORD_1 src1_sel:DWORD
	ds_read2_b32 v[99:100], v104 offset0:64 offset1:96
	v_mul_u32_u24_sdwa v103, v90, v75 dst_sel:DWORD dst_unused:UNUSED_PAD src0_sel:WORD_1 src1_sel:DWORD
	v_pk_fma_f16 v45, v94, v92, v45
	v_pk_fma_f16 v43, v94, v101, v43
	v_mul_u32_u24_sdwa v101, v90, v75 dst_sel:DWORD dst_unused:UNUSED_PAD src0_sel:WORD_0 src1_sel:DWORD
	ds_read_b128 v[91:94], v54 offset:496
	ds_read2_b32 v[87:88], v104 offset0:128 offset1:160
	s_waitcnt lgkmcnt(5)
	v_pk_fma_f16 v45, v95, v102, v45
	v_pk_fma_f16 v43, v95, v89, v43
	s_waitcnt lgkmcnt(3)
	v_mul_u32_u24_sdwa v95, v83, v75 dst_sel:DWORD dst_unused:UNUSED_PAD src0_sel:WORD_0 src1_sel:DWORD
	v_mul_u32_u24_sdwa v83, v83, v75 dst_sel:DWORD dst_unused:UNUSED_PAD src0_sel:WORD_1 src1_sel:DWORD
	ds_read2_b32 v[89:90], v104 offset0:192 offset1:224
	v_pk_fma_f16 v45, v96, v101, v45
	v_pk_fma_f16 v43, v96, v103, v43
	v_mul_u32_u24_sdwa v96, v84, v75 dst_sel:DWORD dst_unused:UNUSED_PAD src0_sel:WORD_0 src1_sel:DWORD
	v_mul_u32_u24_sdwa v84, v84, v75 dst_sel:DWORD dst_unused:UNUSED_PAD src0_sel:WORD_1 src1_sel:DWORD
	s_waitcnt lgkmcnt(0)
	v_pk_fma_f16 v45, v97, v95, v45
	v_pk_fma_f16 v43, v97, v83, v43
	v_mul_u32_u24_sdwa v83, v85, v75 dst_sel:DWORD dst_unused:UNUSED_PAD src0_sel:WORD_0 src1_sel:DWORD
	v_mul_u32_u24_sdwa v85, v85, v75 dst_sel:DWORD dst_unused:UNUSED_PAD src0_sel:WORD_1 src1_sel:DWORD
	s_barrier
	v_pk_fma_f16 v45, v98, v96, v45
	v_pk_fma_f16 v43, v98, v84, v43
	v_mul_u32_u24_sdwa v84, v86, v75 dst_sel:DWORD dst_unused:UNUSED_PAD src0_sel:WORD_0 src1_sel:DWORD
	v_mul_u32_u24_sdwa v86, v86, v75 dst_sel:DWORD dst_unused:UNUSED_PAD src0_sel:WORD_1 src1_sel:DWORD
	buffer_gl0_inv
	v_pk_fma_f16 v45, v99, v83, v45
	v_pk_fma_f16 v43, v99, v85, v43
	s_load_dword s13, s[6:7], 0x4
	v_mul_u32_u24_sdwa v83, v91, v75 dst_sel:DWORD dst_unused:UNUSED_PAD src0_sel:WORD_0 src1_sel:DWORD
	v_mul_u32_u24_sdwa v85, v91, v75 dst_sel:DWORD dst_unused:UNUSED_PAD src0_sel:WORD_1 src1_sel:DWORD
	v_pk_fma_f16 v45, v100, v84, v45
	v_pk_fma_f16 v43, v100, v86, v43
	v_mul_u32_u24_sdwa v80, v92, v75 dst_sel:DWORD dst_unused:UNUSED_PAD src0_sel:WORD_0 src1_sel:DWORD
	v_mul_u32_u24_sdwa v84, v92, v75 dst_sel:DWORD dst_unused:UNUSED_PAD src0_sel:WORD_1 src1_sel:DWORD
	v_mul_u32_u24_sdwa v79, v93, v75 dst_sel:DWORD dst_unused:UNUSED_PAD src0_sel:WORD_0 src1_sel:DWORD
	v_pk_fma_f16 v45, v87, v83, v45
	v_pk_fma_f16 v43, v87, v85, v43
	v_mul_u32_u24_sdwa v83, v93, v75 dst_sel:DWORD dst_unused:UNUSED_PAD src0_sel:WORD_1 src1_sel:DWORD
	v_mul_u32_u24_sdwa v78, v94, v75 dst_sel:DWORD dst_unused:UNUSED_PAD src0_sel:WORD_0 src1_sel:DWORD
	v_fmac_f32_e32 v50, v76, v81
	v_pk_fma_f16 v45, v88, v80, v45
	v_pk_fma_f16 v43, v88, v84, v43
	v_mul_u32_u24_sdwa v80, v94, v75 dst_sel:DWORD dst_unused:UNUSED_PAD src0_sel:WORD_1 src1_sel:DWORD
	v_pk_fma_f16 v45, v89, v79, v45
	v_pk_fma_f16 v43, v89, v83, v43
	s_waitcnt lgkmcnt(0)
	s_lshl_b32 s13, s13, 7
	s_add_i32 s18, s13, s18
	v_pk_fma_f16 v45, v90, v78, v45
	v_pk_fma_f16 v43, v90, v80, v43
	s_cmp_lt_i32 s18, s10
	s_cbranch_scc0 .LBB62_28
; %bb.26:                               ;   in Loop: Header=BB62_8 Depth=1
	v_mov_b32_e32 v79, v2
	v_mov_b32_e32 v78, v3
	;; [unrolled: 1-line block ×4, first 2 shown]
	s_branch .LBB62_8
.LBB62_27:
	v_mov_b32_e32 v2, 0xfeffffff
	v_mov_b32_e32 v45, 0
	;; [unrolled: 1-line block ×5, first 2 shown]
.LBB62_28:
	v_lshlrev_b32_e32 v10, 1, v0
	s_cmp_gt_i32 s48, s18
	s_cbranch_scc1 .LBB62_31
; %bb.29:
	v_mbcnt_lo_u32_b32 v4, -1, 0
	v_mov_b32_e32 v7, 32
	v_xor_b32_e32 v19, 16, v4
	v_xor_b32_e32 v18, 8, v4
	;; [unrolled: 1-line block ×5, first 2 shown]
	s_cbranch_execz .LBB62_32
; %bb.30:
	v_mov_b32_e32 v40, v4
	s_branch .LBB62_72
.LBB62_31:
                                        ; implicit-def: $vgpr4
                                        ; implicit-def: $vgpr7
                                        ; implicit-def: $vgpr19
                                        ; implicit-def: $vgpr18
                                        ; implicit-def: $vgpr20
                                        ; implicit-def: $vgpr21
                                        ; implicit-def: $vgpr22
.LBB62_32:
	v_lshl_add_u32 v9, v1, 2, v51
	s_mul_hi_i32 s7, s18, s12
	s_mul_i32 s6, s18, s12
	v_and_b32_e32 v6, 28, v41
	s_lshl_b64 s[6:7], s[6:7], 2
	v_mul_lo_u32 v11, s12, v9
	s_sub_i32 s38, s48, s18
	s_add_u32 s13, s8, s6
	s_mov_b64 s[14:15], src_private_base
	s_addc_u32 s14, s9, s7
	v_lshlrev_b32_e32 v8, 2, v6
	v_cmp_gt_i32_e64 s6, s38, v9
	v_mov_b32_e32 v18, 0
	v_ashrrev_i32_e32 v12, 31, v11
	buffer_store_dword v18, off, s[0:3], 0
	buffer_store_dword v18, off, s[0:3], 0 offset:4
	buffer_store_dword v18, off, s[0:3], 0 offset:8
	;; [unrolled: 1-line block ×3, first 2 shown]
	v_lshlrev_b64 v[4:5], 2, v[11:12]
	s_lshl_b32 s16, s12, 4
	v_mad_u32_u24 v22, 0x90, v9, v8
	v_add_nc_u32_e32 v11, s16, v11
	v_mov_b32_e32 v27, 0
	v_mov_b32_e32 v23, 0
	v_add_co_u32 v4, vcc_lo, s13, v4
	v_add_co_ci_u32_e64 v5, null, s14, v5, vcc_lo
	v_ashrrev_i32_e32 v12, 31, v11
	v_add_co_u32 v4, vcc_lo, v4, v8
	v_add_co_ci_u32_e64 v5, null, 0, v5, vcc_lo
	v_lshlrev_b64 v[12:13], 2, v[11:12]
	v_cndmask_b32_e64 v4, 0, v4, s6
	v_mov_b32_e32 v28, 0
	v_cndmask_b32_e64 v5, s15, v5, s6
	v_mov_b32_e32 v24, 0
	v_mov_b32_e32 v29, 0
	v_add_co_u32 v14, vcc_lo, s13, v12
	flat_load_dwordx4 v[4:7], v[4:5]
	v_add_co_ci_u32_e64 v13, null, s14, v13, vcc_lo
	v_add_nc_u32_e32 v12, 16, v9
	v_add_co_u32 v15, vcc_lo, v14, v8
	v_add_co_ci_u32_e64 v13, null, 0, v13, vcc_lo
	v_cmp_gt_i32_e64 s7, s38, v12
	buffer_store_dword v18, off, s[0:3], 0
	buffer_store_dword v18, off, s[0:3], 0 offset:4
	buffer_store_dword v18, off, s[0:3], 0 offset:8
	;; [unrolled: 1-line block ×3, first 2 shown]
	v_mov_b32_e32 v25, 0
	v_mov_b32_e32 v30, 0
	v_cndmask_b32_e64 v14, s15, v13, s7
	v_cndmask_b32_e64 v13, 0, v15, s7
	v_mov_b32_e32 v26, 0
	s_cmp_lg_u64 s[46:47], 0
	s_waitcnt vmcnt(0) lgkmcnt(0)
	ds_write_b128 v22, v[4:7]
	flat_load_dwordx4 v[4:7], v[13:14]
	v_add_nc_u32_e32 v14, s16, v11
	v_add_nc_u32_e32 v13, 32, v9
	buffer_store_dword v18, off, s[0:3], 0
	buffer_store_dword v18, off, s[0:3], 0 offset:4
	buffer_store_dword v18, off, s[0:3], 0 offset:8
	buffer_store_dword v18, off, s[0:3], 0 offset:12
	v_ashrrev_i32_e32 v15, 31, v14
	v_cmp_gt_i32_e64 s8, s38, v13
	v_lshlrev_b64 v[15:16], 2, v[14:15]
	v_add_co_u32 v11, vcc_lo, s13, v15
	v_add_co_ci_u32_e64 v15, null, s14, v16, vcc_lo
	v_add_co_u32 v11, vcc_lo, v11, v8
	v_add_co_ci_u32_e64 v15, null, 0, v15, vcc_lo
	v_cndmask_b32_e64 v16, s15, v15, s8
	v_cndmask_b32_e64 v15, 0, v11, s8
	s_waitcnt vmcnt(0) lgkmcnt(0)
	ds_write_b128 v22, v[4:7] offset:2304
	flat_load_dwordx4 v[4:7], v[15:16]
	v_add_nc_u32_e32 v15, s16, v14
	v_add_nc_u32_e32 v14, 48, v9
	buffer_store_dword v18, off, s[0:3], 0
	buffer_store_dword v18, off, s[0:3], 0 offset:4
	buffer_store_dword v18, off, s[0:3], 0 offset:8
	buffer_store_dword v18, off, s[0:3], 0 offset:12
	v_ashrrev_i32_e32 v16, 31, v15
	v_cmp_gt_i32_e64 s9, s38, v14
	v_lshlrev_b64 v[16:17], 2, v[15:16]
	v_add_co_u32 v11, vcc_lo, s13, v16
	v_add_co_ci_u32_e64 v16, null, s14, v17, vcc_lo
	v_add_co_u32 v11, vcc_lo, v11, v8
	v_add_co_ci_u32_e64 v16, null, 0, v16, vcc_lo
	v_cndmask_b32_e64 v17, s15, v16, s9
	v_cndmask_b32_e64 v16, 0, v11, s9
	s_waitcnt vmcnt(0) lgkmcnt(0)
	ds_write_b128 v22, v[4:7] offset:4608
	;; [unrolled: 18-line block ×3, first 2 shown]
	flat_load_dwordx4 v[4:7], v[19:20]
	v_add_nc_u32_e32 v19, s16, v16
	buffer_store_dword v18, off, s[0:3], 0
	buffer_store_dword v18, off, s[0:3], 0 offset:4
	buffer_store_dword v18, off, s[0:3], 0 offset:8
	;; [unrolled: 1-line block ×3, first 2 shown]
	v_ashrrev_i32_e32 v20, 31, v19
	v_lshlrev_b64 v[16:17], 2, v[19:20]
	v_add_nc_u32_e32 v19, s16, v19
	v_add_co_u32 v11, vcc_lo, s13, v16
	v_add_co_ci_u32_e64 v17, null, s14, v17, vcc_lo
	v_add_nc_u32_e32 v16, 0x50, v9
	v_add_co_u32 v11, vcc_lo, v11, v8
	v_add_co_ci_u32_e64 v17, null, 0, v17, vcc_lo
	v_cmp_gt_i32_e64 s11, s38, v16
	v_cndmask_b32_e64 v20, 0, v11, s11
	v_cndmask_b32_e64 v21, s15, v17, s11
	v_add_nc_u32_e32 v17, 0x60, v9
	v_cmp_gt_i32_e64 s12, s38, v17
	s_waitcnt vmcnt(0) lgkmcnt(0)
	ds_write_b128 v22, v[4:7] offset:9216
	flat_load_dwordx4 v[4:7], v[20:21]
	v_ashrrev_i32_e32 v20, 31, v19
	buffer_store_dword v18, off, s[0:3], 0
	buffer_store_dword v18, off, s[0:3], 0 offset:4
	buffer_store_dword v18, off, s[0:3], 0 offset:8
	buffer_store_dword v18, off, s[0:3], 0 offset:12
	v_lshlrev_b64 v[20:21], 2, v[19:20]
	v_add_nc_u32_e32 v19, s16, v19
	s_cselect_b32 s16, -1, 0
	v_add_co_u32 v11, vcc_lo, s13, v20
	v_add_co_ci_u32_e64 v20, null, s14, v21, vcc_lo
	v_add_co_u32 v11, vcc_lo, v11, v8
	v_add_co_ci_u32_e64 v20, null, 0, v20, vcc_lo
	v_cndmask_b32_e64 v21, s15, v20, s12
	v_cndmask_b32_e64 v20, 0, v11, s12
	v_add_nc_u32_e32 v11, 0x70, v9
	s_waitcnt vmcnt(0) lgkmcnt(0)
	ds_write_b128 v22, v[4:7] offset:11520
	flat_load_dwordx4 v[4:7], v[20:21]
	v_ashrrev_i32_e32 v20, 31, v19
	buffer_store_dword v18, off, s[0:3], 0
	buffer_store_dword v18, off, s[0:3], 0 offset:4
	buffer_store_dword v18, off, s[0:3], 0 offset:8
	;; [unrolled: 1-line block ×3, first 2 shown]
	v_lshlrev_b64 v[19:20], 2, v[19:20]
	v_add_co_u32 v19, vcc_lo, s13, v19
	v_add_co_ci_u32_e64 v20, null, s14, v20, vcc_lo
	v_cmp_gt_i32_e64 s13, s38, v11
	v_add_co_u32 v19, vcc_lo, v19, v8
	v_add_co_ci_u32_e64 v20, null, 0, v20, vcc_lo
	v_cmp_gt_i32_e64 s14, s38, v0
	v_cndmask_b32_e64 v19, 0, v19, s13
	v_cndmask_b32_e64 v20, s15, v20, s13
	s_waitcnt vmcnt(0) lgkmcnt(0)
	ds_write_b128 v22, v[4:7] offset:13824
	flat_load_dwordx4 v[4:7], v[19:20]
	s_waitcnt vmcnt(0) lgkmcnt(0)
	ds_write_b128 v22, v[4:7] offset:16128
	s_waitcnt lgkmcnt(0)
	s_waitcnt_vscnt null, 0x0
	s_barrier
	buffer_gl0_inv
	ds_read_b128 v[4:7], v47
	ds_read_b128 v[19:22], v48 offset:20480
	ds_read_b128 v[31:34], v48 offset:20608
	ds_read_b128 v[51:54], v47 offset:4608
	ds_read_b128 v[55:58], v47 offset:9216
	ds_read_b128 v[59:62], v47 offset:13824
	s_waitcnt lgkmcnt(4)
	;;#ASMSTART
	v_dot2_f32_f16 v27, v4, v19, v27
	;;#ASMEND
	;;#ASMSTART
	v_dot2_f32_f16 v27, v5, v20, v27
	;;#ASMEND
	;;#ASMSTART
	v_dot2_f32_f16 v27, v6, v21, v27
	;;#ASMEND
	;;#ASMSTART
	v_dot2_f32_f16 v27, v7, v22, v27
	;;#ASMEND
	s_waitcnt lgkmcnt(3)
	;;#ASMSTART
	v_dot2_f32_f16 v23, v4, v31, v23
	;;#ASMEND
	;;#ASMSTART
	v_dot2_f32_f16 v23, v5, v32, v23
	;;#ASMEND
	;;#ASMSTART
	v_dot2_f32_f16 v23, v6, v33, v23
	;;#ASMEND
	;;#ASMSTART
	v_dot2_f32_f16 v23, v7, v34, v23
	;;#ASMEND
	;; [unrolled: 13-line block ×3, first 2 shown]
	;;#ASMSTART
	v_dot2_f32_f16 v24, v51, v31, v24
	;;#ASMEND
	;;#ASMSTART
	v_dot2_f32_f16 v24, v52, v32, v24
	;;#ASMEND
	;; [unrolled: 3-line block ×4, first 2 shown]
	s_waitcnt lgkmcnt(1)
	;;#ASMSTART
	v_dot2_f32_f16 v29, v55, v19, v29
	;;#ASMEND
	;;#ASMSTART
	v_dot2_f32_f16 v29, v56, v20, v29
	;;#ASMEND
	;; [unrolled: 3-line block ×8, first 2 shown]
	s_waitcnt lgkmcnt(0)
	;;#ASMSTART
	v_dot2_f32_f16 v30, v59, v19, v30
	;;#ASMEND
	;;#ASMSTART
	v_dot2_f32_f16 v30, v60, v20, v30
	;;#ASMEND
	;;#ASMSTART
	v_dot2_f32_f16 v30, v61, v21, v30
	;;#ASMEND
	;;#ASMSTART
	v_dot2_f32_f16 v30, v62, v22, v30
	;;#ASMEND
	;;#ASMSTART
	v_dot2_f32_f16 v26, v59, v31, v26
	;;#ASMEND
	;;#ASMSTART
	v_dot2_f32_f16 v26, v60, v32, v26
	;;#ASMEND
	;;#ASMSTART
	v_dot2_f32_f16 v26, v61, v33, v26
	;;#ASMEND
	;;#ASMSTART
	v_dot2_f32_f16 v26, v62, v34, v26
	;;#ASMEND
	ds_read_b128 v[4:7], v47 offset:16
	ds_read_b128 v[19:22], v48 offset:20496
	;; [unrolled: 1-line block ×6, first 2 shown]
	s_waitcnt lgkmcnt(4)
	;;#ASMSTART
	v_dot2_f32_f16 v27, v4, v19, v27
	;;#ASMEND
	;;#ASMSTART
	v_dot2_f32_f16 v27, v5, v20, v27
	;;#ASMEND
	;;#ASMSTART
	v_dot2_f32_f16 v27, v6, v21, v27
	;;#ASMEND
	;;#ASMSTART
	v_dot2_f32_f16 v27, v7, v22, v27
	;;#ASMEND
	s_waitcnt lgkmcnt(3)
	;;#ASMSTART
	v_dot2_f32_f16 v23, v4, v31, v23
	;;#ASMEND
	;;#ASMSTART
	v_dot2_f32_f16 v23, v5, v32, v23
	;;#ASMEND
	;;#ASMSTART
	v_dot2_f32_f16 v23, v6, v33, v23
	;;#ASMEND
	;;#ASMSTART
	v_dot2_f32_f16 v23, v7, v34, v23
	;;#ASMEND
	;; [unrolled: 13-line block ×3, first 2 shown]
	;;#ASMSTART
	v_dot2_f32_f16 v24, v51, v31, v24
	;;#ASMEND
	;;#ASMSTART
	v_dot2_f32_f16 v24, v52, v32, v24
	;;#ASMEND
	;; [unrolled: 3-line block ×4, first 2 shown]
	s_waitcnt lgkmcnt(1)
	;;#ASMSTART
	v_dot2_f32_f16 v29, v55, v19, v29
	;;#ASMEND
	;;#ASMSTART
	v_dot2_f32_f16 v29, v56, v20, v29
	;;#ASMEND
	;; [unrolled: 3-line block ×8, first 2 shown]
	s_waitcnt lgkmcnt(0)
	;;#ASMSTART
	v_dot2_f32_f16 v30, v59, v19, v30
	;;#ASMEND
	;;#ASMSTART
	v_dot2_f32_f16 v30, v60, v20, v30
	;;#ASMEND
	;; [unrolled: 3-line block ×8, first 2 shown]
	ds_read_b128 v[4:7], v47 offset:32
	ds_read_b128 v[19:22], v48 offset:20512
	;; [unrolled: 1-line block ×6, first 2 shown]
	s_waitcnt lgkmcnt(4)
	;;#ASMSTART
	v_dot2_f32_f16 v27, v4, v19, v27
	;;#ASMEND
	;;#ASMSTART
	v_dot2_f32_f16 v27, v5, v20, v27
	;;#ASMEND
	;;#ASMSTART
	v_dot2_f32_f16 v27, v6, v21, v27
	;;#ASMEND
	;;#ASMSTART
	v_dot2_f32_f16 v27, v7, v22, v27
	;;#ASMEND
	s_waitcnt lgkmcnt(3)
	;;#ASMSTART
	v_dot2_f32_f16 v23, v4, v31, v23
	;;#ASMEND
	;;#ASMSTART
	v_dot2_f32_f16 v23, v5, v32, v23
	;;#ASMEND
	;;#ASMSTART
	v_dot2_f32_f16 v23, v6, v33, v23
	;;#ASMEND
	;;#ASMSTART
	v_dot2_f32_f16 v23, v7, v34, v23
	;;#ASMEND
	;; [unrolled: 13-line block ×3, first 2 shown]
	;;#ASMSTART
	v_dot2_f32_f16 v24, v51, v31, v24
	;;#ASMEND
	;;#ASMSTART
	v_dot2_f32_f16 v24, v52, v32, v24
	;;#ASMEND
	;; [unrolled: 3-line block ×4, first 2 shown]
	s_waitcnt lgkmcnt(1)
	;;#ASMSTART
	v_dot2_f32_f16 v29, v55, v19, v29
	;;#ASMEND
	;;#ASMSTART
	v_dot2_f32_f16 v29, v56, v20, v29
	;;#ASMEND
	;; [unrolled: 3-line block ×8, first 2 shown]
	s_waitcnt lgkmcnt(0)
	;;#ASMSTART
	v_dot2_f32_f16 v30, v59, v19, v30
	;;#ASMEND
	;;#ASMSTART
	v_dot2_f32_f16 v30, v60, v20, v30
	;;#ASMEND
	;; [unrolled: 3-line block ×8, first 2 shown]
	ds_read_b128 v[4:7], v47 offset:48
	ds_read_b128 v[19:22], v48 offset:20528
	;; [unrolled: 1-line block ×6, first 2 shown]
	s_waitcnt lgkmcnt(4)
	;;#ASMSTART
	v_dot2_f32_f16 v27, v4, v19, v27
	;;#ASMEND
	;;#ASMSTART
	v_dot2_f32_f16 v27, v5, v20, v27
	;;#ASMEND
	;;#ASMSTART
	v_dot2_f32_f16 v27, v6, v21, v27
	;;#ASMEND
	;;#ASMSTART
	v_dot2_f32_f16 v27, v7, v22, v27
	;;#ASMEND
	s_waitcnt lgkmcnt(3)
	;;#ASMSTART
	v_dot2_f32_f16 v23, v4, v31, v23
	;;#ASMEND
	;;#ASMSTART
	v_dot2_f32_f16 v23, v5, v32, v23
	;;#ASMEND
	;;#ASMSTART
	v_dot2_f32_f16 v23, v6, v33, v23
	;;#ASMEND
	;;#ASMSTART
	v_dot2_f32_f16 v23, v7, v34, v23
	;;#ASMEND
	;; [unrolled: 13-line block ×3, first 2 shown]
	;;#ASMSTART
	v_dot2_f32_f16 v24, v51, v31, v24
	;;#ASMEND
	;;#ASMSTART
	v_dot2_f32_f16 v24, v52, v32, v24
	;;#ASMEND
	;; [unrolled: 3-line block ×4, first 2 shown]
	s_waitcnt lgkmcnt(1)
	;;#ASMSTART
	v_dot2_f32_f16 v29, v55, v19, v29
	;;#ASMEND
	;;#ASMSTART
	v_dot2_f32_f16 v29, v56, v20, v29
	;;#ASMEND
	;; [unrolled: 3-line block ×8, first 2 shown]
	s_waitcnt lgkmcnt(0)
	;;#ASMSTART
	v_dot2_f32_f16 v30, v59, v19, v30
	;;#ASMEND
	;;#ASMSTART
	v_dot2_f32_f16 v30, v60, v20, v30
	;;#ASMEND
	;; [unrolled: 3-line block ×8, first 2 shown]
	ds_read_b128 v[4:7], v47 offset:64
	ds_read_b128 v[19:22], v48 offset:20544
	ds_read_b128 v[31:34], v48 offset:20672
	ds_read_b128 v[51:54], v47 offset:4672
	ds_read_b128 v[55:58], v47 offset:9280
	ds_read_b128 v[59:62], v47 offset:13888
	s_waitcnt lgkmcnt(4)
	;;#ASMSTART
	v_dot2_f32_f16 v27, v4, v19, v27
	;;#ASMEND
	;;#ASMSTART
	v_dot2_f32_f16 v27, v5, v20, v27
	;;#ASMEND
	;;#ASMSTART
	v_dot2_f32_f16 v27, v6, v21, v27
	;;#ASMEND
	;;#ASMSTART
	v_dot2_f32_f16 v27, v7, v22, v27
	;;#ASMEND
	s_waitcnt lgkmcnt(3)
	;;#ASMSTART
	v_dot2_f32_f16 v23, v4, v31, v23
	;;#ASMEND
	;;#ASMSTART
	v_dot2_f32_f16 v23, v5, v32, v23
	;;#ASMEND
	;;#ASMSTART
	v_dot2_f32_f16 v23, v6, v33, v23
	;;#ASMEND
	;;#ASMSTART
	v_dot2_f32_f16 v23, v7, v34, v23
	;;#ASMEND
	s_waitcnt lgkmcnt(2)
	;;#ASMSTART
	v_dot2_f32_f16 v28, v51, v19, v28
	;;#ASMEND
	;;#ASMSTART
	v_dot2_f32_f16 v28, v52, v20, v28
	;;#ASMEND
	;;#ASMSTART
	v_dot2_f32_f16 v28, v53, v21, v28
	;;#ASMEND
	;;#ASMSTART
	v_dot2_f32_f16 v28, v54, v22, v28
	;;#ASMEND
	;;#ASMSTART
	v_dot2_f32_f16 v24, v51, v31, v24
	;;#ASMEND
	;;#ASMSTART
	v_dot2_f32_f16 v24, v52, v32, v24
	;;#ASMEND
	;; [unrolled: 3-line block ×4, first 2 shown]
	s_waitcnt lgkmcnt(1)
	;;#ASMSTART
	v_dot2_f32_f16 v29, v55, v19, v29
	;;#ASMEND
	;;#ASMSTART
	v_dot2_f32_f16 v29, v56, v20, v29
	;;#ASMEND
	;; [unrolled: 3-line block ×8, first 2 shown]
	s_waitcnt lgkmcnt(0)
	;;#ASMSTART
	v_dot2_f32_f16 v30, v59, v19, v30
	;;#ASMEND
	;;#ASMSTART
	v_dot2_f32_f16 v30, v60, v20, v30
	;;#ASMEND
	;; [unrolled: 3-line block ×8, first 2 shown]
	ds_read_b128 v[4:7], v47 offset:80
	ds_read_b128 v[19:22], v48 offset:20560
	;; [unrolled: 1-line block ×6, first 2 shown]
	s_waitcnt lgkmcnt(4)
	;;#ASMSTART
	v_dot2_f32_f16 v27, v4, v19, v27
	;;#ASMEND
	;;#ASMSTART
	v_dot2_f32_f16 v27, v5, v20, v27
	;;#ASMEND
	;;#ASMSTART
	v_dot2_f32_f16 v27, v6, v21, v27
	;;#ASMEND
	;;#ASMSTART
	v_dot2_f32_f16 v27, v7, v22, v27
	;;#ASMEND
	s_waitcnt lgkmcnt(3)
	;;#ASMSTART
	v_dot2_f32_f16 v23, v4, v31, v23
	;;#ASMEND
	;;#ASMSTART
	v_dot2_f32_f16 v23, v5, v32, v23
	;;#ASMEND
	;;#ASMSTART
	v_dot2_f32_f16 v23, v6, v33, v23
	;;#ASMEND
	;;#ASMSTART
	v_dot2_f32_f16 v23, v7, v34, v23
	;;#ASMEND
	;; [unrolled: 13-line block ×3, first 2 shown]
	;;#ASMSTART
	v_dot2_f32_f16 v24, v51, v31, v24
	;;#ASMEND
	;;#ASMSTART
	v_dot2_f32_f16 v24, v52, v32, v24
	;;#ASMEND
	;; [unrolled: 3-line block ×4, first 2 shown]
	s_waitcnt lgkmcnt(1)
	;;#ASMSTART
	v_dot2_f32_f16 v29, v55, v19, v29
	;;#ASMEND
	;;#ASMSTART
	v_dot2_f32_f16 v29, v56, v20, v29
	;;#ASMEND
	;; [unrolled: 3-line block ×8, first 2 shown]
	s_waitcnt lgkmcnt(0)
	;;#ASMSTART
	v_dot2_f32_f16 v30, v59, v19, v30
	;;#ASMEND
	;;#ASMSTART
	v_dot2_f32_f16 v30, v60, v20, v30
	;;#ASMEND
	;; [unrolled: 3-line block ×8, first 2 shown]
	ds_read_b128 v[4:7], v47 offset:96
	ds_read_b128 v[19:22], v48 offset:20576
	;; [unrolled: 1-line block ×6, first 2 shown]
	s_waitcnt lgkmcnt(4)
	;;#ASMSTART
	v_dot2_f32_f16 v27, v4, v19, v27
	;;#ASMEND
	;;#ASMSTART
	v_dot2_f32_f16 v27, v5, v20, v27
	;;#ASMEND
	;;#ASMSTART
	v_dot2_f32_f16 v27, v6, v21, v27
	;;#ASMEND
	;;#ASMSTART
	v_dot2_f32_f16 v27, v7, v22, v27
	;;#ASMEND
	s_waitcnt lgkmcnt(3)
	;;#ASMSTART
	v_dot2_f32_f16 v23, v4, v31, v23
	;;#ASMEND
	;;#ASMSTART
	v_dot2_f32_f16 v23, v5, v32, v23
	;;#ASMEND
	;;#ASMSTART
	v_dot2_f32_f16 v23, v6, v33, v23
	;;#ASMEND
	;;#ASMSTART
	v_dot2_f32_f16 v23, v7, v34, v23
	;;#ASMEND
	;; [unrolled: 13-line block ×3, first 2 shown]
	;;#ASMSTART
	v_dot2_f32_f16 v24, v51, v31, v24
	;;#ASMEND
	;;#ASMSTART
	v_dot2_f32_f16 v24, v52, v32, v24
	;;#ASMEND
	;; [unrolled: 3-line block ×4, first 2 shown]
	s_waitcnt lgkmcnt(1)
	;;#ASMSTART
	v_dot2_f32_f16 v29, v55, v19, v29
	;;#ASMEND
	;;#ASMSTART
	v_dot2_f32_f16 v29, v56, v20, v29
	;;#ASMEND
	;; [unrolled: 3-line block ×8, first 2 shown]
	s_waitcnt lgkmcnt(0)
	;;#ASMSTART
	v_dot2_f32_f16 v30, v59, v19, v30
	;;#ASMEND
	;;#ASMSTART
	v_dot2_f32_f16 v30, v60, v20, v30
	;;#ASMEND
	;; [unrolled: 3-line block ×8, first 2 shown]
	ds_read_b128 v[19:22], v47 offset:112
	ds_read_b128 v[31:34], v48 offset:20592
	;; [unrolled: 1-line block ×6, first 2 shown]
	s_waitcnt lgkmcnt(4)
	;;#ASMSTART
	v_dot2_f32_f16 v27, v19, v31, v27
	;;#ASMEND
	;;#ASMSTART
	v_dot2_f32_f16 v27, v20, v32, v27
	;;#ASMEND
	;;#ASMSTART
	v_dot2_f32_f16 v27, v21, v33, v27
	;;#ASMEND
	;;#ASMSTART
	v_dot2_f32_f16 v27, v22, v34, v27
	;;#ASMEND
	s_waitcnt lgkmcnt(3)
	;;#ASMSTART
	v_dot2_f32_f16 v23, v19, v51, v23
	;;#ASMEND
	;;#ASMSTART
	v_dot2_f32_f16 v23, v20, v52, v23
	;;#ASMEND
	;;#ASMSTART
	v_dot2_f32_f16 v23, v21, v53, v23
	;;#ASMEND
	;;#ASMSTART
	v_dot2_f32_f16 v23, v22, v54, v23
	;;#ASMEND
	;; [unrolled: 13-line block ×3, first 2 shown]
	;;#ASMSTART
	v_dot2_f32_f16 v24, v55, v51, v24
	;;#ASMEND
	;;#ASMSTART
	v_dot2_f32_f16 v24, v56, v52, v24
	;;#ASMEND
	;; [unrolled: 3-line block ×4, first 2 shown]
	s_waitcnt lgkmcnt(1)
	;;#ASMSTART
	v_dot2_f32_f16 v29, v59, v31, v29
	;;#ASMEND
	;;#ASMSTART
	v_dot2_f32_f16 v29, v60, v32, v29
	;;#ASMEND
	;; [unrolled: 3-line block ×5, first 2 shown]
	v_mad_u64_u32 v[6:7], null, v46, s22, s[18:19]
	;;#ASMSTART
	v_dot2_f32_f16 v25, v60, v52, v25
	;;#ASMEND
	;;#ASMSTART
	v_dot2_f32_f16 v25, v61, v53, v25
	;;#ASMEND
	v_mov_b32_e32 v5, v3
	;;#ASMSTART
	v_dot2_f32_f16 v25, v62, v54, v25
	;;#ASMEND
	s_waitcnt lgkmcnt(0)
	;;#ASMSTART
	v_dot2_f32_f16 v30, v63, v31, v30
	;;#ASMEND
	v_mov_b32_e32 v4, v2
	v_cndmask_b32_e64 v46, 0, 1, s16
	;;#ASMSTART
	v_dot2_f32_f16 v30, v64, v32, v30
	;;#ASMEND
	;;#ASMSTART
	v_dot2_f32_f16 v30, v65, v33, v30
	;;#ASMEND
	;; [unrolled: 3-line block ×7, first 2 shown]
	s_and_saveexec_b32 s15, s14
	s_cbranch_execz .LBB62_36
; %bb.33:
	s_andn2_b32 vcc_lo, exec_lo, s16
	s_cbranch_vccnz .LBB62_35
; %bb.34:
	v_add_nc_u32_e32 v4, v6, v0
	v_ashrrev_i32_e32 v5, 31, v4
	v_lshlrev_b64 v[4:5], 1, v[4:5]
	v_add_co_u32 v4, vcc_lo, s46, v4
	v_add_co_ci_u32_e64 v5, null, s47, v5, vcc_lo
	global_load_ushort v4, v[4:5], off
	s_waitcnt vmcnt(0)
	v_cvt_f32_f16_e32 v4, v4
	v_mul_f32_e32 v18, v42, v4
.LBB62_35:
	v_add_f32_e32 v27, v27, v18
	v_max_f32_e32 v4, v2, v2
	v_add_f32_e32 v5, 0x40051340, v27
	v_max_f32_e32 v4, v4, v5
	v_mov_b32_e32 v5, v3
.LBB62_36:
	s_or_b32 exec_lo, exec_lo, s15
	v_add_nc_u32_e32 v31, 32, v0
	v_cmp_gt_i32_e64 s15, s38, v31
	s_and_saveexec_b32 s16, s15
	s_cbranch_execz .LBB62_41
; %bb.37:
	v_cmp_ne_u32_e32 vcc_lo, 1, v46
	s_cbranch_vccnz .LBB62_39
; %bb.38:
	v_ashrrev_i32_e32 v7, 31, v6
	v_add_co_u32 v18, vcc_lo, v6, v0
	v_add_co_ci_u32_e64 v19, null, 0, v7, vcc_lo
	v_lshlrev_b64 v[18:19], 1, v[18:19]
	v_add_co_u32 v18, vcc_lo, s46, v18
	v_add_co_ci_u32_e64 v19, null, s47, v19, vcc_lo
	global_load_ushort v7, v[18:19], off offset:64
	s_waitcnt vmcnt(0)
	v_cvt_f32_f16_e32 v7, v7
	v_mul_f32_e32 v7, v42, v7
	s_branch .LBB62_40
.LBB62_39:
	v_mov_b32_e32 v7, 0
.LBB62_40:
	v_add_f32_e32 v28, v28, v7
	v_max_f32_e32 v4, v4, v4
	v_add_f32_e32 v7, 0x40051340, v28
	v_max_f32_e32 v4, v4, v7
.LBB62_41:
	s_or_b32 exec_lo, exec_lo, s16
	v_add_nc_u32_e32 v32, 64, v0
	v_cmp_gt_i32_e64 s16, s38, v32
	s_and_saveexec_b32 s17, s16
	s_cbranch_execz .LBB62_46
; %bb.42:
	v_cmp_ne_u32_e32 vcc_lo, 1, v46
	s_cbranch_vccnz .LBB62_44
; %bb.43:
	v_ashrrev_i32_e32 v7, 31, v6
	v_add_co_u32 v18, vcc_lo, v6, v0
	v_add_co_ci_u32_e64 v19, null, 0, v7, vcc_lo
	v_lshlrev_b64 v[18:19], 1, v[18:19]
	v_add_co_u32 v18, vcc_lo, s46, v18
	v_add_co_ci_u32_e64 v19, null, s47, v19, vcc_lo
	global_load_ushort v7, v[18:19], off offset:128
	s_waitcnt vmcnt(0)
	v_cvt_f32_f16_e32 v7, v7
	v_mul_f32_e32 v7, v42, v7
	s_branch .LBB62_45
.LBB62_44:
	v_mov_b32_e32 v7, 0
.LBB62_45:
	v_add_f32_e32 v29, v29, v7
	v_max_f32_e32 v4, v4, v4
	v_add_f32_e32 v7, 0x40051340, v29
	v_max_f32_e32 v4, v4, v7
.LBB62_46:
	;; [unrolled: 28-line block ×3, first 2 shown]
	s_or_b32 exec_lo, exec_lo, s23
	v_xor_b32_e32 v19, 16, v40
	v_xor_b32_e32 v18, 8, v40
	;; [unrolled: 1-line block ×5, first 2 shown]
	v_cmp_gt_i32_e32 vcc_lo, 32, v19
	v_mul_hi_u32 v52, s28, v44
	v_cndmask_b32_e32 v6, v40, v19, vcc_lo
	v_cmp_gt_i32_e32 vcc_lo, 32, v18
	v_lshlrev_b32_e32 v47, 2, v6
	v_cndmask_b32_e32 v7, v40, v18, vcc_lo
	v_cmp_gt_i32_e32 vcc_lo, 32, v20
	ds_bpermute_b32 v6, v47, v4
	v_max_f32_e32 v4, v4, v4
	v_lshlrev_b32_e32 v51, 2, v7
	v_cndmask_b32_e32 v7, v40, v20, vcc_lo
	v_cmp_gt_i32_e32 vcc_lo, 32, v21
	v_lshlrev_b32_e32 v48, 2, v7
	v_cndmask_b32_e32 v7, v40, v21, vcc_lo
	v_cmp_gt_i32_e32 vcc_lo, 32, v22
	v_lshlrev_b32_e32 v35, 2, v7
	v_cndmask_b32_e32 v7, v40, v22, vcc_lo
	v_lshlrev_b32_e32 v34, 2, v7
	s_waitcnt lgkmcnt(0)
	v_max_f32_e32 v6, v6, v6
	v_max_f32_e32 v4, v4, v6
	ds_bpermute_b32 v6, v51, v4
	s_waitcnt lgkmcnt(0)
	v_max_f32_e32 v6, v6, v6
	v_max_f32_e32 v4, v4, v6
	ds_bpermute_b32 v6, v48, v4
	;; [unrolled: 4-line block ×3, first 2 shown]
	s_waitcnt lgkmcnt(0)
	v_max_f32_e32 v6, v6, v6
	v_max_f32_e32 v4, v4, v6
	v_add_nc_u32_e32 v6, v44, v52
	ds_bpermute_b32 v7, v34, v4
	v_lshrrev_b32_e32 v6, s29, v6
	v_mul_lo_u32 v6, v6, s30
	v_sub_nc_u32_e32 v6, v44, v6
	s_waitcnt lgkmcnt(0)
	v_max_f32_e32 v44, v7, v7
	v_mad_u64_u32 v[6:7], null, v6, s22, s[18:19]
	v_mov_b32_e32 v7, 32
	v_max_f32_e32 v4, v4, v44
	s_and_saveexec_b32 s22, s14
	s_cbranch_execnz .LBB62_55
; %bb.52:
	s_or_b32 exec_lo, exec_lo, s22
	s_and_saveexec_b32 s14, s15
	s_cbranch_execnz .LBB62_59
.LBB62_53:
	s_or_b32 exec_lo, exec_lo, s14
	s_and_saveexec_b32 s14, s16
	s_cbranch_execnz .LBB62_63
.LBB62_54:
	s_or_b32 exec_lo, exec_lo, s14
	s_and_saveexec_b32 s14, s17
	s_cbranch_execnz .LBB62_67
	s_branch .LBB62_71
.LBB62_55:
	v_cmp_ne_u32_e32 vcc_lo, 1, v46
	s_cbranch_vccnz .LBB62_57
; %bb.56:
	v_add_nc_u32_e32 v52, v6, v0
	v_ashrrev_i32_e32 v53, 31, v52
	v_lshlrev_b64 v[52:53], 1, v[52:53]
	v_add_co_u32 v52, vcc_lo, s46, v52
	v_add_co_ci_u32_e64 v53, null, s47, v53, vcc_lo
	global_load_ushort v44, v[52:53], off
	s_waitcnt vmcnt(0)
	v_cvt_f32_f16_e32 v44, v44
	v_mul_f32_e32 v44, v42, v44
	s_branch .LBB62_58
.LBB62_57:
	v_mov_b32_e32 v44, 0
.LBB62_58:
	v_add_f32_e32 v23, v23, v44
	v_max_f32_e32 v5, v5, v5
	v_add_f32_e32 v44, 0x40051340, v23
	v_max_f32_e32 v5, v5, v44
	s_or_b32 exec_lo, exec_lo, s22
	s_and_saveexec_b32 s14, s15
	s_cbranch_execz .LBB62_53
.LBB62_59:
	v_cmp_ne_u32_e32 vcc_lo, 1, v46
	s_cbranch_vccnz .LBB62_61
; %bb.60:
	v_ashrrev_i32_e32 v44, 31, v6
	v_add_co_u32 v52, vcc_lo, v6, v0
	v_add_co_ci_u32_e64 v53, null, 0, v44, vcc_lo
	v_lshlrev_b64 v[52:53], 1, v[52:53]
	v_add_co_u32 v52, vcc_lo, s46, v52
	v_add_co_ci_u32_e64 v53, null, s47, v53, vcc_lo
	global_load_ushort v44, v[52:53], off offset:64
	s_waitcnt vmcnt(0)
	v_cvt_f32_f16_e32 v44, v44
	v_mul_f32_e32 v44, v42, v44
	s_branch .LBB62_62
.LBB62_61:
	v_mov_b32_e32 v44, 0
.LBB62_62:
	v_add_f32_e32 v24, v24, v44
	v_max_f32_e32 v5, v5, v5
	v_add_f32_e32 v44, 0x40051340, v24
	v_max_f32_e32 v5, v5, v44
	s_or_b32 exec_lo, exec_lo, s14
	s_and_saveexec_b32 s14, s16
	s_cbranch_execz .LBB62_54
.LBB62_63:
	v_cmp_ne_u32_e32 vcc_lo, 1, v46
	s_cbranch_vccnz .LBB62_65
; %bb.64:
	v_ashrrev_i32_e32 v44, 31, v6
	v_add_co_u32 v52, vcc_lo, v6, v0
	v_add_co_ci_u32_e64 v53, null, 0, v44, vcc_lo
	v_lshlrev_b64 v[52:53], 1, v[52:53]
	v_add_co_u32 v52, vcc_lo, s46, v52
	v_add_co_ci_u32_e64 v53, null, s47, v53, vcc_lo
	global_load_ushort v44, v[52:53], off offset:128
	s_waitcnt vmcnt(0)
	v_cvt_f32_f16_e32 v44, v44
	v_mul_f32_e32 v44, v42, v44
	s_branch .LBB62_66
.LBB62_65:
	v_mov_b32_e32 v44, 0
.LBB62_66:
	v_add_f32_e32 v25, v25, v44
	v_max_f32_e32 v5, v5, v5
	v_add_f32_e32 v44, 0x40051340, v25
	v_max_f32_e32 v5, v5, v44
	s_or_b32 exec_lo, exec_lo, s14
	s_and_saveexec_b32 s14, s17
	s_cbranch_execz .LBB62_71
.LBB62_67:
	v_cmp_ne_u32_e32 vcc_lo, 1, v46
	s_cbranch_vccnz .LBB62_69
; %bb.68:
	v_ashrrev_i32_e32 v44, 31, v6
	v_add_co_u32 v52, vcc_lo, v6, v0
	v_add_co_ci_u32_e64 v53, null, 0, v44, vcc_lo
	v_lshlrev_b64 v[52:53], 1, v[52:53]
	v_add_co_u32 v52, vcc_lo, s46, v52
	v_add_co_ci_u32_e64 v53, null, s47, v53, vcc_lo
	global_load_ushort v6, v[52:53], off offset:192
	s_waitcnt vmcnt(0)
	v_cvt_f32_f16_e32 v6, v6
	v_mul_f32_e32 v6, v42, v6
	s_branch .LBB62_70
.LBB62_69:
	v_mov_b32_e32 v6, 0
.LBB62_70:
	v_add_f32_e32 v26, v26, v6
	v_max_f32_e32 v5, v5, v5
	v_add_f32_e32 v6, 0x40051340, v26
	v_max_f32_e32 v5, v5, v6
.LBB62_71:
	s_or_b32 exec_lo, exec_lo, s14
	ds_bpermute_b32 v6, v47, v5
	v_max_f32_e32 v5, v5, v5
	v_sub_f32_e32 v27, v27, v4
	v_sub_f32_e32 v28, v28, v4
	v_mul_lo_u32 v46, s35, v9
	v_sub_f32_e32 v29, v29, v4
	v_sub_f32_e32 v42, v30, v4
	v_mul_f32_e32 v44, 0x3fb8aa3b, v27
	s_mul_hi_i32 s15, s18, s35
	s_mul_i32 s14, s18, s35
	s_mov_b64 s[22:23], src_private_base
	v_mul_f32_e32 v52, 0x3fb8aa3b, v42
	v_fma_f32 v54, 0x3fb8aa3b, v27, -v44
	v_rndne_f32_e32 v56, v44
	v_ashrrev_i32_e32 v47, 31, v46
	s_lshl_b64 s[14:15], s[14:15], 2
	v_fma_f32 v61, 0x3fb8aa3b, v42, -v52
	v_fmac_f32_e32 v54, 0x32a5705f, v27
	v_sub_f32_e32 v44, v44, v56
	v_rndne_f32_e32 v62, v52
	s_waitcnt lgkmcnt(0)
	v_max_f32_e32 v6, v6, v6
	s_add_u32 s18, s37, s14
	s_addc_u32 s22, s36, s15
	v_add_f32_e32 v44, v44, v54
	v_fmac_f32_e32 v61, 0x32a5705f, v42
	v_max_f32_e32 v5, v5, v6
	v_sub_f32_e32 v52, v52, v62
	v_cvt_i32_f32_e32 v54, v62
	v_exp_f32_e32 v44, v44
	v_lshlrev_b32_e32 v1, 9, v1
	ds_bpermute_b32 v6, v51, v5
	v_mul_f32_e32 v51, 0x3fb8aa3b, v29
	v_add_f32_e32 v52, v52, v61
	v_cmp_gt_u32_e64 s14, s38, v31
	v_add_nc_u32_e32 v53, 0x4800, v1
	v_cmp_gt_u32_e64 s15, s38, v32
	v_fma_f32 v59, 0x3fb8aa3b, v29, -v51
	v_rndne_f32_e32 v60, v51
	v_exp_f32_e32 v52, v52
	v_lshl_add_u32 v64, v31, 2, v53
	v_lshl_add_u32 v65, v32, 2, v53
	v_fmac_f32_e32 v59, 0x32a5705f, v29
	v_sub_f32_e32 v51, v51, v60
	v_or_b32_e32 v63, v53, v41
	v_lshl_add_u32 v53, v33, 2, v53
	v_cmp_gt_u32_e64 s16, s38, v33
	v_mov_b32_e32 v30, 0
	v_add_f32_e32 v51, v51, v59
	s_waitcnt lgkmcnt(0)
	s_barrier
	v_max_f32_e32 v6, v6, v6
	buffer_gl0_inv
	v_exp_f32_e32 v51, v51
	buffer_store_dword v30, off, s[0:3], 0
	buffer_store_dword v30, off, s[0:3], 0 offset:4
	buffer_store_dword v30, off, s[0:3], 0 offset:8
	buffer_store_dword v30, off, s[0:3], 0 offset:12
	v_max_f32_e32 v5, v5, v6
	v_lshl_or_b32 v9, v9, 7, v8
	v_lshl_or_b32 v12, v12, 7, v8
	;; [unrolled: 1-line block ×3, first 2 shown]
	v_sub_f32_e32 v2, v2, v4
	ds_bpermute_b32 v6, v48, v5
	v_mul_f32_e32 v48, 0x3fb8aa3b, v28
	v_fma_f32 v57, 0x3fb8aa3b, v28, -v48
	v_rndne_f32_e32 v58, v48
	v_fmac_f32_e32 v57, 0x32a5705f, v28
	v_sub_f32_e32 v48, v48, v58
	v_add_f32_e32 v48, v48, v57
	s_waitcnt lgkmcnt(0)
	v_max_f32_e32 v6, v6, v6
	v_exp_f32_e32 v48, v48
	v_max_f32_e32 v55, v5, v6
	v_lshlrev_b64 v[5:6], 2, v[46:47]
	v_cvt_i32_f32_e32 v47, v56
	v_cvt_i32_f32_e32 v56, v58
	;; [unrolled: 1-line block ×3, first 2 shown]
	ds_bpermute_b32 v35, v35, v55
	v_add_co_u32 v5, vcc_lo, s18, v5
	v_add_co_ci_u32_e64 v6, null, s22, v6, vcc_lo
	s_waitcnt lgkmcnt(0)
	v_max_f32_e32 v35, v35, v35
	v_max_f32_e32 v35, v55, v35
	v_add_co_u32 v55, vcc_lo, v5, v8
	v_add_co_ci_u32_e64 v57, null, 0, v6, vcc_lo
	ds_bpermute_b32 v34, v34, v35
	v_ldexp_f32 v5, v44, v47
	v_cmp_ngt_f32_e32 vcc_lo, 0xc2ce8ed0, v27
	v_ldexp_f32 v6, v48, v56
	v_ldexp_f32 v44, v51, v58
	v_ldexp_f32 v47, v52, v54
	v_cndmask_b32_e32 v5, 0, v5, vcc_lo
	v_cmp_ngt_f32_e32 vcc_lo, 0xc2ce8ed0, v28
	v_cndmask_b32_e32 v6, 0, v6, vcc_lo
	v_cmp_ngt_f32_e32 vcc_lo, 0xc2ce8ed0, v29
	;; [unrolled: 2-line block ×3, first 2 shown]
	s_waitcnt lgkmcnt(0)
	v_max_f32_e32 v34, v34, v34
	v_cndmask_b32_e32 v47, 0, v47, vcc_lo
	v_cmp_nlt_f32_e32 vcc_lo, 0x42b17218, v27
	v_cndmask_b32_e32 v27, 0x7f800000, v5, vcc_lo
	v_cmp_nlt_f32_e32 vcc_lo, 0x42b17218, v28
	v_max_f32_e32 v5, v35, v34
	v_cndmask_b32_e32 v6, 0x7f800000, v6, vcc_lo
	v_cmp_nlt_f32_e32 vcc_lo, 0x42b17218, v29
	v_sub_f32_e32 v23, v23, v5
	v_sub_f32_e32 v24, v24, v5
	;; [unrolled: 1-line block ×4, first 2 shown]
	v_cndmask_b32_e32 v29, 0x7f800000, v44, vcc_lo
	v_cmp_nlt_f32_e32 vcc_lo, 0x42b17218, v42
	v_mul_f32_e32 v26, 0x3fb8aa3b, v23
	v_cndmask_b32_e64 v28, 0, v6, s14
	v_mul_f32_e32 v6, 0x3fb8aa3b, v24
	v_mul_f32_e32 v42, 0x3fb8aa3b, v35
	v_cndmask_b32_e32 v34, 0x7f800000, v47, vcc_lo
	v_fma_f32 v44, 0x3fb8aa3b, v23, -v26
	v_rndne_f32_e32 v47, v26
	v_mul_f32_e32 v31, 0x3fb8aa3b, v25
	v_fma_f32 v48, 0x3fb8aa3b, v24, -v6
	v_rndne_f32_e32 v51, v6
	v_fma_f32 v56, 0x3fb8aa3b, v35, -v42
	v_rndne_f32_e32 v58, v42
	v_fmac_f32_e32 v44, 0x32a5705f, v23
	v_sub_f32_e32 v26, v26, v47
	v_fma_f32 v52, 0x3fb8aa3b, v25, -v31
	v_rndne_f32_e32 v54, v31
	v_fmac_f32_e32 v48, 0x32a5705f, v24
	v_sub_f32_e32 v6, v6, v51
	v_fmac_f32_e32 v56, 0x32a5705f, v35
	v_sub_f32_e32 v42, v42, v58
	v_add_f32_e32 v32, v26, v44
	v_fmac_f32_e32 v52, 0x32a5705f, v25
	v_sub_f32_e32 v31, v31, v54
	v_add_f32_e32 v6, v6, v48
	v_add_f32_e32 v42, v42, v56
	v_exp_f32_e32 v32, v32
	v_cvt_i32_f32_e32 v44, v51
	v_add_f32_e32 v31, v31, v52
	v_exp_f32_e32 v6, v6
	v_exp_f32_e32 v33, v42
	v_cvt_i32_f32_e32 v42, v47
	v_cmp_ngt_f32_e64 s17, 0xc2ce8ed0, v23
	v_exp_f32_e32 v31, v31
	v_cvt_i32_f32_e32 v47, v54
	v_cvt_i32_f32_e32 v48, v58
	v_ldexp_f32 v32, v32, v42
	v_cmp_gt_u32_e32 vcc_lo, s38, v0
	v_cndmask_b32_e64 v26, 0, v34, s16
	v_ldexp_f32 v6, v6, v44
	v_ldexp_f32 v33, v33, v48
	v_cndmask_b32_e64 v32, 0, v32, s17
	v_cmp_ngt_f32_e64 s17, 0xc2ce8ed0, v24
	v_ldexp_f32 v31, v31, v47
	v_cndmask_b32_e32 v27, 0, v27, vcc_lo
	v_cndmask_b32_e64 v29, 0, v29, s15
	v_cvt_f16_f32_e32 v51, v28
	v_cndmask_b32_e64 v6, 0, v6, s17
	v_cmp_ngt_f32_e64 s17, 0xc2ce8ed0, v25
	v_cvt_f16_f32_e32 v34, v27
	v_sub_f32_e32 v3, v3, v5
	v_cndmask_b32_e64 v31, 0, v31, s17
	v_cmp_ngt_f32_e64 s17, 0xc2ce8ed0, v35
	v_cndmask_b32_e64 v33, 0, v33, s17
	v_cmp_nlt_f32_e64 s17, 0x42b17218, v23
	v_cndmask_b32_e64 v23, 0x7f800000, v32, s17
	v_cmp_nlt_f32_e64 s17, 0x42b17218, v24
	v_cndmask_b32_e32 v24, 0, v23, vcc_lo
	v_cndmask_b32_e64 v6, 0x7f800000, v6, s17
	v_cmp_nlt_f32_e64 s17, 0x42b17218, v25
	v_cndmask_b32_e64 v25, 0, v6, s14
	v_cndmask_b32_e64 v31, 0x7f800000, v31, s17
	v_cmp_nlt_f32_e64 s17, 0x42b17218, v35
	v_cvt_f16_f32_e32 v35, v24
	v_cvt_f16_f32_e32 v42, v25
	v_cndmask_b32_e64 v23, 0, v31, s15
	v_cndmask_b32_e64 v32, 0x7f800000, v33, s17
	v_cvt_f16_f32_e32 v31, v26
	v_cvt_f16_f32_e32 v33, v29
	v_pack_b32_f16 v34, v34, v35
	v_cvt_f16_f32_e32 v44, v23
	v_cndmask_b32_e64 v6, 0, v32, s16
	v_cndmask_b32_e64 v32, s23, v57, s6
	v_pack_b32_f16 v35, v51, v42
	v_pack_b32_f16 v33, v33, v44
	v_cvt_f16_f32_e32 v47, v6
	v_pack_b32_f16 v42, v31, v47
	v_cndmask_b32_e64 v31, 0, v55, s6
	ds_write_b32 v63, v34
	ds_write_b32 v64, v35
	;; [unrolled: 1-line block ×4, first 2 shown]
	s_lshl_b32 s6, s35, 4
	v_add_nc_u32_e32 v46, s6, v46
	flat_load_dwordx4 v[31:34], v[31:32]
	buffer_store_dword v30, off, s[0:3], 0
	buffer_store_dword v30, off, s[0:3], 0 offset:4
	buffer_store_dword v30, off, s[0:3], 0 offset:8
	;; [unrolled: 1-line block ×3, first 2 shown]
	v_ashrrev_i32_e32 v47, 31, v46
	v_lshlrev_b64 v[47:48], 2, v[46:47]
	v_add_nc_u32_e32 v46, s6, v46
	v_add_co_u32 v35, vcc_lo, s18, v47
	v_add_co_ci_u32_e64 v42, null, s22, v48, vcc_lo
	v_add_co_u32 v35, vcc_lo, v35, v8
	v_add_co_ci_u32_e64 v42, null, 0, v42, vcc_lo
	v_cndmask_b32_e64 v47, 0, v35, s7
	v_cndmask_b32_e64 v48, s23, v42, s7
	s_waitcnt vmcnt(0) lgkmcnt(0)
	ds_write_b128 v9, v[31:34]
	flat_load_dwordx4 v[31:34], v[47:48]
	v_ashrrev_i32_e32 v47, 31, v46
	buffer_store_dword v30, off, s[0:3], 0
	buffer_store_dword v30, off, s[0:3], 0 offset:4
	buffer_store_dword v30, off, s[0:3], 0 offset:8
	;; [unrolled: 1-line block ×3, first 2 shown]
	v_lshlrev_b64 v[47:48], 2, v[46:47]
	v_add_nc_u32_e32 v46, s6, v46
	v_add_co_u32 v9, vcc_lo, s18, v47
	v_add_co_ci_u32_e64 v35, null, s22, v48, vcc_lo
	v_add_co_u32 v9, vcc_lo, v9, v8
	v_add_co_ci_u32_e64 v35, null, 0, v35, vcc_lo
	v_cndmask_b32_e64 v47, 0, v9, s8
	v_cndmask_b32_e64 v48, s23, v35, s8
	v_lshl_or_b32 v35, v13, 7, v8
	s_waitcnt vmcnt(0) lgkmcnt(0)
	ds_write_b128 v12, v[31:34]
	flat_load_dwordx4 v[31:34], v[47:48]
	v_ashrrev_i32_e32 v47, 31, v46
	buffer_store_dword v30, off, s[0:3], 0
	buffer_store_dword v30, off, s[0:3], 0 offset:4
	buffer_store_dword v30, off, s[0:3], 0 offset:8
	;; [unrolled: 1-line block ×3, first 2 shown]
	v_lshlrev_b64 v[47:48], 2, v[46:47]
	v_add_co_u32 v9, vcc_lo, s18, v47
	v_add_co_ci_u32_e64 v12, null, s22, v48, vcc_lo
	v_add_co_u32 v9, vcc_lo, v9, v8
	v_add_co_ci_u32_e64 v12, null, 0, v12, vcc_lo
	v_cndmask_b32_e64 v13, s23, v12, s9
	v_cndmask_b32_e64 v12, 0, v9, s9
	s_waitcnt vmcnt(0) lgkmcnt(0)
	ds_write_b128 v35, v[31:34]
	flat_load_dwordx4 v[31:34], v[12:13]
	v_add_nc_u32_e32 v12, s6, v46
	v_lshl_or_b32 v35, v14, 7, v8
	buffer_store_dword v30, off, s[0:3], 0
	buffer_store_dword v30, off, s[0:3], 0 offset:4
	buffer_store_dword v30, off, s[0:3], 0 offset:8
	;; [unrolled: 1-line block ×3, first 2 shown]
	v_ashrrev_i32_e32 v13, 31, v12
	v_lshlrev_b64 v[46:47], 2, v[12:13]
	v_add_co_u32 v9, vcc_lo, s18, v46
	v_add_co_ci_u32_e64 v13, null, s22, v47, vcc_lo
	v_add_nc_u32_e32 v46, s6, v12
	v_add_co_u32 v9, vcc_lo, v9, v8
	v_add_co_ci_u32_e64 v13, null, 0, v13, vcc_lo
	v_ashrrev_i32_e32 v47, 31, v46
	v_cndmask_b32_e64 v14, s23, v13, s10
	v_cndmask_b32_e64 v13, 0, v9, s10
	s_waitcnt vmcnt(0) lgkmcnt(0)
	ds_write_b128 v35, v[31:34]
	flat_load_dwordx4 v[31:34], v[13:14]
	v_lshlrev_b64 v[12:13], 2, v[46:47]
	v_lshl_or_b32 v14, v15, 7, v8
	buffer_store_dword v30, off, s[0:3], 0
	buffer_store_dword v30, off, s[0:3], 0 offset:4
	buffer_store_dword v30, off, s[0:3], 0 offset:8
	;; [unrolled: 1-line block ×3, first 2 shown]
	v_add_co_u32 v9, vcc_lo, s18, v12
	v_add_co_ci_u32_e64 v12, null, s22, v13, vcc_lo
	v_add_co_u32 v9, vcc_lo, v9, v8
	v_add_co_ci_u32_e64 v12, null, 0, v12, vcc_lo
	v_cndmask_b32_e64 v13, s23, v12, s11
	v_cndmask_b32_e64 v12, 0, v9, s11
	s_waitcnt vmcnt(0) lgkmcnt(0)
	ds_write_b128 v14, v[31:34]
	flat_load_dwordx4 v[12:15], v[12:13]
	v_add_nc_u32_e32 v31, s6, v46
	buffer_store_dword v30, off, s[0:3], 0
	buffer_store_dword v30, off, s[0:3], 0 offset:4
	buffer_store_dword v30, off, s[0:3], 0 offset:8
	;; [unrolled: 1-line block ×3, first 2 shown]
	v_ashrrev_i32_e32 v32, 31, v31
	v_lshlrev_b64 v[32:33], 2, v[31:32]
	v_add_nc_u32_e32 v31, s6, v31
	v_add_co_u32 v9, vcc_lo, s18, v32
	v_add_co_ci_u32_e64 v32, null, s22, v33, vcc_lo
	v_add_co_u32 v9, vcc_lo, v9, v8
	v_add_co_ci_u32_e64 v32, null, 0, v32, vcc_lo
	v_cndmask_b32_e64 v33, s23, v32, s12
	v_cndmask_b32_e64 v32, 0, v9, s12
	s_waitcnt vmcnt(0) lgkmcnt(0)
	ds_write_b128 v16, v[12:15]
	flat_load_dwordx4 v[12:15], v[32:33]
	v_ashrrev_i32_e32 v32, 31, v31
	buffer_store_dword v30, off, s[0:3], 0
	buffer_store_dword v30, off, s[0:3], 0 offset:4
	buffer_store_dword v30, off, s[0:3], 0 offset:8
	buffer_store_dword v30, off, s[0:3], 0 offset:12
	v_mul_f32_e32 v30, 0x3fb8aa3b, v3
	v_lshlrev_b64 v[31:32], 2, v[31:32]
	v_add_co_u32 v9, vcc_lo, s18, v31
	v_add_co_ci_u32_e64 v16, null, s22, v32, vcc_lo
	v_lshl_or_b32 v31, v17, 7, v8
	v_add_co_u32 v9, vcc_lo, v9, v8
	v_add_co_ci_u32_e64 v16, null, 0, v16, vcc_lo
	v_rndne_f32_e32 v32, v30
	v_lshl_or_b32 v8, v11, 7, v8
	v_cmp_ngt_f32_e32 vcc_lo, 0xc2ce8ed0, v2
	v_cndmask_b32_e64 v17, s23, v16, s13
	v_cndmask_b32_e64 v16, 0, v9, s13
	v_mul_f32_e32 v9, 0x3fb8aa3b, v2
	s_waitcnt vmcnt(0) lgkmcnt(0)
	ds_write_b128 v31, v[12:15]
	flat_load_dwordx4 v[12:15], v[16:17]
	v_fma_f32 v16, 0x3fb8aa3b, v2, -v9
	v_rndne_f32_e32 v17, v9
	v_fma_f32 v31, 0x3fb8aa3b, v3, -v30
	v_fmac_f32_e32 v16, 0x32a5705f, v2
	v_sub_f32_e32 v9, v9, v17
	v_fmac_f32_e32 v31, 0x32a5705f, v3
	v_cvt_i32_f32_e32 v17, v17
	v_add_f32_e32 v9, v9, v16
	v_sub_f32_e32 v16, v30, v32
	v_exp_f32_e32 v9, v9
	v_add_f32_e32 v16, v16, v31
	v_exp_f32_e32 v16, v16
	v_ldexp_f32 v9, v9, v17
	v_cvt_i32_f32_e32 v17, v32
	v_cndmask_b32_e32 v9, 0, v9, vcc_lo
	v_cmp_ngt_f32_e32 vcc_lo, 0xc2ce8ed0, v3
	s_waitcnt vmcnt(0) lgkmcnt(0)
	ds_write_b128 v8, v[12:15]
	s_waitcnt lgkmcnt(0)
	s_waitcnt_vscnt null, 0x0
	s_barrier
	buffer_gl0_inv
	ds_read_b128 v[11:14], v1 offset:18432
	v_ldexp_f32 v8, v16, v17
	ds_read2_b32 v[15:16], v41 offset1:32
	ds_read2_b32 v[34:35], v41 offset0:64 offset1:96
	ds_read_b128 v[30:33], v1 offset:18448
	ds_read2_b32 v[46:47], v41 offset0:128 offset1:160
	v_cndmask_b32_e32 v17, 0, v8, vcc_lo
	v_cmp_nlt_f32_e32 vcc_lo, 0x42b17218, v2
	v_mov_b32_e32 v2, 0x10001
	v_cndmask_b32_e32 v8, 0x7f800000, v9, vcc_lo
	v_cmp_nlt_f32_e32 vcc_lo, 0x42b17218, v3
	v_cvt_f16_f32_e32 v9, v8
	v_cndmask_b32_e32 v3, 0x7f800000, v17, vcc_lo
	s_waitcnt lgkmcnt(4)
	v_mul_u32_u24_sdwa v42, v11, v2 dst_sel:DWORD dst_unused:UNUSED_PAD src0_sel:WORD_0 src1_sel:DWORD
	v_mul_u32_u24_sdwa v11, v11, v2 dst_sel:DWORD dst_unused:UNUSED_PAD src0_sel:WORD_1 src1_sel:DWORD
	v_mul_u32_u24_sdwa v9, v9, v2 dst_sel:DWORD dst_unused:UNUSED_PAD src0_sel:WORD_0 src1_sel:DWORD
	v_cvt_f16_f32_e32 v17, v3
	v_mul_u32_u24_sdwa v44, v14, v2 dst_sel:DWORD dst_unused:UNUSED_PAD src0_sel:WORD_1 src1_sel:DWORD
	s_waitcnt lgkmcnt(3)
	v_pk_mul_f16 v42, v15, v42
	v_pk_mul_f16 v11, v15, v11
	v_mul_u32_u24_sdwa v15, v12, v2 dst_sel:DWORD dst_unused:UNUSED_PAD src0_sel:WORD_0 src1_sel:DWORD
	v_mul_u32_u24_sdwa v17, v17, v2 dst_sel:DWORD dst_unused:UNUSED_PAD src0_sel:WORD_0 src1_sel:DWORD
	v_mul_u32_u24_sdwa v12, v12, v2 dst_sel:DWORD dst_unused:UNUSED_PAD src0_sel:WORD_1 src1_sel:DWORD
	v_pk_fma_f16 v9, v45, v9, v42
	v_mul_u32_u24_sdwa v42, v13, v2 dst_sel:DWORD dst_unused:UNUSED_PAD src0_sel:WORD_0 src1_sel:DWORD
	v_mul_u32_u24_sdwa v13, v13, v2 dst_sel:DWORD dst_unused:UNUSED_PAD src0_sel:WORD_1 src1_sel:DWORD
	v_pk_fma_f16 v11, v43, v17, v11
	v_mul_u32_u24_sdwa v43, v14, v2 dst_sel:DWORD dst_unused:UNUSED_PAD src0_sel:WORD_0 src1_sel:DWORD
	v_pk_fma_f16 v9, v16, v15, v9
	v_add_nc_u32_e32 v17, 0x400, v41
	s_waitcnt lgkmcnt(1)
	v_mul_u32_u24_sdwa v45, v32, v2 dst_sel:DWORD dst_unused:UNUSED_PAD src0_sel:WORD_0 src1_sel:DWORD
	v_pk_fma_f16 v11, v16, v12, v11
	ds_read2_b32 v[15:16], v41 offset0:192 offset1:224
	v_pk_fma_f16 v9, v34, v42, v9
	v_mul_u32_u24_sdwa v42, v30, v2 dst_sel:DWORD dst_unused:UNUSED_PAD src0_sel:WORD_0 src1_sel:DWORD
	v_mul_u32_u24_sdwa v30, v30, v2 dst_sel:DWORD dst_unused:UNUSED_PAD src0_sel:WORD_1 src1_sel:DWORD
	v_pk_fma_f16 v34, v34, v13, v11
	ds_read_b128 v[11:14], v1 offset:18464
	v_pk_fma_f16 v9, v35, v43, v9
	v_mul_u32_u24_sdwa v32, v32, v2 dst_sel:DWORD dst_unused:UNUSED_PAD src0_sel:WORD_1 src1_sel:DWORD
	v_pk_fma_f16 v43, v35, v44, v34
	ds_read2_b32 v[34:35], v17 offset1:32
	v_mul_u32_u24_sdwa v44, v31, v2 dst_sel:DWORD dst_unused:UNUSED_PAD src0_sel:WORD_0 src1_sel:DWORD
	v_mul_u32_u24_sdwa v31, v31, v2 dst_sel:DWORD dst_unused:UNUSED_PAD src0_sel:WORD_1 src1_sel:DWORD
	s_waitcnt lgkmcnt(3)
	v_pk_fma_f16 v9, v46, v42, v9
	v_pk_fma_f16 v30, v46, v30, v43
	ds_read2_b32 v[42:43], v17 offset0:64 offset1:96
	v_mul_u32_u24_sdwa v46, v33, v2 dst_sel:DWORD dst_unused:UNUSED_PAD src0_sel:WORD_1 src1_sel:DWORD
	v_pk_fma_f16 v9, v47, v44, v9
	v_pk_fma_f16 v30, v47, v31, v30
	v_mul_u32_u24_sdwa v44, v33, v2 dst_sel:DWORD dst_unused:UNUSED_PAD src0_sel:WORD_0 src1_sel:DWORD
	s_waitcnt lgkmcnt(3)
	v_pk_fma_f16 v9, v15, v45, v9
	v_pk_fma_f16 v15, v15, v32, v30
	ds_read_b128 v[30:33], v1 offset:18480
	s_waitcnt lgkmcnt(3)
	v_mul_u32_u24_sdwa v45, v11, v2 dst_sel:DWORD dst_unused:UNUSED_PAD src0_sel:WORD_0 src1_sel:DWORD
	v_mul_u32_u24_sdwa v11, v11, v2 dst_sel:DWORD dst_unused:UNUSED_PAD src0_sel:WORD_1 src1_sel:DWORD
	v_pk_fma_f16 v9, v16, v44, v9
	v_pk_fma_f16 v44, v16, v46, v15
	ds_read2_b32 v[15:16], v17 offset0:128 offset1:160
	v_mul_u32_u24_sdwa v46, v12, v2 dst_sel:DWORD dst_unused:UNUSED_PAD src0_sel:WORD_0 src1_sel:DWORD
	v_mul_u32_u24_sdwa v12, v12, v2 dst_sel:DWORD dst_unused:UNUSED_PAD src0_sel:WORD_1 src1_sel:DWORD
	s_waitcnt lgkmcnt(3)
	v_pk_fma_f16 v9, v34, v45, v9
	v_pk_fma_f16 v11, v34, v11, v44
	v_mul_u32_u24_sdwa v45, v13, v2 dst_sel:DWORD dst_unused:UNUSED_PAD src0_sel:WORD_0 src1_sel:DWORD
	v_mul_u32_u24_sdwa v13, v13, v2 dst_sel:DWORD dst_unused:UNUSED_PAD src0_sel:WORD_1 src1_sel:DWORD
	v_add_nc_u32_e32 v44, 0x800, v41
	v_pk_fma_f16 v9, v35, v46, v9
	v_pk_fma_f16 v11, v35, v12, v11
	ds_read2_b32 v[34:35], v17 offset0:192 offset1:224
	v_mul_u32_u24_sdwa v17, v14, v2 dst_sel:DWORD dst_unused:UNUSED_PAD src0_sel:WORD_0 src1_sel:DWORD
	v_mul_u32_u24_sdwa v46, v14, v2 dst_sel:DWORD dst_unused:UNUSED_PAD src0_sel:WORD_1 src1_sel:DWORD
	s_waitcnt lgkmcnt(3)
	v_pk_fma_f16 v9, v42, v45, v9
	v_pk_fma_f16 v42, v42, v13, v11
	ds_read_b128 v[11:14], v1 offset:18496
	s_waitcnt lgkmcnt(3)
	v_mul_u32_u24_sdwa v45, v30, v2 dst_sel:DWORD dst_unused:UNUSED_PAD src0_sel:WORD_0 src1_sel:DWORD
	v_mul_u32_u24_sdwa v30, v30, v2 dst_sel:DWORD dst_unused:UNUSED_PAD src0_sel:WORD_1 src1_sel:DWORD
	v_pk_fma_f16 v9, v43, v17, v9
	v_pk_fma_f16 v17, v43, v46, v42
	ds_read2_b32 v[42:43], v44 offset1:32
	v_mul_u32_u24_sdwa v46, v31, v2 dst_sel:DWORD dst_unused:UNUSED_PAD src0_sel:WORD_0 src1_sel:DWORD
	v_mul_u32_u24_sdwa v31, v31, v2 dst_sel:DWORD dst_unused:UNUSED_PAD src0_sel:WORD_1 src1_sel:DWORD
	s_waitcnt lgkmcnt(3)
	v_pk_fma_f16 v9, v15, v45, v9
	v_pk_fma_f16 v15, v15, v30, v17
	v_mul_u32_u24_sdwa v17, v32, v2 dst_sel:DWORD dst_unused:UNUSED_PAD src0_sel:WORD_0 src1_sel:DWORD
	v_mul_u32_u24_sdwa v30, v32, v2 dst_sel:DWORD dst_unused:UNUSED_PAD src0_sel:WORD_1 src1_sel:DWORD
	v_mul_u32_u24_sdwa v45, v33, v2 dst_sel:DWORD dst_unused:UNUSED_PAD src0_sel:WORD_0 src1_sel:DWORD
	v_pk_fma_f16 v9, v16, v46, v9
	v_pk_fma_f16 v31, v16, v31, v15
	ds_read2_b32 v[15:16], v44 offset0:64 offset1:96
	v_mul_u32_u24_sdwa v46, v33, v2 dst_sel:DWORD dst_unused:UNUSED_PAD src0_sel:WORD_1 src1_sel:DWORD
	s_waitcnt lgkmcnt(3)
	v_pk_fma_f16 v9, v34, v17, v9
	v_pk_fma_f16 v17, v34, v30, v31
	ds_read_b128 v[30:33], v1 offset:18512
	s_waitcnt lgkmcnt(3)
	v_mul_u32_u24_sdwa v47, v11, v2 dst_sel:DWORD dst_unused:UNUSED_PAD src0_sel:WORD_0 src1_sel:DWORD
	v_mul_u32_u24_sdwa v11, v11, v2 dst_sel:DWORD dst_unused:UNUSED_PAD src0_sel:WORD_1 src1_sel:DWORD
	v_pk_fma_f16 v9, v35, v45, v9
	v_pk_fma_f16 v17, v35, v46, v17
	ds_read2_b32 v[34:35], v44 offset0:128 offset1:160
	v_mul_u32_u24_sdwa v45, v12, v2 dst_sel:DWORD dst_unused:UNUSED_PAD src0_sel:WORD_0 src1_sel:DWORD
	v_mul_u32_u24_sdwa v12, v12, v2 dst_sel:DWORD dst_unused:UNUSED_PAD src0_sel:WORD_1 src1_sel:DWORD
	s_waitcnt lgkmcnt(3)
	v_pk_fma_f16 v9, v42, v47, v9
	v_pk_fma_f16 v11, v42, v11, v17
	v_mul_u32_u24_sdwa v46, v13, v2 dst_sel:DWORD dst_unused:UNUSED_PAD src0_sel:WORD_0 src1_sel:DWORD
	v_mul_u32_u24_sdwa v13, v13, v2 dst_sel:DWORD dst_unused:UNUSED_PAD src0_sel:WORD_1 src1_sel:DWORD
	v_add_nc_u32_e32 v17, 0xc00, v41
	v_pk_fma_f16 v9, v43, v45, v9
	v_pk_fma_f16 v11, v43, v12, v11
	ds_read2_b32 v[42:43], v44 offset0:192 offset1:224
	v_mul_u32_u24_sdwa v44, v14, v2 dst_sel:DWORD dst_unused:UNUSED_PAD src0_sel:WORD_0 src1_sel:DWORD
	v_mul_u32_u24_sdwa v45, v14, v2 dst_sel:DWORD dst_unused:UNUSED_PAD src0_sel:WORD_1 src1_sel:DWORD
	s_waitcnt lgkmcnt(3)
	v_pk_fma_f16 v9, v15, v46, v9
	v_pk_fma_f16 v15, v15, v13, v11
	ds_read_b128 v[11:14], v1 offset:18528
	s_waitcnt lgkmcnt(3)
	v_mul_u32_u24_sdwa v46, v30, v2 dst_sel:DWORD dst_unused:UNUSED_PAD src0_sel:WORD_0 src1_sel:DWORD
	v_mul_u32_u24_sdwa v30, v30, v2 dst_sel:DWORD dst_unused:UNUSED_PAD src0_sel:WORD_1 src1_sel:DWORD
	v_pk_fma_f16 v9, v16, v44, v9
	v_pk_fma_f16 v44, v16, v45, v15
	ds_read2_b32 v[15:16], v17 offset1:32
	v_mul_u32_u24_sdwa v45, v31, v2 dst_sel:DWORD dst_unused:UNUSED_PAD src0_sel:WORD_0 src1_sel:DWORD
	v_mul_u32_u24_sdwa v31, v31, v2 dst_sel:DWORD dst_unused:UNUSED_PAD src0_sel:WORD_1 src1_sel:DWORD
	s_waitcnt lgkmcnt(3)
	v_pk_fma_f16 v9, v34, v46, v9
	v_pk_fma_f16 v30, v34, v30, v44
	v_mul_u32_u24_sdwa v44, v32, v2 dst_sel:DWORD dst_unused:UNUSED_PAD src0_sel:WORD_0 src1_sel:DWORD
	v_mul_u32_u24_sdwa v32, v32, v2 dst_sel:DWORD dst_unused:UNUSED_PAD src0_sel:WORD_1 src1_sel:DWORD
	v_mul_u32_u24_sdwa v46, v33, v2 dst_sel:DWORD dst_unused:UNUSED_PAD src0_sel:WORD_1 src1_sel:DWORD
	v_pk_fma_f16 v9, v35, v45, v9
	v_pk_fma_f16 v30, v35, v31, v30
	ds_read2_b32 v[34:35], v17 offset0:64 offset1:96
	v_mul_u32_u24_sdwa v45, v33, v2 dst_sel:DWORD dst_unused:UNUSED_PAD src0_sel:WORD_0 src1_sel:DWORD
	s_waitcnt lgkmcnt(3)
	v_pk_fma_f16 v9, v42, v44, v9
	v_pk_fma_f16 v42, v42, v32, v30
	ds_read_b128 v[30:33], v1 offset:18544
	s_waitcnt lgkmcnt(3)
	v_mul_u32_u24_sdwa v44, v11, v2 dst_sel:DWORD dst_unused:UNUSED_PAD src0_sel:WORD_0 src1_sel:DWORD
	v_mul_u32_u24_sdwa v11, v11, v2 dst_sel:DWORD dst_unused:UNUSED_PAD src0_sel:WORD_1 src1_sel:DWORD
	v_pk_fma_f16 v9, v43, v45, v9
	v_pk_fma_f16 v45, v43, v46, v42
	ds_read2_b32 v[42:43], v17 offset0:128 offset1:160
	v_mul_u32_u24_sdwa v46, v12, v2 dst_sel:DWORD dst_unused:UNUSED_PAD src0_sel:WORD_0 src1_sel:DWORD
	v_mul_u32_u24_sdwa v12, v12, v2 dst_sel:DWORD dst_unused:UNUSED_PAD src0_sel:WORD_1 src1_sel:DWORD
	s_waitcnt lgkmcnt(3)
	v_pk_fma_f16 v9, v15, v44, v9
	v_pk_fma_f16 v11, v15, v11, v45
	v_mul_u32_u24_sdwa v45, v13, v2 dst_sel:DWORD dst_unused:UNUSED_PAD src0_sel:WORD_0 src1_sel:DWORD
	v_mul_u32_u24_sdwa v13, v13, v2 dst_sel:DWORD dst_unused:UNUSED_PAD src0_sel:WORD_1 src1_sel:DWORD
	v_add_nc_u32_e32 v44, 0x1000, v41
	v_pk_fma_f16 v9, v16, v46, v9
	v_pk_fma_f16 v11, v16, v12, v11
	ds_read2_b32 v[15:16], v17 offset0:192 offset1:224
	v_mul_u32_u24_sdwa v17, v14, v2 dst_sel:DWORD dst_unused:UNUSED_PAD src0_sel:WORD_0 src1_sel:DWORD
	v_mul_u32_u24_sdwa v46, v14, v2 dst_sel:DWORD dst_unused:UNUSED_PAD src0_sel:WORD_1 src1_sel:DWORD
	s_waitcnt lgkmcnt(3)
	v_pk_fma_f16 v9, v34, v45, v9
	v_pk_fma_f16 v34, v34, v13, v11
	ds_read_b128 v[11:14], v1 offset:18560
	s_waitcnt lgkmcnt(3)
	v_mul_u32_u24_sdwa v45, v30, v2 dst_sel:DWORD dst_unused:UNUSED_PAD src0_sel:WORD_0 src1_sel:DWORD
	v_mul_u32_u24_sdwa v30, v30, v2 dst_sel:DWORD dst_unused:UNUSED_PAD src0_sel:WORD_1 src1_sel:DWORD
	v_pk_fma_f16 v9, v35, v17, v9
	v_pk_fma_f16 v17, v35, v46, v34
	ds_read2_b32 v[34:35], v44 offset1:32
	v_mul_u32_u24_sdwa v46, v31, v2 dst_sel:DWORD dst_unused:UNUSED_PAD src0_sel:WORD_0 src1_sel:DWORD
	v_mul_u32_u24_sdwa v31, v31, v2 dst_sel:DWORD dst_unused:UNUSED_PAD src0_sel:WORD_1 src1_sel:DWORD
	s_waitcnt lgkmcnt(3)
	v_pk_fma_f16 v9, v42, v45, v9
	v_pk_fma_f16 v17, v42, v30, v17
	v_mul_u32_u24_sdwa v30, v32, v2 dst_sel:DWORD dst_unused:UNUSED_PAD src0_sel:WORD_0 src1_sel:DWORD
	v_mul_u32_u24_sdwa v32, v32, v2 dst_sel:DWORD dst_unused:UNUSED_PAD src0_sel:WORD_1 src1_sel:DWORD
	v_mul_u32_u24_sdwa v45, v33, v2 dst_sel:DWORD dst_unused:UNUSED_PAD src0_sel:WORD_0 src1_sel:DWORD
	v_pk_fma_f16 v9, v43, v46, v9
	v_pk_fma_f16 v17, v43, v31, v17
	ds_read2_b32 v[42:43], v44 offset0:64 offset1:96
	v_mul_u32_u24_sdwa v46, v33, v2 dst_sel:DWORD dst_unused:UNUSED_PAD src0_sel:WORD_1 src1_sel:DWORD
	s_waitcnt lgkmcnt(3)
	v_pk_fma_f16 v9, v15, v30, v9
	v_pk_fma_f16 v15, v15, v32, v17
	ds_read_b128 v[30:33], v1 offset:18576
	s_waitcnt lgkmcnt(3)
	v_mul_u32_u24_sdwa v17, v11, v2 dst_sel:DWORD dst_unused:UNUSED_PAD src0_sel:WORD_0 src1_sel:DWORD
	v_mul_u32_u24_sdwa v11, v11, v2 dst_sel:DWORD dst_unused:UNUSED_PAD src0_sel:WORD_1 src1_sel:DWORD
	v_pk_fma_f16 v9, v16, v45, v9
	v_pk_fma_f16 v45, v16, v46, v15
	ds_read2_b32 v[15:16], v44 offset0:128 offset1:160
	v_mul_u32_u24_sdwa v46, v12, v2 dst_sel:DWORD dst_unused:UNUSED_PAD src0_sel:WORD_0 src1_sel:DWORD
	v_mul_u32_u24_sdwa v12, v12, v2 dst_sel:DWORD dst_unused:UNUSED_PAD src0_sel:WORD_1 src1_sel:DWORD
	s_waitcnt lgkmcnt(3)
	v_pk_fma_f16 v9, v34, v17, v9
	v_pk_fma_f16 v11, v34, v11, v45
	v_mul_u32_u24_sdwa v45, v13, v2 dst_sel:DWORD dst_unused:UNUSED_PAD src0_sel:WORD_0 src1_sel:DWORD
	v_mul_u32_u24_sdwa v13, v13, v2 dst_sel:DWORD dst_unused:UNUSED_PAD src0_sel:WORD_1 src1_sel:DWORD
	v_add_nc_u32_e32 v17, 0x1400, v41
	v_pk_fma_f16 v9, v35, v46, v9
	v_pk_fma_f16 v11, v35, v12, v11
	ds_read2_b32 v[34:35], v44 offset0:192 offset1:224
	v_mul_u32_u24_sdwa v44, v14, v2 dst_sel:DWORD dst_unused:UNUSED_PAD src0_sel:WORD_0 src1_sel:DWORD
	v_mul_u32_u24_sdwa v46, v14, v2 dst_sel:DWORD dst_unused:UNUSED_PAD src0_sel:WORD_1 src1_sel:DWORD
	s_waitcnt lgkmcnt(3)
	v_pk_fma_f16 v9, v42, v45, v9
	v_pk_fma_f16 v42, v42, v13, v11
	ds_read_b128 v[11:14], v1 offset:18592
	s_waitcnt lgkmcnt(3)
	v_mul_u32_u24_sdwa v45, v30, v2 dst_sel:DWORD dst_unused:UNUSED_PAD src0_sel:WORD_0 src1_sel:DWORD
	v_mul_u32_u24_sdwa v30, v30, v2 dst_sel:DWORD dst_unused:UNUSED_PAD src0_sel:WORD_1 src1_sel:DWORD
	v_pk_fma_f16 v9, v43, v44, v9
	v_pk_fma_f16 v44, v43, v46, v42
	ds_read2_b32 v[42:43], v17 offset1:32
	v_mul_u32_u24_sdwa v46, v31, v2 dst_sel:DWORD dst_unused:UNUSED_PAD src0_sel:WORD_0 src1_sel:DWORD
	v_mul_u32_u24_sdwa v31, v31, v2 dst_sel:DWORD dst_unused:UNUSED_PAD src0_sel:WORD_1 src1_sel:DWORD
	s_waitcnt lgkmcnt(3)
	v_pk_fma_f16 v9, v15, v45, v9
	v_pk_fma_f16 v15, v15, v30, v44
	v_mul_u32_u24_sdwa v30, v32, v2 dst_sel:DWORD dst_unused:UNUSED_PAD src0_sel:WORD_0 src1_sel:DWORD
	v_mul_u32_u24_sdwa v32, v32, v2 dst_sel:DWORD dst_unused:UNUSED_PAD src0_sel:WORD_1 src1_sel:DWORD
	v_mul_u32_u24_sdwa v44, v33, v2 dst_sel:DWORD dst_unused:UNUSED_PAD src0_sel:WORD_0 src1_sel:DWORD
	v_pk_fma_f16 v9, v16, v46, v9
	v_pk_fma_f16 v31, v16, v31, v15
	ds_read2_b32 v[15:16], v17 offset0:64 offset1:96
	v_mul_u32_u24_sdwa v45, v33, v2 dst_sel:DWORD dst_unused:UNUSED_PAD src0_sel:WORD_1 src1_sel:DWORD
	s_waitcnt lgkmcnt(3)
	v_pk_fma_f16 v9, v34, v30, v9
	v_pk_fma_f16 v34, v34, v32, v31
	ds_read_b128 v[30:33], v1 offset:18608
	s_waitcnt lgkmcnt(3)
	v_mul_u32_u24_sdwa v46, v11, v2 dst_sel:DWORD dst_unused:UNUSED_PAD src0_sel:WORD_0 src1_sel:DWORD
	v_mul_u32_u24_sdwa v11, v11, v2 dst_sel:DWORD dst_unused:UNUSED_PAD src0_sel:WORD_1 src1_sel:DWORD
	v_pk_fma_f16 v9, v35, v44, v9
	v_pk_fma_f16 v44, v35, v45, v34
	ds_read2_b32 v[34:35], v17 offset0:128 offset1:160
	v_mul_u32_u24_sdwa v45, v12, v2 dst_sel:DWORD dst_unused:UNUSED_PAD src0_sel:WORD_0 src1_sel:DWORD
	v_mul_u32_u24_sdwa v12, v12, v2 dst_sel:DWORD dst_unused:UNUSED_PAD src0_sel:WORD_1 src1_sel:DWORD
	s_waitcnt lgkmcnt(3)
	v_pk_fma_f16 v9, v42, v46, v9
	v_pk_fma_f16 v11, v42, v11, v44
	v_mul_u32_u24_sdwa v46, v13, v2 dst_sel:DWORD dst_unused:UNUSED_PAD src0_sel:WORD_0 src1_sel:DWORD
	v_mul_u32_u24_sdwa v13, v13, v2 dst_sel:DWORD dst_unused:UNUSED_PAD src0_sel:WORD_1 src1_sel:DWORD
	v_add_nc_u32_e32 v44, 0x1800, v41
	v_pk_fma_f16 v9, v43, v45, v9
	v_pk_fma_f16 v11, v43, v12, v11
	ds_read2_b32 v[42:43], v17 offset0:192 offset1:224
	v_mul_u32_u24_sdwa v17, v14, v2 dst_sel:DWORD dst_unused:UNUSED_PAD src0_sel:WORD_0 src1_sel:DWORD
	v_mul_u32_u24_sdwa v45, v14, v2 dst_sel:DWORD dst_unused:UNUSED_PAD src0_sel:WORD_1 src1_sel:DWORD
	s_waitcnt lgkmcnt(3)
	v_pk_fma_f16 v9, v15, v46, v9
	v_pk_fma_f16 v15, v15, v13, v11
	ds_read_b128 v[11:14], v1 offset:18624
	s_waitcnt lgkmcnt(3)
	v_mul_u32_u24_sdwa v46, v30, v2 dst_sel:DWORD dst_unused:UNUSED_PAD src0_sel:WORD_0 src1_sel:DWORD
	v_mul_u32_u24_sdwa v30, v30, v2 dst_sel:DWORD dst_unused:UNUSED_PAD src0_sel:WORD_1 src1_sel:DWORD
	v_pk_fma_f16 v9, v16, v17, v9
	v_pk_fma_f16 v17, v16, v45, v15
	ds_read2_b32 v[15:16], v44 offset1:32
	v_mul_u32_u24_sdwa v45, v31, v2 dst_sel:DWORD dst_unused:UNUSED_PAD src0_sel:WORD_0 src1_sel:DWORD
	v_mul_u32_u24_sdwa v31, v31, v2 dst_sel:DWORD dst_unused:UNUSED_PAD src0_sel:WORD_1 src1_sel:DWORD
	s_waitcnt lgkmcnt(3)
	v_pk_fma_f16 v9, v34, v46, v9
	v_pk_fma_f16 v17, v34, v30, v17
	v_mul_u32_u24_sdwa v30, v32, v2 dst_sel:DWORD dst_unused:UNUSED_PAD src0_sel:WORD_0 src1_sel:DWORD
	v_mul_u32_u24_sdwa v32, v32, v2 dst_sel:DWORD dst_unused:UNUSED_PAD src0_sel:WORD_1 src1_sel:DWORD
	v_mul_u32_u24_sdwa v46, v33, v2 dst_sel:DWORD dst_unused:UNUSED_PAD src0_sel:WORD_1 src1_sel:DWORD
	v_pk_fma_f16 v9, v35, v45, v9
	v_pk_fma_f16 v17, v35, v31, v17
	ds_read2_b32 v[34:35], v44 offset0:64 offset1:96
	v_mul_u32_u24_sdwa v45, v33, v2 dst_sel:DWORD dst_unused:UNUSED_PAD src0_sel:WORD_0 src1_sel:DWORD
	s_waitcnt lgkmcnt(3)
	v_pk_fma_f16 v9, v42, v30, v9
	v_pk_fma_f16 v17, v42, v32, v17
	ds_read_b128 v[30:33], v1 offset:18640
	s_waitcnt lgkmcnt(3)
	v_mul_u32_u24_sdwa v47, v11, v2 dst_sel:DWORD dst_unused:UNUSED_PAD src0_sel:WORD_0 src1_sel:DWORD
	v_mul_u32_u24_sdwa v11, v11, v2 dst_sel:DWORD dst_unused:UNUSED_PAD src0_sel:WORD_1 src1_sel:DWORD
	v_pk_fma_f16 v9, v43, v45, v9
	v_pk_fma_f16 v17, v43, v46, v17
	ds_read2_b32 v[42:43], v44 offset0:128 offset1:160
	v_mul_u32_u24_sdwa v45, v12, v2 dst_sel:DWORD dst_unused:UNUSED_PAD src0_sel:WORD_0 src1_sel:DWORD
	v_mul_u32_u24_sdwa v12, v12, v2 dst_sel:DWORD dst_unused:UNUSED_PAD src0_sel:WORD_1 src1_sel:DWORD
	s_waitcnt lgkmcnt(3)
	v_pk_fma_f16 v9, v15, v47, v9
	v_pk_fma_f16 v11, v15, v11, v17
	v_mul_u32_u24_sdwa v46, v13, v2 dst_sel:DWORD dst_unused:UNUSED_PAD src0_sel:WORD_0 src1_sel:DWORD
	v_mul_u32_u24_sdwa v13, v13, v2 dst_sel:DWORD dst_unused:UNUSED_PAD src0_sel:WORD_1 src1_sel:DWORD
	v_add_nc_u32_e32 v17, 0x1c00, v41
	v_pk_fma_f16 v9, v16, v45, v9
	v_pk_fma_f16 v11, v16, v12, v11
	ds_read2_b32 v[15:16], v44 offset0:192 offset1:224
	v_mul_u32_u24_sdwa v44, v14, v2 dst_sel:DWORD dst_unused:UNUSED_PAD src0_sel:WORD_0 src1_sel:DWORD
	v_mul_u32_u24_sdwa v45, v14, v2 dst_sel:DWORD dst_unused:UNUSED_PAD src0_sel:WORD_1 src1_sel:DWORD
	s_waitcnt lgkmcnt(3)
	v_pk_fma_f16 v9, v34, v46, v9
	v_pk_fma_f16 v34, v34, v13, v11
	ds_read_b128 v[11:14], v1 offset:18656
	s_waitcnt lgkmcnt(3)
	v_mul_u32_u24_sdwa v46, v30, v2 dst_sel:DWORD dst_unused:UNUSED_PAD src0_sel:WORD_0 src1_sel:DWORD
	v_mul_u32_u24_sdwa v30, v30, v2 dst_sel:DWORD dst_unused:UNUSED_PAD src0_sel:WORD_1 src1_sel:DWORD
	v_pk_fma_f16 v9, v35, v44, v9
	v_pk_fma_f16 v44, v35, v45, v34
	ds_read2_b32 v[34:35], v17 offset1:32
	v_mul_u32_u24_sdwa v45, v31, v2 dst_sel:DWORD dst_unused:UNUSED_PAD src0_sel:WORD_0 src1_sel:DWORD
	v_mul_u32_u24_sdwa v31, v31, v2 dst_sel:DWORD dst_unused:UNUSED_PAD src0_sel:WORD_1 src1_sel:DWORD
	s_waitcnt lgkmcnt(3)
	v_pk_fma_f16 v9, v42, v46, v9
	v_pk_fma_f16 v30, v42, v30, v44
	v_mul_u32_u24_sdwa v44, v32, v2 dst_sel:DWORD dst_unused:UNUSED_PAD src0_sel:WORD_0 src1_sel:DWORD
	v_mul_u32_u24_sdwa v32, v32, v2 dst_sel:DWORD dst_unused:UNUSED_PAD src0_sel:WORD_1 src1_sel:DWORD
	v_mul_u32_u24_sdwa v46, v33, v2 dst_sel:DWORD dst_unused:UNUSED_PAD src0_sel:WORD_1 src1_sel:DWORD
	v_pk_fma_f16 v9, v43, v45, v9
	v_pk_fma_f16 v30, v43, v31, v30
	ds_read2_b32 v[42:43], v17 offset0:64 offset1:96
	v_mul_u32_u24_sdwa v45, v33, v2 dst_sel:DWORD dst_unused:UNUSED_PAD src0_sel:WORD_0 src1_sel:DWORD
	s_waitcnt lgkmcnt(3)
	v_pk_fma_f16 v9, v15, v44, v9
	v_pk_fma_f16 v15, v15, v32, v30
	ds_read_b128 v[30:33], v1 offset:18672
	s_waitcnt lgkmcnt(3)
	v_mul_u32_u24_sdwa v44, v11, v2 dst_sel:DWORD dst_unused:UNUSED_PAD src0_sel:WORD_0 src1_sel:DWORD
	v_mul_u32_u24_sdwa v11, v11, v2 dst_sel:DWORD dst_unused:UNUSED_PAD src0_sel:WORD_1 src1_sel:DWORD
	v_pk_fma_f16 v9, v16, v45, v9
	v_pk_fma_f16 v45, v16, v46, v15
	ds_read2_b32 v[15:16], v17 offset0:128 offset1:160
	v_mul_u32_u24_sdwa v46, v12, v2 dst_sel:DWORD dst_unused:UNUSED_PAD src0_sel:WORD_0 src1_sel:DWORD
	v_mul_u32_u24_sdwa v12, v12, v2 dst_sel:DWORD dst_unused:UNUSED_PAD src0_sel:WORD_1 src1_sel:DWORD
	s_waitcnt lgkmcnt(3)
	v_pk_fma_f16 v9, v34, v44, v9
	v_pk_fma_f16 v11, v34, v11, v45
	v_mul_u32_u24_sdwa v45, v13, v2 dst_sel:DWORD dst_unused:UNUSED_PAD src0_sel:WORD_0 src1_sel:DWORD
	v_mul_u32_u24_sdwa v13, v13, v2 dst_sel:DWORD dst_unused:UNUSED_PAD src0_sel:WORD_1 src1_sel:DWORD
	v_add_nc_u32_e32 v44, 0x2000, v41
	v_pk_fma_f16 v9, v35, v46, v9
	v_pk_fma_f16 v11, v35, v12, v11
	ds_read2_b32 v[34:35], v17 offset0:192 offset1:224
	v_mul_u32_u24_sdwa v17, v14, v2 dst_sel:DWORD dst_unused:UNUSED_PAD src0_sel:WORD_0 src1_sel:DWORD
	v_mul_u32_u24_sdwa v46, v14, v2 dst_sel:DWORD dst_unused:UNUSED_PAD src0_sel:WORD_1 src1_sel:DWORD
	s_waitcnt lgkmcnt(3)
	v_pk_fma_f16 v9, v42, v45, v9
	v_pk_fma_f16 v42, v42, v13, v11
	ds_read_b128 v[11:14], v1 offset:18688
	s_waitcnt lgkmcnt(3)
	v_mul_u32_u24_sdwa v45, v30, v2 dst_sel:DWORD dst_unused:UNUSED_PAD src0_sel:WORD_0 src1_sel:DWORD
	v_mul_u32_u24_sdwa v30, v30, v2 dst_sel:DWORD dst_unused:UNUSED_PAD src0_sel:WORD_1 src1_sel:DWORD
	v_pk_fma_f16 v9, v43, v17, v9
	v_pk_fma_f16 v17, v43, v46, v42
	ds_read2_b32 v[42:43], v44 offset1:32
	v_mul_u32_u24_sdwa v46, v31, v2 dst_sel:DWORD dst_unused:UNUSED_PAD src0_sel:WORD_0 src1_sel:DWORD
	v_mul_u32_u24_sdwa v31, v31, v2 dst_sel:DWORD dst_unused:UNUSED_PAD src0_sel:WORD_1 src1_sel:DWORD
	s_waitcnt lgkmcnt(3)
	v_pk_fma_f16 v9, v15, v45, v9
	v_pk_fma_f16 v15, v15, v30, v17
	v_mul_u32_u24_sdwa v17, v32, v2 dst_sel:DWORD dst_unused:UNUSED_PAD src0_sel:WORD_0 src1_sel:DWORD
	v_mul_u32_u24_sdwa v30, v32, v2 dst_sel:DWORD dst_unused:UNUSED_PAD src0_sel:WORD_1 src1_sel:DWORD
	v_mul_u32_u24_sdwa v45, v33, v2 dst_sel:DWORD dst_unused:UNUSED_PAD src0_sel:WORD_0 src1_sel:DWORD
	v_pk_fma_f16 v9, v16, v46, v9
	v_pk_fma_f16 v31, v16, v31, v15
	ds_read2_b32 v[15:16], v44 offset0:64 offset1:96
	v_mul_u32_u24_sdwa v46, v33, v2 dst_sel:DWORD dst_unused:UNUSED_PAD src0_sel:WORD_1 src1_sel:DWORD
	s_waitcnt lgkmcnt(3)
	v_pk_fma_f16 v9, v34, v17, v9
	v_pk_fma_f16 v17, v34, v30, v31
	ds_read_b128 v[30:33], v1 offset:18704
	s_waitcnt lgkmcnt(3)
	v_mul_u32_u24_sdwa v47, v11, v2 dst_sel:DWORD dst_unused:UNUSED_PAD src0_sel:WORD_0 src1_sel:DWORD
	v_mul_u32_u24_sdwa v11, v11, v2 dst_sel:DWORD dst_unused:UNUSED_PAD src0_sel:WORD_1 src1_sel:DWORD
	v_pk_fma_f16 v9, v35, v45, v9
	v_pk_fma_f16 v17, v35, v46, v17
	ds_read2_b32 v[34:35], v44 offset0:128 offset1:160
	v_mul_u32_u24_sdwa v45, v12, v2 dst_sel:DWORD dst_unused:UNUSED_PAD src0_sel:WORD_0 src1_sel:DWORD
	v_mul_u32_u24_sdwa v12, v12, v2 dst_sel:DWORD dst_unused:UNUSED_PAD src0_sel:WORD_1 src1_sel:DWORD
	s_waitcnt lgkmcnt(3)
	v_pk_fma_f16 v9, v42, v47, v9
	v_pk_fma_f16 v11, v42, v11, v17
	v_mul_u32_u24_sdwa v46, v13, v2 dst_sel:DWORD dst_unused:UNUSED_PAD src0_sel:WORD_0 src1_sel:DWORD
	v_mul_u32_u24_sdwa v13, v13, v2 dst_sel:DWORD dst_unused:UNUSED_PAD src0_sel:WORD_1 src1_sel:DWORD
	v_add_nc_u32_e32 v17, 0x2400, v41
	v_pk_fma_f16 v9, v43, v45, v9
	v_pk_fma_f16 v11, v43, v12, v11
	ds_read2_b32 v[42:43], v44 offset0:192 offset1:224
	v_mul_u32_u24_sdwa v44, v14, v2 dst_sel:DWORD dst_unused:UNUSED_PAD src0_sel:WORD_0 src1_sel:DWORD
	v_mul_u32_u24_sdwa v45, v14, v2 dst_sel:DWORD dst_unused:UNUSED_PAD src0_sel:WORD_1 src1_sel:DWORD
	s_waitcnt lgkmcnt(3)
	v_pk_fma_f16 v9, v15, v46, v9
	v_pk_fma_f16 v15, v15, v13, v11
	ds_read_b128 v[11:14], v1 offset:18720
	s_waitcnt lgkmcnt(3)
	v_mul_u32_u24_sdwa v46, v30, v2 dst_sel:DWORD dst_unused:UNUSED_PAD src0_sel:WORD_0 src1_sel:DWORD
	v_mul_u32_u24_sdwa v30, v30, v2 dst_sel:DWORD dst_unused:UNUSED_PAD src0_sel:WORD_1 src1_sel:DWORD
	v_pk_fma_f16 v9, v16, v44, v9
	v_pk_fma_f16 v44, v16, v45, v15
	ds_read2_b32 v[15:16], v17 offset1:32
	v_mul_u32_u24_sdwa v45, v31, v2 dst_sel:DWORD dst_unused:UNUSED_PAD src0_sel:WORD_0 src1_sel:DWORD
	v_mul_u32_u24_sdwa v31, v31, v2 dst_sel:DWORD dst_unused:UNUSED_PAD src0_sel:WORD_1 src1_sel:DWORD
	s_waitcnt lgkmcnt(3)
	v_pk_fma_f16 v9, v34, v46, v9
	v_pk_fma_f16 v30, v34, v30, v44
	v_mul_u32_u24_sdwa v44, v32, v2 dst_sel:DWORD dst_unused:UNUSED_PAD src0_sel:WORD_0 src1_sel:DWORD
	v_mul_u32_u24_sdwa v32, v32, v2 dst_sel:DWORD dst_unused:UNUSED_PAD src0_sel:WORD_1 src1_sel:DWORD
	v_mul_u32_u24_sdwa v46, v33, v2 dst_sel:DWORD dst_unused:UNUSED_PAD src0_sel:WORD_1 src1_sel:DWORD
	v_pk_fma_f16 v9, v35, v45, v9
	v_pk_fma_f16 v30, v35, v31, v30
	ds_read2_b32 v[34:35], v17 offset0:64 offset1:96
	v_mul_u32_u24_sdwa v45, v33, v2 dst_sel:DWORD dst_unused:UNUSED_PAD src0_sel:WORD_0 src1_sel:DWORD
	s_waitcnt lgkmcnt(3)
	v_pk_fma_f16 v9, v42, v44, v9
	v_pk_fma_f16 v42, v42, v32, v30
	ds_read_b128 v[30:33], v1 offset:18736
	s_waitcnt lgkmcnt(3)
	v_mul_u32_u24_sdwa v44, v11, v2 dst_sel:DWORD dst_unused:UNUSED_PAD src0_sel:WORD_0 src1_sel:DWORD
	v_mul_u32_u24_sdwa v11, v11, v2 dst_sel:DWORD dst_unused:UNUSED_PAD src0_sel:WORD_1 src1_sel:DWORD
	v_pk_fma_f16 v9, v43, v45, v9
	v_pk_fma_f16 v45, v43, v46, v42
	ds_read2_b32 v[42:43], v17 offset0:128 offset1:160
	v_mul_u32_u24_sdwa v46, v12, v2 dst_sel:DWORD dst_unused:UNUSED_PAD src0_sel:WORD_0 src1_sel:DWORD
	v_mul_u32_u24_sdwa v12, v12, v2 dst_sel:DWORD dst_unused:UNUSED_PAD src0_sel:WORD_1 src1_sel:DWORD
	s_waitcnt lgkmcnt(3)
	v_pk_fma_f16 v9, v15, v44, v9
	v_pk_fma_f16 v11, v15, v11, v45
	v_mul_u32_u24_sdwa v45, v13, v2 dst_sel:DWORD dst_unused:UNUSED_PAD src0_sel:WORD_0 src1_sel:DWORD
	v_mul_u32_u24_sdwa v13, v13, v2 dst_sel:DWORD dst_unused:UNUSED_PAD src0_sel:WORD_1 src1_sel:DWORD
	v_add_nc_u32_e32 v44, 0x2800, v41
	v_pk_fma_f16 v9, v16, v46, v9
	v_pk_fma_f16 v11, v16, v12, v11
	ds_read2_b32 v[15:16], v17 offset0:192 offset1:224
	v_mul_u32_u24_sdwa v17, v14, v2 dst_sel:DWORD dst_unused:UNUSED_PAD src0_sel:WORD_0 src1_sel:DWORD
	v_mul_u32_u24_sdwa v46, v14, v2 dst_sel:DWORD dst_unused:UNUSED_PAD src0_sel:WORD_1 src1_sel:DWORD
	s_waitcnt lgkmcnt(3)
	v_pk_fma_f16 v9, v34, v45, v9
	v_pk_fma_f16 v34, v34, v13, v11
	ds_read_b128 v[11:14], v1 offset:18752
	s_waitcnt lgkmcnt(3)
	v_mul_u32_u24_sdwa v45, v30, v2 dst_sel:DWORD dst_unused:UNUSED_PAD src0_sel:WORD_0 src1_sel:DWORD
	v_mul_u32_u24_sdwa v30, v30, v2 dst_sel:DWORD dst_unused:UNUSED_PAD src0_sel:WORD_1 src1_sel:DWORD
	v_pk_fma_f16 v9, v35, v17, v9
	v_pk_fma_f16 v17, v35, v46, v34
	ds_read2_b32 v[34:35], v44 offset1:32
	v_mul_u32_u24_sdwa v46, v31, v2 dst_sel:DWORD dst_unused:UNUSED_PAD src0_sel:WORD_0 src1_sel:DWORD
	v_mul_u32_u24_sdwa v31, v31, v2 dst_sel:DWORD dst_unused:UNUSED_PAD src0_sel:WORD_1 src1_sel:DWORD
	s_waitcnt lgkmcnt(3)
	v_pk_fma_f16 v9, v42, v45, v9
	v_pk_fma_f16 v17, v42, v30, v17
	v_mul_u32_u24_sdwa v30, v32, v2 dst_sel:DWORD dst_unused:UNUSED_PAD src0_sel:WORD_0 src1_sel:DWORD
	v_mul_u32_u24_sdwa v32, v32, v2 dst_sel:DWORD dst_unused:UNUSED_PAD src0_sel:WORD_1 src1_sel:DWORD
	v_mul_u32_u24_sdwa v45, v33, v2 dst_sel:DWORD dst_unused:UNUSED_PAD src0_sel:WORD_0 src1_sel:DWORD
	v_pk_fma_f16 v9, v43, v46, v9
	v_pk_fma_f16 v17, v43, v31, v17
	ds_read2_b32 v[42:43], v44 offset0:64 offset1:96
	v_mul_u32_u24_sdwa v46, v33, v2 dst_sel:DWORD dst_unused:UNUSED_PAD src0_sel:WORD_1 src1_sel:DWORD
	s_waitcnt lgkmcnt(3)
	v_pk_fma_f16 v9, v15, v30, v9
	v_pk_fma_f16 v15, v15, v32, v17
	ds_read_b128 v[30:33], v1 offset:18768
	s_waitcnt lgkmcnt(3)
	v_mul_u32_u24_sdwa v17, v11, v2 dst_sel:DWORD dst_unused:UNUSED_PAD src0_sel:WORD_0 src1_sel:DWORD
	v_mul_u32_u24_sdwa v11, v11, v2 dst_sel:DWORD dst_unused:UNUSED_PAD src0_sel:WORD_1 src1_sel:DWORD
	v_pk_fma_f16 v9, v16, v45, v9
	v_pk_fma_f16 v45, v16, v46, v15
	ds_read2_b32 v[15:16], v44 offset0:128 offset1:160
	v_mul_u32_u24_sdwa v46, v12, v2 dst_sel:DWORD dst_unused:UNUSED_PAD src0_sel:WORD_0 src1_sel:DWORD
	v_mul_u32_u24_sdwa v12, v12, v2 dst_sel:DWORD dst_unused:UNUSED_PAD src0_sel:WORD_1 src1_sel:DWORD
	s_waitcnt lgkmcnt(3)
	v_pk_fma_f16 v9, v34, v17, v9
	v_pk_fma_f16 v11, v34, v11, v45
	v_mul_u32_u24_sdwa v45, v13, v2 dst_sel:DWORD dst_unused:UNUSED_PAD src0_sel:WORD_0 src1_sel:DWORD
	v_mul_u32_u24_sdwa v13, v13, v2 dst_sel:DWORD dst_unused:UNUSED_PAD src0_sel:WORD_1 src1_sel:DWORD
	v_add_nc_u32_e32 v17, 0x2c00, v41
	v_pk_fma_f16 v9, v35, v46, v9
	v_pk_fma_f16 v11, v35, v12, v11
	ds_read2_b32 v[34:35], v44 offset0:192 offset1:224
	v_mul_u32_u24_sdwa v44, v14, v2 dst_sel:DWORD dst_unused:UNUSED_PAD src0_sel:WORD_0 src1_sel:DWORD
	v_mul_u32_u24_sdwa v46, v14, v2 dst_sel:DWORD dst_unused:UNUSED_PAD src0_sel:WORD_1 src1_sel:DWORD
	s_waitcnt lgkmcnt(3)
	v_pk_fma_f16 v9, v42, v45, v9
	v_pk_fma_f16 v42, v42, v13, v11
	ds_read_b128 v[11:14], v1 offset:18784
	s_waitcnt lgkmcnt(3)
	v_mul_u32_u24_sdwa v45, v30, v2 dst_sel:DWORD dst_unused:UNUSED_PAD src0_sel:WORD_0 src1_sel:DWORD
	v_mul_u32_u24_sdwa v30, v30, v2 dst_sel:DWORD dst_unused:UNUSED_PAD src0_sel:WORD_1 src1_sel:DWORD
	v_pk_fma_f16 v9, v43, v44, v9
	v_pk_fma_f16 v44, v43, v46, v42
	ds_read2_b32 v[42:43], v17 offset1:32
	v_mul_u32_u24_sdwa v46, v31, v2 dst_sel:DWORD dst_unused:UNUSED_PAD src0_sel:WORD_0 src1_sel:DWORD
	v_mul_u32_u24_sdwa v31, v31, v2 dst_sel:DWORD dst_unused:UNUSED_PAD src0_sel:WORD_1 src1_sel:DWORD
	s_waitcnt lgkmcnt(3)
	v_pk_fma_f16 v9, v15, v45, v9
	v_pk_fma_f16 v15, v15, v30, v44
	v_mul_u32_u24_sdwa v30, v32, v2 dst_sel:DWORD dst_unused:UNUSED_PAD src0_sel:WORD_0 src1_sel:DWORD
	v_mul_u32_u24_sdwa v32, v32, v2 dst_sel:DWORD dst_unused:UNUSED_PAD src0_sel:WORD_1 src1_sel:DWORD
	v_mul_u32_u24_sdwa v44, v33, v2 dst_sel:DWORD dst_unused:UNUSED_PAD src0_sel:WORD_0 src1_sel:DWORD
	v_pk_fma_f16 v9, v16, v46, v9
	v_pk_fma_f16 v31, v16, v31, v15
	ds_read2_b32 v[15:16], v17 offset0:64 offset1:96
	v_mul_u32_u24_sdwa v45, v33, v2 dst_sel:DWORD dst_unused:UNUSED_PAD src0_sel:WORD_1 src1_sel:DWORD
	s_waitcnt lgkmcnt(3)
	v_pk_fma_f16 v9, v34, v30, v9
	v_pk_fma_f16 v34, v34, v32, v31
	ds_read_b128 v[30:33], v1 offset:18800
	s_waitcnt lgkmcnt(3)
	v_mul_u32_u24_sdwa v46, v11, v2 dst_sel:DWORD dst_unused:UNUSED_PAD src0_sel:WORD_0 src1_sel:DWORD
	v_mul_u32_u24_sdwa v11, v11, v2 dst_sel:DWORD dst_unused:UNUSED_PAD src0_sel:WORD_1 src1_sel:DWORD
	v_pk_fma_f16 v9, v35, v44, v9
	v_pk_fma_f16 v44, v35, v45, v34
	ds_read2_b32 v[34:35], v17 offset0:128 offset1:160
	v_mul_u32_u24_sdwa v45, v12, v2 dst_sel:DWORD dst_unused:UNUSED_PAD src0_sel:WORD_0 src1_sel:DWORD
	v_mul_u32_u24_sdwa v12, v12, v2 dst_sel:DWORD dst_unused:UNUSED_PAD src0_sel:WORD_1 src1_sel:DWORD
	s_waitcnt lgkmcnt(3)
	v_pk_fma_f16 v9, v42, v46, v9
	v_pk_fma_f16 v11, v42, v11, v44
	v_mul_u32_u24_sdwa v46, v13, v2 dst_sel:DWORD dst_unused:UNUSED_PAD src0_sel:WORD_0 src1_sel:DWORD
	v_mul_u32_u24_sdwa v13, v13, v2 dst_sel:DWORD dst_unused:UNUSED_PAD src0_sel:WORD_1 src1_sel:DWORD
	v_add_nc_u32_e32 v44, 0x3000, v41
	v_pk_fma_f16 v9, v43, v45, v9
	v_pk_fma_f16 v11, v43, v12, v11
	ds_read2_b32 v[42:43], v17 offset0:192 offset1:224
	v_mul_u32_u24_sdwa v17, v14, v2 dst_sel:DWORD dst_unused:UNUSED_PAD src0_sel:WORD_0 src1_sel:DWORD
	v_mul_u32_u24_sdwa v45, v14, v2 dst_sel:DWORD dst_unused:UNUSED_PAD src0_sel:WORD_1 src1_sel:DWORD
	s_waitcnt lgkmcnt(3)
	v_pk_fma_f16 v9, v15, v46, v9
	v_pk_fma_f16 v15, v15, v13, v11
	ds_read_b128 v[11:14], v1 offset:18816
	s_waitcnt lgkmcnt(3)
	v_mul_u32_u24_sdwa v46, v30, v2 dst_sel:DWORD dst_unused:UNUSED_PAD src0_sel:WORD_0 src1_sel:DWORD
	v_mul_u32_u24_sdwa v30, v30, v2 dst_sel:DWORD dst_unused:UNUSED_PAD src0_sel:WORD_1 src1_sel:DWORD
	v_pk_fma_f16 v9, v16, v17, v9
	v_pk_fma_f16 v17, v16, v45, v15
	ds_read2_b32 v[15:16], v44 offset1:32
	v_mul_u32_u24_sdwa v45, v31, v2 dst_sel:DWORD dst_unused:UNUSED_PAD src0_sel:WORD_0 src1_sel:DWORD
	v_mul_u32_u24_sdwa v31, v31, v2 dst_sel:DWORD dst_unused:UNUSED_PAD src0_sel:WORD_1 src1_sel:DWORD
	s_waitcnt lgkmcnt(3)
	v_pk_fma_f16 v9, v34, v46, v9
	v_pk_fma_f16 v17, v34, v30, v17
	v_mul_u32_u24_sdwa v30, v32, v2 dst_sel:DWORD dst_unused:UNUSED_PAD src0_sel:WORD_0 src1_sel:DWORD
	v_mul_u32_u24_sdwa v32, v32, v2 dst_sel:DWORD dst_unused:UNUSED_PAD src0_sel:WORD_1 src1_sel:DWORD
	v_mul_u32_u24_sdwa v46, v33, v2 dst_sel:DWORD dst_unused:UNUSED_PAD src0_sel:WORD_1 src1_sel:DWORD
	v_pk_fma_f16 v9, v35, v45, v9
	v_pk_fma_f16 v17, v35, v31, v17
	ds_read2_b32 v[34:35], v44 offset0:64 offset1:96
	v_mul_u32_u24_sdwa v45, v33, v2 dst_sel:DWORD dst_unused:UNUSED_PAD src0_sel:WORD_0 src1_sel:DWORD
	s_waitcnt lgkmcnt(3)
	v_pk_fma_f16 v9, v42, v30, v9
	v_pk_fma_f16 v17, v42, v32, v17
	ds_read_b128 v[30:33], v1 offset:18832
	s_waitcnt lgkmcnt(3)
	v_mul_u32_u24_sdwa v47, v11, v2 dst_sel:DWORD dst_unused:UNUSED_PAD src0_sel:WORD_0 src1_sel:DWORD
	v_mul_u32_u24_sdwa v11, v11, v2 dst_sel:DWORD dst_unused:UNUSED_PAD src0_sel:WORD_1 src1_sel:DWORD
	v_pk_fma_f16 v9, v43, v45, v9
	v_pk_fma_f16 v17, v43, v46, v17
	ds_read2_b32 v[42:43], v44 offset0:128 offset1:160
	v_mul_u32_u24_sdwa v45, v12, v2 dst_sel:DWORD dst_unused:UNUSED_PAD src0_sel:WORD_0 src1_sel:DWORD
	v_mul_u32_u24_sdwa v12, v12, v2 dst_sel:DWORD dst_unused:UNUSED_PAD src0_sel:WORD_1 src1_sel:DWORD
	s_waitcnt lgkmcnt(3)
	v_pk_fma_f16 v9, v15, v47, v9
	v_pk_fma_f16 v11, v15, v11, v17
	v_mul_u32_u24_sdwa v46, v13, v2 dst_sel:DWORD dst_unused:UNUSED_PAD src0_sel:WORD_0 src1_sel:DWORD
	v_mul_u32_u24_sdwa v13, v13, v2 dst_sel:DWORD dst_unused:UNUSED_PAD src0_sel:WORD_1 src1_sel:DWORD
	v_add_nc_u32_e32 v17, 0x3400, v41
	v_pk_fma_f16 v9, v16, v45, v9
	v_pk_fma_f16 v11, v16, v12, v11
	ds_read2_b32 v[15:16], v44 offset0:192 offset1:224
	v_mul_u32_u24_sdwa v44, v14, v2 dst_sel:DWORD dst_unused:UNUSED_PAD src0_sel:WORD_0 src1_sel:DWORD
	v_mul_u32_u24_sdwa v45, v14, v2 dst_sel:DWORD dst_unused:UNUSED_PAD src0_sel:WORD_1 src1_sel:DWORD
	s_waitcnt lgkmcnt(3)
	v_pk_fma_f16 v9, v34, v46, v9
	v_pk_fma_f16 v34, v34, v13, v11
	ds_read_b128 v[11:14], v1 offset:18848
	s_waitcnt lgkmcnt(3)
	v_mul_u32_u24_sdwa v46, v30, v2 dst_sel:DWORD dst_unused:UNUSED_PAD src0_sel:WORD_0 src1_sel:DWORD
	v_mul_u32_u24_sdwa v30, v30, v2 dst_sel:DWORD dst_unused:UNUSED_PAD src0_sel:WORD_1 src1_sel:DWORD
	v_pk_fma_f16 v9, v35, v44, v9
	v_pk_fma_f16 v44, v35, v45, v34
	ds_read2_b32 v[34:35], v17 offset1:32
	v_mul_u32_u24_sdwa v45, v31, v2 dst_sel:DWORD dst_unused:UNUSED_PAD src0_sel:WORD_0 src1_sel:DWORD
	v_mul_u32_u24_sdwa v31, v31, v2 dst_sel:DWORD dst_unused:UNUSED_PAD src0_sel:WORD_1 src1_sel:DWORD
	s_waitcnt lgkmcnt(3)
	v_pk_fma_f16 v9, v42, v46, v9
	v_pk_fma_f16 v30, v42, v30, v44
	v_mul_u32_u24_sdwa v46, v32, v2 dst_sel:DWORD dst_unused:UNUSED_PAD src0_sel:WORD_0 src1_sel:DWORD
	v_mul_u32_u24_sdwa v32, v32, v2 dst_sel:DWORD dst_unused:UNUSED_PAD src0_sel:WORD_1 src1_sel:DWORD
	v_mul_u32_u24_sdwa v47, v33, v2 dst_sel:DWORD dst_unused:UNUSED_PAD src0_sel:WORD_1 src1_sel:DWORD
	v_pk_fma_f16 v9, v43, v45, v9
	v_pk_fma_f16 v30, v43, v31, v30
	ds_read2_b32 v[42:43], v17 offset0:64 offset1:96
	v_mul_u32_u24_sdwa v45, v33, v2 dst_sel:DWORD dst_unused:UNUSED_PAD src0_sel:WORD_0 src1_sel:DWORD
	v_add_nc_u32_e32 v44, 0x3800, v41
	s_waitcnt lgkmcnt(3)
	v_pk_fma_f16 v9, v15, v46, v9
	v_pk_fma_f16 v15, v15, v32, v30
	ds_read_b128 v[30:33], v1 offset:18864
	s_waitcnt lgkmcnt(3)
	v_mul_u32_u24_sdwa v46, v11, v2 dst_sel:DWORD dst_unused:UNUSED_PAD src0_sel:WORD_0 src1_sel:DWORD
	v_mul_u32_u24_sdwa v11, v11, v2 dst_sel:DWORD dst_unused:UNUSED_PAD src0_sel:WORD_1 src1_sel:DWORD
	v_pk_fma_f16 v9, v16, v45, v9
	v_pk_fma_f16 v45, v16, v47, v15
	ds_read2_b32 v[15:16], v17 offset0:128 offset1:160
	v_mul_u32_u24_sdwa v47, v12, v2 dst_sel:DWORD dst_unused:UNUSED_PAD src0_sel:WORD_0 src1_sel:DWORD
	v_mul_u32_u24_sdwa v12, v12, v2 dst_sel:DWORD dst_unused:UNUSED_PAD src0_sel:WORD_1 src1_sel:DWORD
	s_waitcnt lgkmcnt(3)
	v_pk_fma_f16 v9, v34, v46, v9
	v_pk_fma_f16 v11, v34, v11, v45
	v_add_nc_u32_e32 v45, 0x3c00, v41
	v_mul_u32_u24_sdwa v41, v13, v2 dst_sel:DWORD dst_unused:UNUSED_PAD src0_sel:WORD_0 src1_sel:DWORD
	v_mul_u32_u24_sdwa v13, v13, v2 dst_sel:DWORD dst_unused:UNUSED_PAD src0_sel:WORD_1 src1_sel:DWORD
	v_pk_fma_f16 v9, v35, v47, v9
	v_pk_fma_f16 v11, v35, v12, v11
	ds_read2_b32 v[34:35], v17 offset0:192 offset1:224
	v_mul_u32_u24_sdwa v17, v14, v2 dst_sel:DWORD dst_unused:UNUSED_PAD src0_sel:WORD_0 src1_sel:DWORD
	v_mul_u32_u24_sdwa v46, v14, v2 dst_sel:DWORD dst_unused:UNUSED_PAD src0_sel:WORD_1 src1_sel:DWORD
	s_waitcnt lgkmcnt(3)
	v_pk_fma_f16 v9, v42, v41, v9
	v_pk_fma_f16 v41, v42, v13, v11
	ds_read_b128 v[11:14], v1 offset:18880
	s_waitcnt lgkmcnt(3)
	v_mul_u32_u24_sdwa v47, v30, v2 dst_sel:DWORD dst_unused:UNUSED_PAD src0_sel:WORD_0 src1_sel:DWORD
	v_mul_u32_u24_sdwa v30, v30, v2 dst_sel:DWORD dst_unused:UNUSED_PAD src0_sel:WORD_1 src1_sel:DWORD
	v_pk_fma_f16 v9, v43, v17, v9
	v_pk_fma_f16 v17, v43, v46, v41
	ds_read2_b32 v[41:42], v44 offset1:32
	v_mul_u32_u24_sdwa v43, v31, v2 dst_sel:DWORD dst_unused:UNUSED_PAD src0_sel:WORD_0 src1_sel:DWORD
	v_mul_u32_u24_sdwa v31, v31, v2 dst_sel:DWORD dst_unused:UNUSED_PAD src0_sel:WORD_1 src1_sel:DWORD
	s_waitcnt lgkmcnt(3)
	v_pk_fma_f16 v9, v15, v47, v9
	v_pk_fma_f16 v15, v15, v30, v17
	v_add_f32_e32 v17, v27, v28
	v_mul_u32_u24_sdwa v27, v32, v2 dst_sel:DWORD dst_unused:UNUSED_PAD src0_sel:WORD_0 src1_sel:DWORD
	v_mul_u32_u24_sdwa v28, v32, v2 dst_sel:DWORD dst_unused:UNUSED_PAD src0_sel:WORD_1 src1_sel:DWORD
	v_pk_fma_f16 v9, v16, v43, v9
	v_pk_fma_f16 v30, v16, v31, v15
	ds_read2_b32 v[15:16], v44 offset0:64 offset1:96
	v_mul_u32_u24_sdwa v43, v33, v2 dst_sel:DWORD dst_unused:UNUSED_PAD src0_sel:WORD_0 src1_sel:DWORD
	v_mul_u32_u24_sdwa v46, v33, v2 dst_sel:DWORD dst_unused:UNUSED_PAD src0_sel:WORD_1 src1_sel:DWORD
	s_waitcnt lgkmcnt(3)
	v_pk_fma_f16 v9, v34, v27, v9
	v_pk_fma_f16 v27, v34, v28, v30
	ds_read_b128 v[30:33], v1 offset:18896
	s_waitcnt lgkmcnt(3)
	v_mul_u32_u24_sdwa v34, v11, v2 dst_sel:DWORD dst_unused:UNUSED_PAD src0_sel:WORD_0 src1_sel:DWORD
	v_mul_u32_u24_sdwa v11, v11, v2 dst_sel:DWORD dst_unused:UNUSED_PAD src0_sel:WORD_1 src1_sel:DWORD
	v_pk_fma_f16 v9, v35, v43, v9
	v_pk_fma_f16 v35, v35, v46, v27
	ds_read2_b32 v[27:28], v44 offset0:128 offset1:160
	v_mul_u32_u24_sdwa v43, v12, v2 dst_sel:DWORD dst_unused:UNUSED_PAD src0_sel:WORD_0 src1_sel:DWORD
	v_mul_u32_u24_sdwa v12, v12, v2 dst_sel:DWORD dst_unused:UNUSED_PAD src0_sel:WORD_1 src1_sel:DWORD
	s_waitcnt lgkmcnt(3)
	v_pk_fma_f16 v9, v41, v34, v9
	v_pk_fma_f16 v11, v41, v11, v35
	v_add_f32_e32 v17, v29, v17
	v_mul_u32_u24_sdwa v29, v13, v2 dst_sel:DWORD dst_unused:UNUSED_PAD src0_sel:WORD_0 src1_sel:DWORD
	v_mul_u32_u24_sdwa v13, v13, v2 dst_sel:DWORD dst_unused:UNUSED_PAD src0_sel:WORD_1 src1_sel:DWORD
	v_pk_fma_f16 v9, v42, v43, v9
	v_pk_fma_f16 v11, v42, v12, v11
	ds_read2_b32 v[34:35], v44 offset0:192 offset1:224
	v_mul_u32_u24_sdwa v41, v14, v2 dst_sel:DWORD dst_unused:UNUSED_PAD src0_sel:WORD_0 src1_sel:DWORD
	v_mul_u32_u24_sdwa v42, v14, v2 dst_sel:DWORD dst_unused:UNUSED_PAD src0_sel:WORD_1 src1_sel:DWORD
	s_waitcnt lgkmcnt(3)
	v_pk_fma_f16 v9, v15, v29, v9
	v_pk_fma_f16 v15, v15, v13, v11
	ds_read_b128 v[11:14], v1 offset:18912
	s_waitcnt lgkmcnt(3)
	v_mul_u32_u24_sdwa v29, v30, v2 dst_sel:DWORD dst_unused:UNUSED_PAD src0_sel:WORD_0 src1_sel:DWORD
	v_mul_u32_u24_sdwa v30, v30, v2 dst_sel:DWORD dst_unused:UNUSED_PAD src0_sel:WORD_1 src1_sel:DWORD
	v_pk_fma_f16 v9, v16, v41, v9
	v_pk_fma_f16 v41, v16, v42, v15
	ds_read2_b32 v[15:16], v45 offset1:32
	v_mul_u32_u24_sdwa v42, v31, v2 dst_sel:DWORD dst_unused:UNUSED_PAD src0_sel:WORD_0 src1_sel:DWORD
	v_mul_u32_u24_sdwa v31, v31, v2 dst_sel:DWORD dst_unused:UNUSED_PAD src0_sel:WORD_1 src1_sel:DWORD
	s_waitcnt lgkmcnt(3)
	v_pk_fma_f16 v9, v27, v29, v9
	v_pk_fma_f16 v27, v27, v30, v41
	v_add_f32_e32 v17, v26, v17
	v_mul_u32_u24_sdwa v26, v32, v2 dst_sel:DWORD dst_unused:UNUSED_PAD src0_sel:WORD_0 src1_sel:DWORD
	v_mul_u32_u24_sdwa v29, v32, v2 dst_sel:DWORD dst_unused:UNUSED_PAD src0_sel:WORD_1 src1_sel:DWORD
	v_pk_fma_f16 v9, v28, v42, v9
	v_pk_fma_f16 v27, v28, v31, v27
	ds_read2_b32 v[30:31], v45 offset0:64 offset1:96
	v_mul_u32_u24_sdwa v32, v33, v2 dst_sel:DWORD dst_unused:UNUSED_PAD src0_sel:WORD_0 src1_sel:DWORD
	v_mul_u32_u24_sdwa v33, v33, v2 dst_sel:DWORD dst_unused:UNUSED_PAD src0_sel:WORD_1 src1_sel:DWORD
	s_waitcnt lgkmcnt(3)
	v_pk_fma_f16 v9, v34, v26, v9
	v_pk_fma_f16 v34, v34, v29, v27
	ds_read_b128 v[26:29], v1 offset:18928
	s_waitcnt lgkmcnt(3)
	v_mul_u32_u24_sdwa v1, v11, v2 dst_sel:DWORD dst_unused:UNUSED_PAD src0_sel:WORD_0 src1_sel:DWORD
	v_mul_u32_u24_sdwa v11, v11, v2 dst_sel:DWORD dst_unused:UNUSED_PAD src0_sel:WORD_1 src1_sel:DWORD
	v_pk_fma_f16 v9, v35, v32, v9
	v_pk_fma_f16 v34, v35, v33, v34
	ds_read2_b32 v[32:33], v45 offset0:128 offset1:160
	v_mul_u32_u24_sdwa v35, v12, v2 dst_sel:DWORD dst_unused:UNUSED_PAD src0_sel:WORD_0 src1_sel:DWORD
	v_mul_u32_u24_sdwa v12, v12, v2 dst_sel:DWORD dst_unused:UNUSED_PAD src0_sel:WORD_1 src1_sel:DWORD
	s_waitcnt lgkmcnt(3)
	v_pk_fma_f16 v1, v15, v1, v9
	v_pk_fma_f16 v9, v15, v11, v34
	v_mul_u32_u24_sdwa v11, v13, v2 dst_sel:DWORD dst_unused:UNUSED_PAD src0_sel:WORD_0 src1_sel:DWORD
	v_mul_u32_u24_sdwa v13, v13, v2 dst_sel:DWORD dst_unused:UNUSED_PAD src0_sel:WORD_1 src1_sel:DWORD
	v_fmac_f32_e32 v17, v50, v8
	v_pk_fma_f16 v1, v16, v35, v1
	v_pk_fma_f16 v12, v16, v12, v9
	ds_read2_b32 v[8:9], v45 offset0:192 offset1:224
	v_mul_u32_u24_sdwa v15, v14, v2 dst_sel:DWORD dst_unused:UNUSED_PAD src0_sel:WORD_0 src1_sel:DWORD
	v_mul_u32_u24_sdwa v14, v14, v2 dst_sel:DWORD dst_unused:UNUSED_PAD src0_sel:WORD_1 src1_sel:DWORD
	s_waitcnt lgkmcnt(3)
	v_pk_fma_f16 v1, v30, v11, v1
	v_pk_fma_f16 v11, v30, v13, v12
	v_add_f32_e32 v12, v24, v25
	s_waitcnt lgkmcnt(2)
	v_mul_u32_u24_sdwa v13, v26, v2 dst_sel:DWORD dst_unused:UNUSED_PAD src0_sel:WORD_0 src1_sel:DWORD
	v_mul_u32_u24_sdwa v16, v26, v2 dst_sel:DWORD dst_unused:UNUSED_PAD src0_sel:WORD_1 src1_sel:DWORD
	v_pk_fma_f16 v1, v31, v15, v1
	v_pk_fma_f16 v11, v31, v14, v11
	v_add_f32_e32 v12, v23, v12
	v_mul_u32_u24_sdwa v14, v27, v2 dst_sel:DWORD dst_unused:UNUSED_PAD src0_sel:WORD_0 src1_sel:DWORD
	v_mul_u32_u24_sdwa v15, v27, v2 dst_sel:DWORD dst_unused:UNUSED_PAD src0_sel:WORD_1 src1_sel:DWORD
	s_waitcnt lgkmcnt(1)
	v_pk_fma_f16 v1, v32, v13, v1
	v_pk_fma_f16 v11, v32, v16, v11
	v_add_f32_e32 v6, v6, v12
	v_mul_u32_u24_sdwa v12, v28, v2 dst_sel:DWORD dst_unused:UNUSED_PAD src0_sel:WORD_0 src1_sel:DWORD
	v_mul_u32_u24_sdwa v13, v28, v2 dst_sel:DWORD dst_unused:UNUSED_PAD src0_sel:WORD_1 src1_sel:DWORD
	v_pk_fma_f16 v1, v33, v14, v1
	v_pk_fma_f16 v11, v33, v15, v11
	v_fmac_f32_e32 v6, v49, v3
	v_mul_u32_u24_sdwa v3, v29, v2 dst_sel:DWORD dst_unused:UNUSED_PAD src0_sel:WORD_0 src1_sel:DWORD
	v_mul_u32_u24_sdwa v2, v29, v2 dst_sel:DWORD dst_unused:UNUSED_PAD src0_sel:WORD_1 src1_sel:DWORD
	s_waitcnt lgkmcnt(0)
	v_pk_fma_f16 v1, v8, v12, v1
	v_pk_fma_f16 v8, v8, v13, v11
	v_mov_b32_e32 v50, v17
	v_mov_b32_e32 v49, v6
	v_pk_fma_f16 v45, v9, v3, v1
	v_pk_fma_f16 v43, v9, v2, v8
	v_mov_b32_e32 v2, v4
	v_mov_b32_e32 v3, v5
	s_barrier
	buffer_gl0_inv
.LBB62_72:
	v_cmp_lt_i32_e32 vcc_lo, v19, v7
	s_cmp_eq_u64 s[20:21], 0
	s_cselect_b32 s6, -1, 0
	s_cmp_lg_u32 s34, 0
	v_cndmask_b32_e32 v1, v40, v19, vcc_lo
	v_cmp_lt_i32_e32 vcc_lo, v18, v7
	s_cselect_b32 s7, -1, 0
	s_or_b32 s6, s7, s6
	v_lshlrev_b32_e32 v1, 2, v1
	v_cndmask_b32_e32 v5, v40, v18, vcc_lo
	v_cmp_lt_i32_e32 vcc_lo, v20, v7
	ds_bpermute_b32 v4, v1, v50
	ds_bpermute_b32 v1, v1, v49
	v_lshlrev_b32_e32 v5, 2, v5
	v_cndmask_b32_e32 v8, v40, v20, vcc_lo
	v_cmp_lt_i32_e32 vcc_lo, v21, v7
	v_lshlrev_b32_e32 v8, 2, v8
	s_waitcnt lgkmcnt(1)
	v_add_f32_e32 v4, v50, v4
	s_waitcnt lgkmcnt(0)
	v_add_f32_e32 v1, v49, v1
	ds_bpermute_b32 v6, v5, v4
	ds_bpermute_b32 v5, v5, v1
	s_waitcnt lgkmcnt(1)
	v_add_f32_e32 v4, v4, v6
	s_waitcnt lgkmcnt(0)
	v_add_f32_e32 v1, v1, v5
	ds_bpermute_b32 v5, v8, v4
	ds_bpermute_b32 v6, v8, v1
	v_cndmask_b32_e32 v8, v40, v21, vcc_lo
	v_cmp_lt_i32_e32 vcc_lo, v22, v7
	v_lshlrev_b32_e32 v8, 2, v8
	v_cndmask_b32_e32 v7, v40, v22, vcc_lo
	s_and_b32 vcc_lo, exec_lo, s6
	v_lshlrev_b32_e32 v7, 2, v7
	s_waitcnt lgkmcnt(1)
	v_add_f32_e32 v4, v4, v5
	s_waitcnt lgkmcnt(0)
	v_add_f32_e32 v1, v1, v6
	ds_bpermute_b32 v5, v8, v4
	ds_bpermute_b32 v6, v8, v1
	s_waitcnt lgkmcnt(1)
	v_add_f32_e32 v4, v4, v5
	s_waitcnt lgkmcnt(0)
	v_add_f32_e32 v1, v1, v6
	ds_bpermute_b32 v5, v7, v4
	ds_bpermute_b32 v6, v7, v1
	s_waitcnt lgkmcnt(1)
	v_add_f32_e32 v4, v4, v5
	s_waitcnt lgkmcnt(0)
	v_add_f32_e32 v5, v1, v6
	s_cbranch_vccnz .LBB62_75
; %bb.73:
	s_lshl_b64 s[6:7], s[44:45], 2
	v_mov_b32_e32 v1, 0
	s_add_u32 s6, s20, s6
	s_addc_u32 s7, s21, s7
	v_max_f32_e32 v6, v2, v2
	v_max_f32_e32 v9, v3, v3
	global_load_dword v1, v1, s[6:7]
	s_waitcnt vmcnt(0)
	v_max_f32_e32 v7, v1, v1
	v_max_f32_e32 v8, v6, v7
	;; [unrolled: 1-line block ×3, first 2 shown]
	v_sub_f32_e32 v2, v2, v8
	v_sub_f32_e32 v6, v1, v8
	v_sub_f32_e32 v3, v3, v9
	v_sub_f32_e32 v1, v1, v9
	v_mul_f32_e32 v7, 0x3fb8aa3b, v2
	v_mul_f32_e32 v11, 0x3fb8aa3b, v6
	;; [unrolled: 1-line block ×4, first 2 shown]
	v_cmp_ngt_f32_e32 vcc_lo, 0xc2ce8ed0, v2
	v_fma_f32 v14, 0x3fb8aa3b, v2, -v7
	v_rndne_f32_e32 v15, v7
	v_fma_f32 v16, 0x3fb8aa3b, v6, -v11
	v_rndne_f32_e32 v17, v11
	v_fma_f32 v18, 0x3fb8aa3b, v3, -v12
	v_fmac_f32_e32 v14, 0x32a5705f, v2
	v_sub_f32_e32 v7, v7, v15
	v_rndne_f32_e32 v19, v12
	v_fmac_f32_e32 v16, 0x32a5705f, v6
	v_sub_f32_e32 v11, v11, v17
	v_fma_f32 v20, 0x3fb8aa3b, v1, -v13
	v_add_f32_e32 v7, v7, v14
	v_rndne_f32_e32 v21, v13
	v_fmac_f32_e32 v18, 0x32a5705f, v3
	v_sub_f32_e32 v12, v12, v19
	v_add_f32_e32 v11, v11, v16
	v_exp_f32_e32 v7, v7
	v_fmac_f32_e32 v20, 0x32a5705f, v1
	v_sub_f32_e32 v13, v13, v21
	v_add_f32_e32 v12, v12, v18
	v_exp_f32_e32 v11, v11
	v_cvt_i32_f32_e32 v14, v15
	v_cvt_i32_f32_e32 v15, v17
	v_add_f32_e32 v13, v13, v20
	v_exp_f32_e32 v12, v12
	v_cvt_i32_f32_e32 v16, v19
	v_ldexp_f32 v7, v7, v14
	v_cvt_i32_f32_e32 v17, v21
	v_exp_f32_e32 v13, v13
	v_mov_b32_e32 v18, 0x10001
	v_ldexp_f32 v11, v11, v15
	v_cndmask_b32_e32 v7, 0, v7, vcc_lo
	v_cmp_ngt_f32_e32 vcc_lo, 0xc2ce8ed0, v6
	v_ldexp_f32 v12, v12, v16
	v_cndmask_b32_e32 v11, 0, v11, vcc_lo
	v_cmp_ngt_f32_e32 vcc_lo, 0xc2ce8ed0, v3
	;; [unrolled: 3-line block ×3, first 2 shown]
	v_cndmask_b32_e32 v13, 0, v13, vcc_lo
	v_cmp_nlt_f32_e32 vcc_lo, 0x42b17218, v2
	v_cndmask_b32_e32 v2, 0x7f800000, v7, vcc_lo
	v_cmp_nlt_f32_e32 vcc_lo, 0x42b17218, v3
	v_cndmask_b32_e32 v3, 0x7f800000, v12, vcc_lo
	v_cmp_nlt_f32_e32 vcc_lo, 0x42b17218, v6
	v_cndmask_b32_e32 v6, 0x7f800000, v11, vcc_lo
	v_cmp_nlt_f32_e32 vcc_lo, 0x42b17218, v1
	v_cvt_f16_f32_e32 v11, v3
	v_cvt_f16_f32_e32 v1, v2
	v_fmac_f32_e32 v6, v4, v2
	v_cndmask_b32_e32 v7, 0x7f800000, v13, vcc_lo
	v_mul_u32_u24_sdwa v2, v11, v18 dst_sel:DWORD dst_unused:UNUSED_PAD src0_sel:WORD_0 src1_sel:DWORD
	v_mul_u32_u24_sdwa v1, v1, v18 dst_sel:DWORD dst_unused:UNUSED_PAD src0_sel:WORD_0 src1_sel:DWORD
	v_fmac_f32_e32 v7, v5, v3
	v_mov_b32_e32 v4, v6
	v_pk_mul_f16 v43, v43, v2
	v_mov_b32_e32 v2, v8
	v_pk_mul_f16 v45, v45, v1
	v_mov_b32_e32 v5, v7
	v_mov_b32_e32 v3, v9
	s_mov_b32 s6, exec_lo
	v_cmpx_gt_i32_e64 s30, v39
	s_cbranch_execnz .LBB62_76
.LBB62_74:
	s_endpgm
.LBB62_75:
	v_mov_b32_e32 v6, v4
	v_mov_b32_e32 v7, v5
	s_mov_b32 s6, exec_lo
	v_cmpx_gt_i32_e64 s30, v39
	s_cbranch_execz .LBB62_74
.LBB62_76:
	s_load_dword s5, s[4:5], 0xd4
	v_mov_b32_e32 v1, 1.0
	s_waitcnt lgkmcnt(0)
	s_cmp_lg_u32 s5, 1
	s_cselect_b32 s8, -1, 0
	s_cmp_eq_u32 s5, 1
	s_cselect_b32 s6, -1, 0
	s_and_b32 vcc_lo, exec_lo, s8
	s_cbranch_vccnz .LBB62_78
; %bb.77:
	v_div_scale_f32 v1, null, v6, v6, 1.0
	v_rcp_f32_e32 v8, v1
	v_fma_f32 v9, -v1, v8, 1.0
	v_fmac_f32_e32 v8, v9, v8
	v_div_scale_f32 v9, vcc_lo, 1.0, v6, 1.0
	v_mul_f32_e32 v11, v9, v8
	v_fma_f32 v12, -v1, v11, v9
	v_fmac_f32_e32 v11, v12, v8
	v_fma_f32 v1, -v1, v11, v9
	v_div_fmas_f32 v1, v1, v8, v11
	v_div_fixup_f32 v1, v1, v6, 1.0
.LBB62_78:
	s_mul_i32 s7, s33, s30
	v_mov_b32_e32 v12, 0
	s_add_i32 s7, s7, s19
	v_cmp_eq_u32_e32 vcc_lo, 0, v0
	v_add_nc_u32_e32 v6, s7, v38
	v_mad_u64_u32 v[8:9], null, v6, s31, s[44:45]
	v_cvt_f32_f16_e32 v6, v45
	v_mul_f32_e32 v0, v1, v6
	v_mad_u64_u32 v[8:9], null, s5, v8, s[34:35]
	v_cvt_f32_f16_sdwa v9, v45 dst_sel:DWORD dst_unused:UNUSED_PAD src0_sel:WORD_1
	v_mul_f32_e32 v1, v1, v9
	v_lshl_add_u32 v11, v8, 6, v10
	v_lshlrev_b64 v[11:12], 2, v[11:12]
	v_add_co_u32 v11, s4, s24, v11
	v_add_co_ci_u32_e64 v12, null, s25, v12, s4
	s_and_b32 s4, vcc_lo, s8
	global_store_dwordx2 v[11:12], v[0:1], off
	s_and_saveexec_b32 s8, s4
	s_cbranch_execz .LBB62_80
; %bb.79:
	v_ashrrev_i32_e32 v9, 31, v8
	v_lshlrev_b64 v[0:1], 3, v[8:9]
	v_mov_b32_e32 v8, v2
	v_mov_b32_e32 v9, v4
	v_add_co_u32 v0, vcc_lo, s26, v0
	v_add_co_ci_u32_e64 v1, null, s27, v1, vcc_lo
	global_store_dwordx2 v[0:1], v[8:9], off
.LBB62_80:
	s_or_b32 exec_lo, exec_lo, s8
	v_cmp_gt_i32_e32 vcc_lo, s30, v37
	s_and_b32 exec_lo, exec_lo, vcc_lo
	s_cbranch_execz .LBB62_74
; %bb.81:
	v_mov_b32_e32 v2, 1.0
	s_andn2_b32 vcc_lo, exec_lo, s6
	s_cbranch_vccnz .LBB62_83
; %bb.82:
	v_div_scale_f32 v0, null, v7, v7, 1.0
	v_rcp_f32_e32 v1, v0
	v_fma_f32 v2, -v0, v1, 1.0
	v_fmac_f32_e32 v1, v2, v1
	v_div_scale_f32 v2, vcc_lo, 1.0, v7, 1.0
	v_mul_f32_e32 v4, v2, v1
	v_fma_f32 v6, -v0, v4, v2
	v_fmac_f32_e32 v4, v6, v1
	v_fma_f32 v0, -v0, v4, v2
	v_div_fmas_f32 v0, v0, v1, v4
	v_div_fixup_f32 v2, v0, v7, 1.0
.LBB62_83:
	v_add_nc_u32_e32 v0, s7, v36
	v_mov_b32_e32 v7, 0
	v_cvt_f32_f16_sdwa v4, v43 dst_sel:DWORD dst_unused:UNUSED_PAD src0_sel:WORD_1
	v_mad_u64_u32 v[0:1], null, v0, s31, s[44:45]
	v_mad_u64_u32 v[0:1], null, s5, v0, s[34:35]
	v_cvt_f32_f16_e32 v1, v43
	v_mul_f32_e32 v1, v2, v1
	v_lshl_add_u32 v6, v0, 6, v10
	v_mul_f32_e32 v2, v2, v4
	v_lshlrev_b64 v[6:7], 2, v[6:7]
	v_add_co_u32 v6, vcc_lo, s24, v6
	v_add_co_ci_u32_e64 v7, null, s25, v7, vcc_lo
	global_store_dwordx2 v[6:7], v[1:2], off
	s_and_b32 exec_lo, exec_lo, s4
	s_cbranch_execz .LBB62_74
; %bb.84:
	v_ashrrev_i32_e32 v1, 31, v0
	v_mov_b32_e32 v4, v3
	v_lshlrev_b64 v[0:1], 3, v[0:1]
	v_add_co_u32 v0, vcc_lo, s26, v0
	v_add_co_ci_u32_e64 v1, null, s27, v1, vcc_lo
	global_store_dwordx2 v[0:1], v[4:5], off
	s_endpgm
	.section	.rodata,"a",@progbits
	.p2align	6, 0x0
	.amdhsa_kernel _ZL15flash_attn_tileILi64ELi64ELi8ELi1ELb0EEvPKcS1_S1_S1_S1_PKiPfP15HIP_vector_typeIfLj2EEffffjfiS5_IjLj3EEiiiiiiiiiiiliiliiiiil
		.amdhsa_group_segment_fixed_size 21504
		.amdhsa_private_segment_fixed_size 32
		.amdhsa_kernarg_size 464
		.amdhsa_user_sgpr_count 8
		.amdhsa_user_sgpr_private_segment_buffer 1
		.amdhsa_user_sgpr_dispatch_ptr 0
		.amdhsa_user_sgpr_queue_ptr 0
		.amdhsa_user_sgpr_kernarg_segment_ptr 1
		.amdhsa_user_sgpr_dispatch_id 0
		.amdhsa_user_sgpr_flat_scratch_init 1
		.amdhsa_user_sgpr_private_segment_size 0
		.amdhsa_wavefront_size32 1
		.amdhsa_uses_dynamic_stack 0
		.amdhsa_system_sgpr_private_segment_wavefront_offset 1
		.amdhsa_system_sgpr_workgroup_id_x 1
		.amdhsa_system_sgpr_workgroup_id_y 1
		.amdhsa_system_sgpr_workgroup_id_z 1
		.amdhsa_system_sgpr_workgroup_info 0
		.amdhsa_system_vgpr_workitem_id 1
		.amdhsa_next_free_vgpr 145
		.amdhsa_next_free_sgpr 53
		.amdhsa_reserve_vcc 1
		.amdhsa_reserve_flat_scratch 1
		.amdhsa_float_round_mode_32 0
		.amdhsa_float_round_mode_16_64 0
		.amdhsa_float_denorm_mode_32 3
		.amdhsa_float_denorm_mode_16_64 3
		.amdhsa_dx10_clamp 1
		.amdhsa_ieee_mode 1
		.amdhsa_fp16_overflow 0
		.amdhsa_workgroup_processor_mode 1
		.amdhsa_memory_ordered 1
		.amdhsa_forward_progress 1
		.amdhsa_shared_vgpr_count 0
		.amdhsa_exception_fp_ieee_invalid_op 0
		.amdhsa_exception_fp_denorm_src 0
		.amdhsa_exception_fp_ieee_div_zero 0
		.amdhsa_exception_fp_ieee_overflow 0
		.amdhsa_exception_fp_ieee_underflow 0
		.amdhsa_exception_fp_ieee_inexact 0
		.amdhsa_exception_int_div_zero 0
	.end_amdhsa_kernel
	.section	.text._ZL15flash_attn_tileILi64ELi64ELi8ELi1ELb0EEvPKcS1_S1_S1_S1_PKiPfP15HIP_vector_typeIfLj2EEffffjfiS5_IjLj3EEiiiiiiiiiiiliiliiiiil,"axG",@progbits,_ZL15flash_attn_tileILi64ELi64ELi8ELi1ELb0EEvPKcS1_S1_S1_S1_PKiPfP15HIP_vector_typeIfLj2EEffffjfiS5_IjLj3EEiiiiiiiiiiiliiliiiiil,comdat
.Lfunc_end62:
	.size	_ZL15flash_attn_tileILi64ELi64ELi8ELi1ELb0EEvPKcS1_S1_S1_S1_PKiPfP15HIP_vector_typeIfLj2EEffffjfiS5_IjLj3EEiiiiiiiiiiiliiliiiiil, .Lfunc_end62-_ZL15flash_attn_tileILi64ELi64ELi8ELi1ELb0EEvPKcS1_S1_S1_S1_PKiPfP15HIP_vector_typeIfLj2EEffffjfiS5_IjLj3EEiiiiiiiiiiiliiliiiiil
                                        ; -- End function
	.set _ZL15flash_attn_tileILi64ELi64ELi8ELi1ELb0EEvPKcS1_S1_S1_S1_PKiPfP15HIP_vector_typeIfLj2EEffffjfiS5_IjLj3EEiiiiiiiiiiiliiliiiiil.num_vgpr, 137
	.set _ZL15flash_attn_tileILi64ELi64ELi8ELi1ELb0EEvPKcS1_S1_S1_S1_PKiPfP15HIP_vector_typeIfLj2EEffffjfiS5_IjLj3EEiiiiiiiiiiiliiliiiiil.num_agpr, 0
	.set _ZL15flash_attn_tileILi64ELi64ELi8ELi1ELb0EEvPKcS1_S1_S1_S1_PKiPfP15HIP_vector_typeIfLj2EEffffjfiS5_IjLj3EEiiiiiiiiiiiliiliiiiil.numbered_sgpr, 53
	.set _ZL15flash_attn_tileILi64ELi64ELi8ELi1ELb0EEvPKcS1_S1_S1_S1_PKiPfP15HIP_vector_typeIfLj2EEffffjfiS5_IjLj3EEiiiiiiiiiiiliiliiiiil.num_named_barrier, 0
	.set _ZL15flash_attn_tileILi64ELi64ELi8ELi1ELb0EEvPKcS1_S1_S1_S1_PKiPfP15HIP_vector_typeIfLj2EEffffjfiS5_IjLj3EEiiiiiiiiiiiliiliiiiil.private_seg_size, 32
	.set _ZL15flash_attn_tileILi64ELi64ELi8ELi1ELb0EEvPKcS1_S1_S1_S1_PKiPfP15HIP_vector_typeIfLj2EEffffjfiS5_IjLj3EEiiiiiiiiiiiliiliiiiil.uses_vcc, 1
	.set _ZL15flash_attn_tileILi64ELi64ELi8ELi1ELb0EEvPKcS1_S1_S1_S1_PKiPfP15HIP_vector_typeIfLj2EEffffjfiS5_IjLj3EEiiiiiiiiiiiliiliiiiil.uses_flat_scratch, 1
	.set _ZL15flash_attn_tileILi64ELi64ELi8ELi1ELb0EEvPKcS1_S1_S1_S1_PKiPfP15HIP_vector_typeIfLj2EEffffjfiS5_IjLj3EEiiiiiiiiiiiliiliiiiil.has_dyn_sized_stack, 0
	.set _ZL15flash_attn_tileILi64ELi64ELi8ELi1ELb0EEvPKcS1_S1_S1_S1_PKiPfP15HIP_vector_typeIfLj2EEffffjfiS5_IjLj3EEiiiiiiiiiiiliiliiiiil.has_recursion, 0
	.set _ZL15flash_attn_tileILi64ELi64ELi8ELi1ELb0EEvPKcS1_S1_S1_S1_PKiPfP15HIP_vector_typeIfLj2EEffffjfiS5_IjLj3EEiiiiiiiiiiiliiliiiiil.has_indirect_call, 0
	.section	.AMDGPU.csdata,"",@progbits
; Kernel info:
; codeLenInByte = 33808
; TotalNumSgprs: 55
; NumVgprs: 137
; ScratchSize: 32
; MemoryBound: 0
; FloatMode: 240
; IeeeMode: 1
; LDSByteSize: 21504 bytes/workgroup (compile time only)
; SGPRBlocks: 0
; VGPRBlocks: 18
; NumSGPRsForWavesPerEU: 55
; NumVGPRsForWavesPerEU: 145
; Occupancy: 6
; WaveLimiterHint : 1
; COMPUTE_PGM_RSRC2:SCRATCH_EN: 1
; COMPUTE_PGM_RSRC2:USER_SGPR: 8
; COMPUTE_PGM_RSRC2:TRAP_HANDLER: 0
; COMPUTE_PGM_RSRC2:TGID_X_EN: 1
; COMPUTE_PGM_RSRC2:TGID_Y_EN: 1
; COMPUTE_PGM_RSRC2:TGID_Z_EN: 1
; COMPUTE_PGM_RSRC2:TIDIG_COMP_CNT: 1
	.section	.text._ZL33flash_attn_stream_k_fixup_uniformILi64ELi8ELi1EEvPfPK15HIP_vector_typeIfLj2EEiiiiiiS1_IjLj3EES5_S5_,"axG",@progbits,_ZL33flash_attn_stream_k_fixup_uniformILi64ELi8ELi1EEvPfPK15HIP_vector_typeIfLj2EEiiiiiiS1_IjLj3EES5_S5_,comdat
	.globl	_ZL33flash_attn_stream_k_fixup_uniformILi64ELi8ELi1EEvPfPK15HIP_vector_typeIfLj2EEiiiiiiS1_IjLj3EES5_S5_ ; -- Begin function _ZL33flash_attn_stream_k_fixup_uniformILi64ELi8ELi1EEvPfPK15HIP_vector_typeIfLj2EEiiiiiiS1_IjLj3EES5_S5_
	.p2align	8
	.type	_ZL33flash_attn_stream_k_fixup_uniformILi64ELi8ELi1EEvPfPK15HIP_vector_typeIfLj2EEiiiiiiS1_IjLj3EES5_S5_,@function
_ZL33flash_attn_stream_k_fixup_uniformILi64ELi8ELi1EEvPfPK15HIP_vector_typeIfLj2EEiiiiiiS1_IjLj3EES5_S5_: ; @_ZL33flash_attn_stream_k_fixup_uniformILi64ELi8ELi1EEvPfPK15HIP_vector_typeIfLj2EEiiiiiiS1_IjLj3EES5_S5_
; %bb.0:
	s_clause 0x2
	s_load_dwordx8 s[12:19], s[4:5], 0x1c
	s_load_dwordx4 s[20:23], s[4:5], 0x3c
	s_load_dwordx2 s[10:11], s[4:5], 0x10
	s_waitcnt lgkmcnt(0)
	s_mul_hi_u32 s0, s15, s6
	s_add_i32 s0, s6, s0
	s_lshr_b32 s0, s0, s16
	s_mul_i32 s1, s0, s17
	s_sub_i32 s2, s6, s1
	s_mul_hi_u32 s1, s2, s18
	s_add_i32 s1, s2, s1
	s_lshr_b32 s1, s1, s19
	s_mul_i32 s3, s1, s20
	s_sub_i32 s2, s2, s3
	;; [unrolled: 5-line block ×3, first 2 shown]
	s_lshl_b32 s2, s15, 3
	s_add_i32 s2, s2, s7
	s_cmp_lt_i32 s2, s10
	s_cselect_b32 s2, -1, 0
	s_add_i32 s3, s9, s8
	s_cmp_lt_i32 s3, s13
	s_cselect_b32 s3, -1, 0
	s_and_b32 s2, s2, s3
	s_andn2_b32 vcc_lo, exec_lo, s2
	s_cbranch_vccnz .LBB63_6
; %bb.1:
	s_mul_i32 s0, s0, s10
	s_mul_i32 s10, s1, s13
	s_add_i32 s0, s0, s7
	s_mul_i32 s0, s0, s11
	s_add_i32 s13, s0, s8
	s_load_dwordx4 s[0:3], s[4:5], 0x0
	s_add_i32 s4, s13, s10
	s_mul_i32 s5, s11, s15
	s_add_i32 s4, s4, s9
	s_lshl_b32 s5, s5, 9
	s_lshl_b32 s4, s4, 6
	s_add_i32 s8, s7, s8
	s_add_i32 s5, s5, s4
	s_mul_i32 s4, s14, s6
	v_or_b32_e32 v1, s5, v0
	s_add_i32 s9, s4, s14
	v_ashrrev_i32_e32 v2, 31, v1
	v_lshlrev_b64 v[1:2], 2, v[1:2]
	s_waitcnt lgkmcnt(0)
	v_add_co_u32 v1, vcc_lo, s0, v1
	v_add_co_ci_u32_e64 v2, null, s1, v2, vcc_lo
	s_lshl_b32 s0, s9, 3
	s_add_i32 s0, s8, s0
	global_load_dword v5, v[1:2], off
	s_add_i32 s0, s0, -8
	s_ashr_i32 s1, s0, 31
	s_lshl_b64 s[0:1], s[0:1], 3
	s_add_u32 s0, s2, s0
	s_addc_u32 s1, s3, s1
	s_add_i32 s5, s9, -2
	s_load_dword s10, s[0:1], 0x4
	s_cmp_lt_i32 s5, s4
	s_cbranch_scc1 .LBB63_4
; %bb.2:
	s_lshl_b32 s16, s12, 5
	s_load_dword s11, s[0:1], 0x0
	s_ashr_i32 s17, s16, 31
	s_waitcnt lgkmcnt(0)
	v_mov_b32_e32 v6, s10
	s_lshl_b64 s[0:1], s[16:17], 2
	s_add_u32 s5, s2, s0
	s_addc_u32 s7, s3, s1
	s_add_i32 s6, s6, 1
	s_lshl_b32 s1, s8, 6
	s_mul_i32 s0, s14, s6
	s_lshl_b32 s6, s0, 9
	s_lshl_b32 s0, s0, 3
	s_add_i32 s1, s1, s6
	s_add_i32 s0, s8, s0
	v_or_b32_e32 v0, s1, v0
	s_lshl_b32 s1, s12, 3
	s_add_i32 s6, s9, -1
	s_add_i32 s0, s0, s1
	v_add_nc_u32_e32 v3, 0xfffffc00, v0
	v_mov_b32_e32 v0, s11
	s_add_i32 s0, s0, -16
.LBB63_3:                               ; =>This Inner Loop Header: Depth=1
	v_ashrrev_i32_e32 v4, 31, v3
	s_ashr_i32 s1, s0, 31
	s_lshl_b64 s[8:9], s[0:1], 3
	s_add_u32 s8, s2, s8
	v_lshlrev_b64 v[7:8], 2, v[3:4]
	s_addc_u32 s9, s3, s9
	v_add_nc_u32_e32 v3, 0xfffffe00, v3
	s_add_i32 s6, s6, -1
	s_add_i32 s0, s0, -8
	s_cmp_le_i32 s6, s4
	v_add_co_u32 v7, vcc_lo, s5, v7
	v_add_co_ci_u32_e64 v8, null, s7, v8, vcc_lo
	s_load_dwordx2 s[8:9], s[8:9], 0x0
	global_load_dword v4, v[7:8], off
	v_max_f32_e32 v7, v0, v0
	s_waitcnt lgkmcnt(0)
	v_max_f32_e64 v8, s8, s8
	v_max_f32_e32 v7, v7, v8
	v_sub_f32_e32 v8, s8, v7
	v_sub_f32_e32 v0, v0, v7
	v_mul_f32_e32 v9, 0x3fb8aa3b, v8
	v_mul_f32_e32 v12, 0x3fb8aa3b, v0
	v_cmp_ngt_f32_e32 vcc_lo, 0xc2ce8ed0, v8
	v_fma_f32 v10, 0x3fb8aa3b, v8, -v9
	v_rndne_f32_e32 v11, v9
	v_fma_f32 v13, 0x3fb8aa3b, v0, -v12
	v_rndne_f32_e32 v14, v12
	v_fmac_f32_e32 v10, 0x32a5705f, v8
	v_sub_f32_e32 v9, v9, v11
	v_fmac_f32_e32 v13, 0x32a5705f, v0
	v_cvt_i32_f32_e32 v11, v11
	v_add_f32_e32 v9, v9, v10
	v_sub_f32_e32 v10, v12, v14
	v_exp_f32_e32 v9, v9
	v_add_f32_e32 v10, v10, v13
	v_exp_f32_e32 v10, v10
	v_ldexp_f32 v9, v9, v11
	v_cvt_i32_f32_e32 v11, v14
	v_cndmask_b32_e32 v9, 0, v9, vcc_lo
	v_cmp_nlt_f32_e32 vcc_lo, 0x42b17218, v8
	v_ldexp_f32 v10, v10, v11
	v_mov_b32_e32 v11, v6
	v_cndmask_b32_e32 v9, 0x7f800000, v9, vcc_lo
	v_cmp_ngt_f32_e32 vcc_lo, 0xc2ce8ed0, v0
	v_cndmask_b32_e32 v10, 0, v10, vcc_lo
	v_cmp_le_f32_e32 vcc_lo, 0xc1a00000, v8
	v_cndmask_b32_e32 v8, 0, v9, vcc_lo
	v_cmp_nlt_f32_e32 vcc_lo, 0x42b17218, v0
	s_waitcnt vmcnt(1)
	v_mov_b32_e32 v9, v5
	v_cndmask_b32_e32 v5, 0x7f800000, v10, vcc_lo
	v_mul_f32_e32 v10, s9, v8
	v_cmp_le_f32_e32 vcc_lo, 0xc1a00000, v0
	v_mov_b32_e32 v0, v7
	v_mov_b32_e32 v6, v10
	v_cndmask_b32_e32 v12, 0, v5, vcc_lo
	v_fmac_f32_e32 v6, v11, v12
	s_waitcnt vmcnt(0)
	v_mul_f32_e32 v5, v4, v8
	v_fmac_f32_e32 v5, v9, v12
	s_cbranch_scc0 .LBB63_3
	s_branch .LBB63_5
.LBB63_4:
	s_waitcnt lgkmcnt(0)
	v_mov_b32_e32 v6, s10
.LBB63_5:
	s_waitcnt vmcnt(0)
	v_div_scale_f32 v0, null, v6, v6, v5
	v_rcp_f32_e32 v3, v0
	v_fma_f32 v4, -v0, v3, 1.0
	v_fmac_f32_e32 v3, v4, v3
	v_div_scale_f32 v4, vcc_lo, v5, v6, v5
	v_mul_f32_e32 v7, v4, v3
	v_fma_f32 v8, -v0, v7, v4
	v_fmac_f32_e32 v7, v8, v3
	v_fma_f32 v0, -v0, v7, v4
	v_div_fmas_f32 v0, v0, v3, v7
	v_div_fixup_f32 v0, v0, v6, v5
	global_store_dword v[1:2], v0, off
.LBB63_6:
	s_endpgm
	.section	.rodata,"a",@progbits
	.p2align	6, 0x0
	.amdhsa_kernel _ZL33flash_attn_stream_k_fixup_uniformILi64ELi8ELi1EEvPfPK15HIP_vector_typeIfLj2EEiiiiiiS1_IjLj3EES5_S5_
		.amdhsa_group_segment_fixed_size 0
		.amdhsa_private_segment_fixed_size 0
		.amdhsa_kernarg_size 76
		.amdhsa_user_sgpr_count 6
		.amdhsa_user_sgpr_private_segment_buffer 1
		.amdhsa_user_sgpr_dispatch_ptr 0
		.amdhsa_user_sgpr_queue_ptr 0
		.amdhsa_user_sgpr_kernarg_segment_ptr 1
		.amdhsa_user_sgpr_dispatch_id 0
		.amdhsa_user_sgpr_flat_scratch_init 0
		.amdhsa_user_sgpr_private_segment_size 0
		.amdhsa_wavefront_size32 1
		.amdhsa_uses_dynamic_stack 0
		.amdhsa_system_sgpr_private_segment_wavefront_offset 0
		.amdhsa_system_sgpr_workgroup_id_x 1
		.amdhsa_system_sgpr_workgroup_id_y 1
		.amdhsa_system_sgpr_workgroup_id_z 1
		.amdhsa_system_sgpr_workgroup_info 0
		.amdhsa_system_vgpr_workitem_id 0
		.amdhsa_next_free_vgpr 15
		.amdhsa_next_free_sgpr 24
		.amdhsa_reserve_vcc 1
		.amdhsa_reserve_flat_scratch 0
		.amdhsa_float_round_mode_32 0
		.amdhsa_float_round_mode_16_64 0
		.amdhsa_float_denorm_mode_32 3
		.amdhsa_float_denorm_mode_16_64 3
		.amdhsa_dx10_clamp 1
		.amdhsa_ieee_mode 1
		.amdhsa_fp16_overflow 0
		.amdhsa_workgroup_processor_mode 1
		.amdhsa_memory_ordered 1
		.amdhsa_forward_progress 1
		.amdhsa_shared_vgpr_count 0
		.amdhsa_exception_fp_ieee_invalid_op 0
		.amdhsa_exception_fp_denorm_src 0
		.amdhsa_exception_fp_ieee_div_zero 0
		.amdhsa_exception_fp_ieee_overflow 0
		.amdhsa_exception_fp_ieee_underflow 0
		.amdhsa_exception_fp_ieee_inexact 0
		.amdhsa_exception_int_div_zero 0
	.end_amdhsa_kernel
	.section	.text._ZL33flash_attn_stream_k_fixup_uniformILi64ELi8ELi1EEvPfPK15HIP_vector_typeIfLj2EEiiiiiiS1_IjLj3EES5_S5_,"axG",@progbits,_ZL33flash_attn_stream_k_fixup_uniformILi64ELi8ELi1EEvPfPK15HIP_vector_typeIfLj2EEiiiiiiS1_IjLj3EES5_S5_,comdat
.Lfunc_end63:
	.size	_ZL33flash_attn_stream_k_fixup_uniformILi64ELi8ELi1EEvPfPK15HIP_vector_typeIfLj2EEiiiiiiS1_IjLj3EES5_S5_, .Lfunc_end63-_ZL33flash_attn_stream_k_fixup_uniformILi64ELi8ELi1EEvPfPK15HIP_vector_typeIfLj2EEiiiiiiS1_IjLj3EES5_S5_
                                        ; -- End function
	.set _ZL33flash_attn_stream_k_fixup_uniformILi64ELi8ELi1EEvPfPK15HIP_vector_typeIfLj2EEiiiiiiS1_IjLj3EES5_S5_.num_vgpr, 15
	.set _ZL33flash_attn_stream_k_fixup_uniformILi64ELi8ELi1EEvPfPK15HIP_vector_typeIfLj2EEiiiiiiS1_IjLj3EES5_S5_.num_agpr, 0
	.set _ZL33flash_attn_stream_k_fixup_uniformILi64ELi8ELi1EEvPfPK15HIP_vector_typeIfLj2EEiiiiiiS1_IjLj3EES5_S5_.numbered_sgpr, 24
	.set _ZL33flash_attn_stream_k_fixup_uniformILi64ELi8ELi1EEvPfPK15HIP_vector_typeIfLj2EEiiiiiiS1_IjLj3EES5_S5_.num_named_barrier, 0
	.set _ZL33flash_attn_stream_k_fixup_uniformILi64ELi8ELi1EEvPfPK15HIP_vector_typeIfLj2EEiiiiiiS1_IjLj3EES5_S5_.private_seg_size, 0
	.set _ZL33flash_attn_stream_k_fixup_uniformILi64ELi8ELi1EEvPfPK15HIP_vector_typeIfLj2EEiiiiiiS1_IjLj3EES5_S5_.uses_vcc, 1
	.set _ZL33flash_attn_stream_k_fixup_uniformILi64ELi8ELi1EEvPfPK15HIP_vector_typeIfLj2EEiiiiiiS1_IjLj3EES5_S5_.uses_flat_scratch, 0
	.set _ZL33flash_attn_stream_k_fixup_uniformILi64ELi8ELi1EEvPfPK15HIP_vector_typeIfLj2EEiiiiiiS1_IjLj3EES5_S5_.has_dyn_sized_stack, 0
	.set _ZL33flash_attn_stream_k_fixup_uniformILi64ELi8ELi1EEvPfPK15HIP_vector_typeIfLj2EEiiiiiiS1_IjLj3EES5_S5_.has_recursion, 0
	.set _ZL33flash_attn_stream_k_fixup_uniformILi64ELi8ELi1EEvPfPK15HIP_vector_typeIfLj2EEiiiiiiS1_IjLj3EES5_S5_.has_indirect_call, 0
	.section	.AMDGPU.csdata,"",@progbits
; Kernel info:
; codeLenInByte = 828
; TotalNumSgprs: 26
; NumVgprs: 15
; ScratchSize: 0
; MemoryBound: 0
; FloatMode: 240
; IeeeMode: 1
; LDSByteSize: 0 bytes/workgroup (compile time only)
; SGPRBlocks: 0
; VGPRBlocks: 1
; NumSGPRsForWavesPerEU: 26
; NumVGPRsForWavesPerEU: 15
; Occupancy: 16
; WaveLimiterHint : 0
; COMPUTE_PGM_RSRC2:SCRATCH_EN: 0
; COMPUTE_PGM_RSRC2:USER_SGPR: 6
; COMPUTE_PGM_RSRC2:TRAP_HANDLER: 0
; COMPUTE_PGM_RSRC2:TGID_X_EN: 1
; COMPUTE_PGM_RSRC2:TGID_Y_EN: 1
; COMPUTE_PGM_RSRC2:TGID_Z_EN: 1
; COMPUTE_PGM_RSRC2:TIDIG_COMP_CNT: 0
	.section	.text._ZL33flash_attn_stream_k_fixup_generalILi64ELi8ELi1EEvPfPK15HIP_vector_typeIfLj2EEiiiiS1_IjLj3EES5_S5_S5_,"axG",@progbits,_ZL33flash_attn_stream_k_fixup_generalILi64ELi8ELi1EEvPfPK15HIP_vector_typeIfLj2EEiiiiS1_IjLj3EES5_S5_S5_,comdat
	.globl	_ZL33flash_attn_stream_k_fixup_generalILi64ELi8ELi1EEvPfPK15HIP_vector_typeIfLj2EEiiiiS1_IjLj3EES5_S5_S5_ ; -- Begin function _ZL33flash_attn_stream_k_fixup_generalILi64ELi8ELi1EEvPfPK15HIP_vector_typeIfLj2EEiiiiS1_IjLj3EES5_S5_S5_
	.p2align	8
	.type	_ZL33flash_attn_stream_k_fixup_generalILi64ELi8ELi1EEvPfPK15HIP_vector_typeIfLj2EEiiiiS1_IjLj3EES5_S5_S5_,@function
_ZL33flash_attn_stream_k_fixup_generalILi64ELi8ELi1EEvPfPK15HIP_vector_typeIfLj2EEiiiiS1_IjLj3EES5_S5_S5_: ; @_ZL33flash_attn_stream_k_fixup_generalILi64ELi8ELi1EEvPfPK15HIP_vector_typeIfLj2EEiiiiS1_IjLj3EES5_S5_S5_
; %bb.0:
	s_clause 0x1
	s_load_dwordx4 s[0:3], s[4:5], 0x10
	s_load_dword s9, s[4:5], 0x50
	s_mov_b32 s16, 0
	s_waitcnt lgkmcnt(0)
	s_mul_hi_i32 s17, s3, s6
	s_mul_i32 s18, s3, s6
	s_cmp_lg_u64 s[16:17], 0
	s_cbranch_scc0 .LBB64_21
; %bb.1:
	s_add_u32 s10, s9, 0
	s_addc_u32 s11, 0, 0
	s_xor_b64 s[10:11], s[10:11], 0
	v_cvt_f32_u32_e32 v1, s10
	v_cvt_f32_u32_e32 v2, s11
	s_sub_u32 s14, 0, s10
	s_subb_u32 s15, 0, s11
	v_fmamk_f32 v1, v2, 0x4f800000, v1
	v_rcp_f32_e32 v1, v1
	v_mul_f32_e32 v1, 0x5f7ffffc, v1
	v_mul_f32_e32 v2, 0x2f800000, v1
	v_trunc_f32_e32 v2, v2
	v_fmamk_f32 v1, v2, 0xcf800000, v1
	v_cvt_u32_f32_e32 v2, v2
	v_cvt_u32_f32_e32 v1, v1
	v_readfirstlane_b32 s12, v2
	v_readfirstlane_b32 s13, v1
	s_mul_i32 s19, s14, s12
	s_mul_hi_u32 s21, s14, s13
	s_mul_i32 s20, s15, s13
	s_add_i32 s19, s21, s19
	s_mul_i32 s22, s14, s13
	s_add_i32 s19, s19, s20
	s_mul_hi_u32 s21, s13, s22
	s_mul_i32 s24, s13, s19
	s_mul_hi_u32 s23, s12, s22
	s_mul_i32 s20, s12, s22
	s_mul_hi_u32 s22, s13, s19
	s_add_u32 s21, s21, s24
	s_addc_u32 s22, 0, s22
	s_mul_hi_u32 s25, s12, s19
	s_add_u32 s20, s21, s20
	s_mul_i32 s19, s12, s19
	s_addc_u32 s20, s22, s23
	s_addc_u32 s21, s25, 0
	s_add_u32 s19, s20, s19
	s_addc_u32 s20, 0, s21
	s_add_u32 s13, s13, s19
	s_cselect_b32 s19, -1, 0
	s_mul_hi_u32 s21, s14, s13
	s_cmp_lg_u32 s19, 0
	s_mul_i32 s19, s14, s13
	s_addc_u32 s12, s12, s20
	s_mul_i32 s15, s15, s13
	s_mul_i32 s14, s14, s12
	s_mul_hi_u32 s20, s13, s19
	s_add_i32 s14, s21, s14
	s_mul_hi_u32 s21, s12, s19
	s_add_i32 s14, s14, s15
	s_mul_i32 s15, s12, s19
	s_mul_i32 s23, s13, s14
	s_mul_hi_u32 s22, s13, s14
	s_add_u32 s20, s20, s23
	s_addc_u32 s22, 0, s22
	s_mul_hi_u32 s19, s12, s14
	s_add_u32 s15, s20, s15
	s_mul_i32 s14, s12, s14
	s_addc_u32 s15, s22, s21
	s_addc_u32 s19, s19, 0
	s_add_u32 s14, s15, s14
	s_addc_u32 s15, 0, s19
	s_add_u32 s19, s13, s14
	s_cselect_b32 s13, -1, 0
	s_cmp_lg_u32 s13, 0
	s_addc_u32 s20, s12, s15
	s_ashr_i32 s12, s17, 31
	s_add_u32 s14, s18, s12
	s_mov_b32 s13, s12
	s_addc_u32 s15, s17, s12
	s_xor_b64 s[14:15], s[14:15], s[12:13]
	s_mul_i32 s21, s14, s20
	s_mul_hi_u32 s22, s14, s19
	s_mul_hi_u32 s17, s14, s20
	;; [unrolled: 1-line block ×3, first 2 shown]
	s_mul_i32 s19, s15, s19
	s_add_u32 s21, s22, s21
	s_addc_u32 s17, 0, s17
	s_mul_hi_u32 s23, s15, s20
	s_add_u32 s19, s21, s19
	s_mul_i32 s20, s15, s20
	s_addc_u32 s17, s17, s24
	s_addc_u32 s19, s23, 0
	s_add_u32 s17, s17, s20
	s_addc_u32 s19, 0, s19
	s_mul_hi_u32 s20, s10, s17
	s_mul_i32 s21, s10, s19
	s_mul_i32 s22, s11, s17
	s_add_i32 s20, s20, s21
	s_mul_i32 s21, s10, s17
	s_add_i32 s20, s20, s22
	s_sub_i32 s22, s15, s20
	s_sub_u32 s14, s14, s21
	s_cselect_b32 s21, -1, 0
	s_cmp_lg_u32 s21, 0
	s_subb_u32 s22, s22, s11
	s_sub_u32 s23, s14, s10
	s_cselect_b32 s24, -1, 0
	s_cmp_lg_u32 s24, 0
	s_subb_u32 s22, s22, 0
	s_cmp_ge_u32 s22, s11
	s_cselect_b32 s24, -1, 0
	s_cmp_ge_u32 s23, s10
	s_cselect_b32 s23, -1, 0
	s_cmp_eq_u32 s22, s11
	s_cselect_b32 s22, s23, s24
	s_add_u32 s23, s17, 1
	s_addc_u32 s24, s19, 0
	s_add_u32 s25, s17, 2
	s_addc_u32 s26, s19, 0
	s_cmp_lg_u32 s22, 0
	s_cselect_b32 s22, s25, s23
	s_cselect_b32 s23, s26, s24
	s_cmp_lg_u32 s21, 0
	s_subb_u32 s15, s15, s20
	s_cmp_ge_u32 s15, s11
	s_cselect_b32 s20, -1, 0
	s_cmp_ge_u32 s14, s10
	s_cselect_b32 s10, -1, 0
	s_cmp_eq_u32 s15, s11
	s_cselect_b32 s10, s10, s20
	s_cmp_lg_u32 s10, 0
	s_cselect_b32 s11, s23, s19
	s_cselect_b32 s10, s22, s17
	s_xor_b64 s[12:13], s[12:13], 0
	s_xor_b64 s[10:11], s[10:11], s[12:13]
	s_sub_u32 s10, s10, s12
	s_load_dwordx4 s[12:15], s[4:5], 0x44
	s_andn2_b32 vcc_lo, exec_lo, s16
	s_cbranch_vccnz .LBB64_3
.LBB64_2:
	v_cvt_f32_u32_e32 v1, s9
	s_sub_i32 s11, 0, s9
	v_rcp_iflag_f32_e32 v1, v1
	v_mul_f32_e32 v1, 0x4f7ffffe, v1
	v_cvt_u32_f32_e32 v1, v1
	v_readfirstlane_b32 s10, v1
	s_mul_i32 s11, s11, s10
	s_mul_hi_u32 s11, s10, s11
	s_add_i32 s10, s10, s11
	s_mul_hi_u32 s10, s18, s10
	s_mul_i32 s11, s10, s9
	s_waitcnt lgkmcnt(0)
	s_add_i32 s15, s10, 1
	s_sub_i32 s11, s18, s11
	s_sub_i32 s16, s11, s9
	s_cmp_ge_u32 s11, s9
	s_cselect_b32 s10, s15, s10
	s_cselect_b32 s11, s16, s11
	s_add_i32 s15, s10, 1
	s_cmp_ge_u32 s11, s9
	s_cselect_b32 s10, s15, s10
.LBB64_3:
	s_add_i32 s11, s6, 1
	s_mov_b32 s16, 0
	s_mul_hi_i32 s17, s3, s11
	s_mul_i32 s11, s3, s11
	s_cmp_lg_u64 s[16:17], 0
	s_cbranch_scc0 .LBB64_22
; %bb.4:
	s_add_u32 s18, s9, 0
	s_addc_u32 s19, 0, 0
	s_xor_b64 s[18:19], s[18:19], 0
	v_cvt_f32_u32_e32 v1, s18
	v_cvt_f32_u32_e32 v2, s19
	s_sub_u32 s21, 0, s18
	s_subb_u32 s22, 0, s19
	v_fmamk_f32 v1, v2, 0x4f800000, v1
	v_rcp_f32_e32 v1, v1
	v_mul_f32_e32 v1, 0x5f7ffffc, v1
	v_mul_f32_e32 v2, 0x2f800000, v1
	v_trunc_f32_e32 v2, v2
	v_fmamk_f32 v1, v2, 0xcf800000, v1
	v_cvt_u32_f32_e32 v2, v2
	v_cvt_u32_f32_e32 v1, v1
	s_waitcnt lgkmcnt(0)
	v_readfirstlane_b32 s15, v2
	v_readfirstlane_b32 s20, v1
	s_mul_i32 s23, s21, s15
	s_mul_hi_u32 s25, s21, s20
	s_mul_i32 s24, s22, s20
	s_add_i32 s23, s25, s23
	s_mul_i32 s26, s21, s20
	s_add_i32 s23, s23, s24
	s_mul_hi_u32 s25, s20, s26
	s_mul_i32 s28, s20, s23
	s_mul_hi_u32 s27, s15, s26
	s_mul_i32 s24, s15, s26
	s_mul_hi_u32 s26, s20, s23
	s_add_u32 s25, s25, s28
	s_addc_u32 s26, 0, s26
	s_mul_hi_u32 s29, s15, s23
	s_add_u32 s24, s25, s24
	s_mul_i32 s23, s15, s23
	s_addc_u32 s24, s26, s27
	s_addc_u32 s25, s29, 0
	s_add_u32 s23, s24, s23
	s_addc_u32 s24, 0, s25
	s_add_u32 s20, s20, s23
	s_cselect_b32 s23, -1, 0
	s_mul_hi_u32 s25, s21, s20
	s_cmp_lg_u32 s23, 0
	s_mul_i32 s23, s21, s20
	s_addc_u32 s15, s15, s24
	s_mul_i32 s22, s22, s20
	s_mul_i32 s21, s21, s15
	s_mul_hi_u32 s24, s20, s23
	s_add_i32 s21, s25, s21
	s_mul_hi_u32 s25, s15, s23
	s_add_i32 s21, s21, s22
	s_mul_i32 s22, s15, s23
	s_mul_i32 s27, s20, s21
	s_mul_hi_u32 s26, s20, s21
	s_add_u32 s24, s24, s27
	s_addc_u32 s26, 0, s26
	s_mul_hi_u32 s23, s15, s21
	s_add_u32 s22, s24, s22
	s_mul_i32 s21, s15, s21
	s_addc_u32 s22, s26, s25
	s_addc_u32 s23, s23, 0
	s_add_u32 s21, s22, s21
	s_addc_u32 s22, 0, s23
	s_add_u32 s24, s20, s21
	s_cselect_b32 s20, -1, 0
	s_cmp_lg_u32 s20, 0
	s_addc_u32 s15, s15, s22
	s_ashr_i32 s20, s17, 31
	s_add_u32 s22, s11, s20
	s_mov_b32 s21, s20
	s_addc_u32 s23, s17, s20
	s_xor_b64 s[22:23], s[22:23], s[20:21]
	s_mul_i32 s25, s22, s15
	s_mul_hi_u32 s26, s22, s24
	s_mul_hi_u32 s17, s22, s15
	;; [unrolled: 1-line block ×3, first 2 shown]
	s_mul_i32 s24, s23, s24
	s_add_u32 s25, s26, s25
	s_addc_u32 s17, 0, s17
	s_mul_hi_u32 s27, s23, s15
	s_add_u32 s24, s25, s24
	s_mul_i32 s15, s23, s15
	s_addc_u32 s17, s17, s28
	s_addc_u32 s24, s27, 0
	s_add_u32 s15, s17, s15
	s_addc_u32 s17, 0, s24
	s_mul_hi_u32 s24, s18, s15
	s_mul_i32 s25, s18, s17
	s_mul_i32 s26, s19, s15
	s_add_i32 s24, s24, s25
	s_mul_i32 s25, s18, s15
	s_add_i32 s24, s24, s26
	s_sub_i32 s26, s23, s24
	s_sub_u32 s22, s22, s25
	s_cselect_b32 s25, -1, 0
	s_cmp_lg_u32 s25, 0
	s_subb_u32 s26, s26, s19
	s_sub_u32 s27, s22, s18
	s_cselect_b32 s28, -1, 0
	s_cmp_lg_u32 s28, 0
	s_subb_u32 s26, s26, 0
	s_cmp_ge_u32 s26, s19
	s_cselect_b32 s28, -1, 0
	s_cmp_ge_u32 s27, s18
	s_cselect_b32 s27, -1, 0
	s_cmp_eq_u32 s26, s19
	s_cselect_b32 s26, s27, s28
	s_add_u32 s27, s15, 1
	s_addc_u32 s28, s17, 0
	s_add_u32 s29, s15, 2
	s_addc_u32 s30, s17, 0
	s_cmp_lg_u32 s26, 0
	s_cselect_b32 s26, s29, s27
	s_cselect_b32 s27, s30, s28
	s_cmp_lg_u32 s25, 0
	s_subb_u32 s23, s23, s24
	s_cmp_ge_u32 s23, s19
	s_cselect_b32 s24, -1, 0
	s_cmp_ge_u32 s22, s18
	s_cselect_b32 s18, -1, 0
	s_cmp_eq_u32 s23, s19
	s_cselect_b32 s18, s18, s24
	s_cmp_lg_u32 s18, 0
	s_cselect_b32 s19, s27, s17
	s_cselect_b32 s18, s26, s15
	s_xor_b64 s[20:21], s[20:21], 0
	s_xor_b64 s[18:19], s[18:19], s[20:21]
	s_sub_u32 s18, s18, s20
	s_andn2_b32 vcc_lo, exec_lo, s16
	s_cbranch_vccnz .LBB64_6
.LBB64_5:
	v_cvt_f32_u32_e32 v1, s9
	s_sub_i32 s16, 0, s9
	v_rcp_iflag_f32_e32 v1, v1
	v_mul_f32_e32 v1, 0x4f7ffffe, v1
	v_cvt_u32_f32_e32 v1, v1
	s_waitcnt lgkmcnt(0)
	v_readfirstlane_b32 s15, v1
	s_mul_i32 s16, s16, s15
	s_mul_hi_u32 s16, s15, s16
	s_add_i32 s15, s15, s16
	s_mul_hi_u32 s15, s11, s15
	s_mul_i32 s16, s15, s9
	s_sub_i32 s11, s11, s16
	s_add_i32 s16, s15, 1
	s_sub_i32 s17, s11, s9
	s_cmp_ge_u32 s11, s9
	s_cselect_b32 s15, s16, s15
	s_cselect_b32 s11, s17, s11
	s_add_i32 s16, s15, 1
	s_cmp_ge_u32 s11, s9
	s_cselect_b32 s18, s16, s15
.LBB64_6:
	s_cmp_eq_u32 s10, s18
	s_waitcnt lgkmcnt(0)
	s_mul_hi_u32 s11, s10, s12
	s_cselect_b32 s15, -1, 0
	s_add_i32 s11, s11, s10
	s_lshr_b32 s11, s11, s13
	s_mul_i32 s16, s11, s14
	s_cmp_eq_u32 s16, s10
	s_mul_hi_u32 s16, s18, s12
	s_cselect_b32 s17, -1, 0
	s_add_i32 s16, s16, s18
	s_lshr_b32 s16, s16, s13
	s_cmp_eq_u32 s11, s16
	s_mul_i32 s16, s16, s14
	s_cselect_b32 s19, -1, 0
	s_cmp_lg_u32 s16, s18
	s_cselect_b32 s16, -1, 0
	s_or_b32 s15, s15, s17
	s_and_b32 s16, s19, s16
	s_or_b32 s15, s15, s16
	s_and_b32 vcc_lo, exec_lo, s15
	s_cbranch_vccnz .LBB64_24
; %bb.7:
	s_load_dwordx8 s[20:27], s[4:5], 0x20
	s_waitcnt lgkmcnt(0)
	s_mul_hi_u32 s15, s10, s20
	s_add_i32 s15, s15, s10
	s_lshr_b32 s20, s15, s21
	s_load_dword s15, s[4:5], 0x40
	s_mul_i32 s16, s20, s22
	s_sub_i32 s16, s10, s16
	s_mul_hi_u32 s17, s16, s23
	s_add_i32 s17, s16, s17
	s_lshr_b32 s22, s17, s24
	s_mul_i32 s17, s22, s25
	s_sub_i32 s16, s16, s17
	s_mul_hi_u32 s17, s16, s26
	s_add_i32 s17, s16, s17
	s_lshr_b32 s23, s17, s27
	s_waitcnt lgkmcnt(0)
	s_mul_i32 s15, s23, s15
	s_sub_i32 s15, s16, s15
	s_mul_hi_u32 s16, s15, s12
	s_add_i32 s15, s15, s16
	s_lshr_b32 s24, s15, s13
	s_lshl_b32 s15, s24, 3
	s_add_i32 s15, s15, s7
	s_cmp_lt_i32 s15, s0
	s_cselect_b32 s15, -1, 0
	s_add_i32 s16, s23, s8
	s_cmp_lt_i32 s16, s2
	s_cselect_b32 s16, -1, 0
	s_and_b32 s15, s15, s16
	s_andn2_b32 vcc_lo, exec_lo, s15
	s_cbranch_vccnz .LBB64_24
; %bb.8:
	s_load_dwordx4 s[16:19], s[4:5], 0x0
	s_mov_b32 s4, 0
	s_lshl_b32 s26, s9, 5
	s_mov_b32 s27, s4
	s_add_i32 s15, s7, s8
	s_lshl_b64 s[26:27], s[26:27], 2
	s_mul_i32 s0, s20, s0
	s_mul_i32 s22, s22, s2
	v_cvt_f32_u32_e32 v4, s9
	v_rcp_iflag_f32_e32 v4, v4
	s_waitcnt lgkmcnt(0)
	s_add_u32 s20, s18, s26
	s_addc_u32 s21, s19, s27
	s_add_i32 s0, s0, s7
	v_mul_f32_e32 v4, 0x4f7ffffe, v4
	s_mul_i32 s0, s0, s1
	s_mul_i32 s1, s1, s24
	s_add_i32 s0, s0, s8
	s_lshl_b32 s1, s1, 9
	s_add_i32 s0, s0, s22
	v_cvt_u32_f32_e32 v4, v4
	s_add_i32 s0, s0, s23
	s_lshl_b32 s0, s0, 6
	s_add_i32 s1, s1, s0
	s_lshl_b32 s0, s6, 3
	v_or_b32_e32 v1, s1, v0
	s_add_i32 s0, s0, s15
	v_lshl_or_b32 v0, s15, 6, v0
	s_ashr_i32 s1, s0, 31
	v_ashrrev_i32_e32 v2, 31, v1
	s_lshl_b64 s[0:1], s[0:1], 3
	s_add_u32 s0, s18, s0
	s_addc_u32 s1, s19, s1
	v_lshlrev_b64 v[1:2], 2, v[1:2]
	s_load_dwordx2 s[0:1], s[0:1], 0x0
	s_add_i32 s8, s6, -1
	s_sub_i32 s2, 0, s9
	v_add_co_u32 v1, vcc_lo, s16, v1
	v_add_co_ci_u32_e64 v2, null, s17, v2, vcc_lo
	global_load_dword v3, v[1:2], off
	s_waitcnt lgkmcnt(0)
	v_mov_b32_e32 v5, s1
	v_mov_b32_e32 v6, s0
.LBB64_9:                               ; =>This Inner Loop Header: Depth=1
	s_mul_hi_i32 s5, s8, s3
	s_mul_i32 s6, s8, s3
	s_cmp_lg_u64 s[4:5], 0
	s_mov_b32 s7, -1
                                        ; implicit-def: $sgpr0_sgpr1
	s_cbranch_scc0 .LBB64_11
; %bb.10:                               ;   in Loop: Header=BB64_9 Depth=1
	s_add_u32 s0, s9, 0
	s_addc_u32 s1, 0, 0
	s_xor_b64 s[0:1], s[0:1], 0
	v_cvt_f32_u32_e32 v7, s0
	v_cvt_f32_u32_e32 v8, s1
	s_sub_u32 s17, 0, s0
	s_subb_u32 s22, 0, s1
	v_fmac_f32_e32 v7, 0x4f800000, v8
	v_rcp_f32_e32 v7, v7
	v_mul_f32_e32 v7, 0x5f7ffffc, v7
	v_mul_f32_e32 v8, 0x2f800000, v7
	v_trunc_f32_e32 v8, v8
	v_fmac_f32_e32 v7, 0xcf800000, v8
	v_cvt_u32_f32_e32 v8, v8
	v_cvt_u32_f32_e32 v7, v7
	v_readfirstlane_b32 s7, v8
	v_readfirstlane_b32 s16, v7
	s_mul_i32 s23, s17, s7
	s_mul_hi_u32 s25, s17, s16
	s_mul_i32 s24, s22, s16
	s_add_i32 s23, s25, s23
	s_mul_i32 s26, s17, s16
	s_add_i32 s23, s23, s24
	s_mul_hi_u32 s25, s16, s26
	s_mul_i32 s28, s16, s23
	s_mul_hi_u32 s27, s7, s26
	s_mul_i32 s24, s7, s26
	s_mul_hi_u32 s26, s16, s23
	s_add_u32 s25, s25, s28
	s_addc_u32 s26, 0, s26
	s_mul_hi_u32 s29, s7, s23
	s_add_u32 s24, s25, s24
	s_mul_i32 s23, s7, s23
	s_addc_u32 s24, s26, s27
	s_addc_u32 s25, s29, 0
	s_add_u32 s23, s24, s23
	s_addc_u32 s24, 0, s25
	s_add_u32 s16, s16, s23
	s_cselect_b32 s23, -1, 0
	s_mul_hi_u32 s25, s17, s16
	s_cmp_lg_u32 s23, 0
	s_mul_i32 s23, s17, s16
	s_addc_u32 s7, s7, s24
	s_mul_i32 s22, s22, s16
	s_mul_i32 s17, s17, s7
	s_mul_hi_u32 s24, s16, s23
	s_add_i32 s17, s25, s17
	s_mul_hi_u32 s25, s7, s23
	s_add_i32 s17, s17, s22
	s_mul_i32 s22, s7, s23
	s_mul_i32 s27, s16, s17
	s_mul_hi_u32 s26, s16, s17
	s_add_u32 s24, s24, s27
	s_addc_u32 s26, 0, s26
	s_mul_hi_u32 s23, s7, s17
	s_add_u32 s22, s24, s22
	s_mul_i32 s17, s7, s17
	s_addc_u32 s22, s26, s25
	s_addc_u32 s23, s23, 0
	s_add_u32 s17, s22, s17
	s_addc_u32 s22, 0, s23
	s_add_u32 s24, s16, s17
	s_cselect_b32 s16, -1, 0
	s_cmp_lg_u32 s16, 0
	s_addc_u32 s7, s7, s22
	s_ashr_i32 s16, s5, 31
	s_add_u32 s22, s6, s16
	s_mov_b32 s17, s16
	s_addc_u32 s23, s5, s16
	s_xor_b64 s[22:23], s[22:23], s[16:17]
	s_mul_i32 s25, s22, s7
	s_mul_hi_u32 s26, s22, s24
	s_mul_hi_u32 s5, s22, s7
	;; [unrolled: 1-line block ×3, first 2 shown]
	s_mul_i32 s24, s23, s24
	s_add_u32 s25, s26, s25
	s_addc_u32 s5, 0, s5
	s_mul_hi_u32 s27, s23, s7
	s_add_u32 s24, s25, s24
	s_mul_i32 s7, s23, s7
	s_addc_u32 s5, s5, s28
	s_addc_u32 s24, s27, 0
	s_add_u32 s5, s5, s7
	s_addc_u32 s7, 0, s24
	s_mul_hi_u32 s24, s0, s5
	s_mul_i32 s25, s0, s7
	s_mul_i32 s26, s1, s5
	s_add_i32 s24, s24, s25
	s_mul_i32 s25, s0, s5
	s_add_i32 s24, s24, s26
	s_sub_i32 s26, s23, s24
	s_sub_u32 s22, s22, s25
	s_cselect_b32 s25, -1, 0
	s_cmp_lg_u32 s25, 0
	s_subb_u32 s26, s26, s1
	s_sub_u32 s27, s22, s0
	s_cselect_b32 s28, -1, 0
	s_cmp_lg_u32 s28, 0
	s_subb_u32 s26, s26, 0
	s_cmp_ge_u32 s26, s1
	s_cselect_b32 s28, -1, 0
	s_cmp_ge_u32 s27, s0
	s_cselect_b32 s27, -1, 0
	s_cmp_eq_u32 s26, s1
	s_cselect_b32 s26, s27, s28
	s_add_u32 s27, s5, 1
	s_addc_u32 s28, s7, 0
	s_add_u32 s29, s5, 2
	s_addc_u32 s30, s7, 0
	s_cmp_lg_u32 s26, 0
	s_cselect_b32 s26, s29, s27
	s_cselect_b32 s27, s30, s28
	s_cmp_lg_u32 s25, 0
	s_subb_u32 s23, s23, s24
	s_cmp_ge_u32 s23, s1
	s_cselect_b32 s24, -1, 0
	s_cmp_ge_u32 s22, s0
	s_cselect_b32 s0, -1, 0
	s_cmp_eq_u32 s23, s1
	s_cselect_b32 s0, s0, s24
	s_cmp_lg_u32 s0, 0
	s_cselect_b32 s1, s27, s7
	s_cselect_b32 s0, s26, s5
	s_xor_b64 s[16:17], s[16:17], 0
	s_mov_b32 s7, 0
	s_xor_b64 s[0:1], s[0:1], s[16:17]
	s_sub_u32 s0, s0, s16
.LBB64_11:                              ;   in Loop: Header=BB64_9 Depth=1
	s_andn2_b32 vcc_lo, exec_lo, s7
	s_cbranch_vccnz .LBB64_13
; %bb.12:                               ;   in Loop: Header=BB64_9 Depth=1
	v_readfirstlane_b32 s0, v4
	s_mul_i32 s1, s2, s0
	s_mul_hi_u32 s1, s0, s1
	s_add_i32 s0, s0, s1
	s_mul_hi_u32 s0, s6, s0
	s_mul_i32 s1, s0, s9
	s_add_i32 s5, s0, 1
	s_sub_i32 s1, s6, s1
	s_sub_i32 s6, s1, s9
	s_cmp_ge_u32 s1, s9
	s_cselect_b32 s0, s5, s0
	s_cselect_b32 s1, s6, s1
	s_add_i32 s5, s0, 1
	s_cmp_ge_u32 s1, s9
	s_cselect_b32 s0, s5, s0
.LBB64_13:                              ;   in Loop: Header=BB64_9 Depth=1
	s_cmp_lg_u32 s10, s0
	s_mov_b32 s6, -1
                                        ; implicit-def: $sgpr5
                                        ; implicit-def: $vgpr8
                                        ; implicit-def: $vgpr7
                                        ; implicit-def: $vgpr9
                                        ; implicit-def: $sgpr1
                                        ; implicit-def: $sgpr16
	s_cbranch_scc0 .LBB64_18
; %bb.14:                               ;   in Loop: Header=BB64_9 Depth=1
	s_add_i32 s1, s8, s9
	s_mov_b32 s7, s4
	s_lshl_b32 s1, s1, 3
	s_mov_b32 s16, s10
	s_add_i32 s6, s1, s15
	s_mul_hi_u32 s1, s0, s12
	s_lshl_b64 s[6:7], s[6:7], 3
	s_add_u32 s6, s18, s6
	s_addc_u32 s7, s19, s7
	s_add_i32 s1, s1, s0
	s_lshr_b32 s1, s1, s13
	s_mul_i32 s5, s1, s14
	s_cmp_eq_u32 s5, s0
	s_cselect_b32 s5, -1, 0
	s_cmp_lt_u32 s1, s11
	s_cselect_b32 s1, -1, 0
	s_or_b32 s1, s1, s5
	s_mov_b32 s5, -1
	s_and_b32 vcc_lo, exec_lo, s1
	s_mov_b32 s1, s8
	s_cbranch_vccnz .LBB64_16
; %bb.15:                               ;   in Loop: Header=BB64_9 Depth=1
	s_add_i32 s1, s8, -1
	s_mov_b32 s5, 0
	s_mov_b32 s16, s0
.LBB64_16:                              ;   in Loop: Header=BB64_9 Depth=1
	v_lshl_add_u32 v7, s8, 9, v0
	s_load_dwordx2 s[6:7], s[6:7], 0x0
	v_ashrrev_i32_e32 v8, 31, v7
	v_lshlrev_b64 v[7:8], 2, v[7:8]
	v_add_co_u32 v7, vcc_lo, s20, v7
	v_add_co_ci_u32_e64 v8, null, s21, v8, vcc_lo
	s_waitcnt lgkmcnt(0)
	v_max_f32_e64 v9, s6, s6
	global_load_dword v8, v[7:8], off
	v_max_f32_e32 v7, v6, v6
	v_max_f32_e32 v7, v7, v9
	v_sub_f32_e32 v9, s6, v7
	v_sub_f32_e32 v10, v6, v7
	v_mul_f32_e32 v11, 0x3fb8aa3b, v9
	v_mul_f32_e32 v12, 0x3fb8aa3b, v10
	v_cmp_ngt_f32_e32 vcc_lo, 0xc2ce8ed0, v9
	v_fma_f32 v13, 0x3fb8aa3b, v9, -v11
	v_rndne_f32_e32 v14, v11
	v_fma_f32 v15, 0x3fb8aa3b, v10, -v12
	v_rndne_f32_e32 v16, v12
	v_fmac_f32_e32 v13, 0x32a5705f, v9
	v_sub_f32_e32 v11, v11, v14
	v_fmac_f32_e32 v15, 0x32a5705f, v10
	v_sub_f32_e32 v12, v12, v16
	v_add_f32_e32 v11, v11, v13
	v_cvt_i32_f32_e32 v13, v14
	v_add_f32_e32 v12, v12, v15
	v_cvt_i32_f32_e32 v14, v16
	v_exp_f32_e32 v11, v11
	v_exp_f32_e32 v12, v12
	v_ldexp_f32 v11, v11, v13
	v_ldexp_f32 v12, v12, v14
	v_cndmask_b32_e32 v11, 0, v11, vcc_lo
	v_cmp_ngt_f32_e32 vcc_lo, 0xc2ce8ed0, v10
	v_cndmask_b32_e32 v12, 0, v12, vcc_lo
	v_cmp_nlt_f32_e32 vcc_lo, 0x42b17218, v9
	v_cndmask_b32_e32 v11, 0x7f800000, v11, vcc_lo
	v_cmp_nlt_f32_e32 vcc_lo, 0x42b17218, v10
	v_cndmask_b32_e32 v12, 0x7f800000, v12, vcc_lo
	v_cmp_le_f32_e32 vcc_lo, 0xc1a00000, v9
	v_cndmask_b32_e32 v9, 0, v11, vcc_lo
	v_cmp_le_f32_e32 vcc_lo, 0xc1a00000, v10
	v_cndmask_b32_e32 v10, 0, v12, vcc_lo
	s_waitcnt vmcnt(0)
	v_mul_f32_e32 v8, v8, v9
	v_mul_f32_e32 v9, s7, v9
	v_fmac_f32_e32 v8, v3, v10
	v_fmac_f32_e32 v9, v5, v10
	s_cbranch_execz .LBB64_19
.LBB64_17:                              ;   in Loop: Header=BB64_9 Depth=1
	s_andn2_b32 vcc_lo, exec_lo, s5
	s_cbranch_vccnz .LBB64_20
	s_branch .LBB64_23
.LBB64_18:                              ;   in Loop: Header=BB64_9 Depth=1
	s_andn2_b32 vcc_lo, exec_lo, s6
	s_cbranch_vccnz .LBB64_17
.LBB64_19:                              ;   in Loop: Header=BB64_9 Depth=1
	v_mov_b32_e32 v9, v5
	v_mov_b32_e32 v7, v6
	s_waitcnt vmcnt(0)
	v_mov_b32_e32 v8, v3
	s_add_i32 s1, s8, -1
	s_mov_b32 s16, s10
	s_cbranch_execz .LBB64_23
.LBB64_20:                              ;   in Loop: Header=BB64_9 Depth=1
	v_mov_b32_e32 v5, v9
	v_mov_b32_e32 v6, v7
	s_waitcnt vmcnt(0)
	v_mov_b32_e32 v3, v8
	s_mov_b32 s10, s16
	s_mov_b32 s8, s1
	s_branch .LBB64_9
.LBB64_21:
                                        ; implicit-def: $sgpr10_sgpr11
	s_load_dwordx4 s[12:15], s[4:5], 0x44
	s_branch .LBB64_2
.LBB64_22:
                                        ; implicit-def: $sgpr18_sgpr19
	s_branch .LBB64_5
.LBB64_23:
	v_div_scale_f32 v0, null, v9, v9, v8
	s_waitcnt vmcnt(0)
	v_rcp_f32_e32 v3, v0
	v_fma_f32 v4, -v0, v3, 1.0
	v_fmac_f32_e32 v3, v4, v3
	v_div_scale_f32 v4, vcc_lo, v8, v9, v8
	v_mul_f32_e32 v5, v4, v3
	v_fma_f32 v6, -v0, v5, v4
	v_fmac_f32_e32 v5, v6, v3
	v_fma_f32 v0, -v0, v5, v4
	v_div_fmas_f32 v0, v0, v3, v5
	v_div_fixup_f32 v0, v0, v9, v8
	global_store_dword v[1:2], v0, off
.LBB64_24:
	s_endpgm
	.section	.rodata,"a",@progbits
	.p2align	6, 0x0
	.amdhsa_kernel _ZL33flash_attn_stream_k_fixup_generalILi64ELi8ELi1EEvPfPK15HIP_vector_typeIfLj2EEiiiiS1_IjLj3EES5_S5_S5_
		.amdhsa_group_segment_fixed_size 0
		.amdhsa_private_segment_fixed_size 0
		.amdhsa_kernarg_size 336
		.amdhsa_user_sgpr_count 6
		.amdhsa_user_sgpr_private_segment_buffer 1
		.amdhsa_user_sgpr_dispatch_ptr 0
		.amdhsa_user_sgpr_queue_ptr 0
		.amdhsa_user_sgpr_kernarg_segment_ptr 1
		.amdhsa_user_sgpr_dispatch_id 0
		.amdhsa_user_sgpr_flat_scratch_init 0
		.amdhsa_user_sgpr_private_segment_size 0
		.amdhsa_wavefront_size32 1
		.amdhsa_uses_dynamic_stack 0
		.amdhsa_system_sgpr_private_segment_wavefront_offset 0
		.amdhsa_system_sgpr_workgroup_id_x 1
		.amdhsa_system_sgpr_workgroup_id_y 1
		.amdhsa_system_sgpr_workgroup_id_z 1
		.amdhsa_system_sgpr_workgroup_info 0
		.amdhsa_system_vgpr_workitem_id 0
		.amdhsa_next_free_vgpr 17
		.amdhsa_next_free_sgpr 31
		.amdhsa_reserve_vcc 1
		.amdhsa_reserve_flat_scratch 0
		.amdhsa_float_round_mode_32 0
		.amdhsa_float_round_mode_16_64 0
		.amdhsa_float_denorm_mode_32 3
		.amdhsa_float_denorm_mode_16_64 3
		.amdhsa_dx10_clamp 1
		.amdhsa_ieee_mode 1
		.amdhsa_fp16_overflow 0
		.amdhsa_workgroup_processor_mode 1
		.amdhsa_memory_ordered 1
		.amdhsa_forward_progress 1
		.amdhsa_shared_vgpr_count 0
		.amdhsa_exception_fp_ieee_invalid_op 0
		.amdhsa_exception_fp_denorm_src 0
		.amdhsa_exception_fp_ieee_div_zero 0
		.amdhsa_exception_fp_ieee_overflow 0
		.amdhsa_exception_fp_ieee_underflow 0
		.amdhsa_exception_fp_ieee_inexact 0
		.amdhsa_exception_int_div_zero 0
	.end_amdhsa_kernel
	.section	.text._ZL33flash_attn_stream_k_fixup_generalILi64ELi8ELi1EEvPfPK15HIP_vector_typeIfLj2EEiiiiS1_IjLj3EES5_S5_S5_,"axG",@progbits,_ZL33flash_attn_stream_k_fixup_generalILi64ELi8ELi1EEvPfPK15HIP_vector_typeIfLj2EEiiiiS1_IjLj3EES5_S5_S5_,comdat
.Lfunc_end64:
	.size	_ZL33flash_attn_stream_k_fixup_generalILi64ELi8ELi1EEvPfPK15HIP_vector_typeIfLj2EEiiiiS1_IjLj3EES5_S5_S5_, .Lfunc_end64-_ZL33flash_attn_stream_k_fixup_generalILi64ELi8ELi1EEvPfPK15HIP_vector_typeIfLj2EEiiiiS1_IjLj3EES5_S5_S5_
                                        ; -- End function
	.set _ZL33flash_attn_stream_k_fixup_generalILi64ELi8ELi1EEvPfPK15HIP_vector_typeIfLj2EEiiiiS1_IjLj3EES5_S5_S5_.num_vgpr, 17
	.set _ZL33flash_attn_stream_k_fixup_generalILi64ELi8ELi1EEvPfPK15HIP_vector_typeIfLj2EEiiiiS1_IjLj3EES5_S5_S5_.num_agpr, 0
	.set _ZL33flash_attn_stream_k_fixup_generalILi64ELi8ELi1EEvPfPK15HIP_vector_typeIfLj2EEiiiiS1_IjLj3EES5_S5_S5_.numbered_sgpr, 31
	.set _ZL33flash_attn_stream_k_fixup_generalILi64ELi8ELi1EEvPfPK15HIP_vector_typeIfLj2EEiiiiS1_IjLj3EES5_S5_S5_.num_named_barrier, 0
	.set _ZL33flash_attn_stream_k_fixup_generalILi64ELi8ELi1EEvPfPK15HIP_vector_typeIfLj2EEiiiiS1_IjLj3EES5_S5_S5_.private_seg_size, 0
	.set _ZL33flash_attn_stream_k_fixup_generalILi64ELi8ELi1EEvPfPK15HIP_vector_typeIfLj2EEiiiiS1_IjLj3EES5_S5_S5_.uses_vcc, 1
	.set _ZL33flash_attn_stream_k_fixup_generalILi64ELi8ELi1EEvPfPK15HIP_vector_typeIfLj2EEiiiiS1_IjLj3EES5_S5_S5_.uses_flat_scratch, 0
	.set _ZL33flash_attn_stream_k_fixup_generalILi64ELi8ELi1EEvPfPK15HIP_vector_typeIfLj2EEiiiiS1_IjLj3EES5_S5_S5_.has_dyn_sized_stack, 0
	.set _ZL33flash_attn_stream_k_fixup_generalILi64ELi8ELi1EEvPfPK15HIP_vector_typeIfLj2EEiiiiS1_IjLj3EES5_S5_S5_.has_recursion, 0
	.set _ZL33flash_attn_stream_k_fixup_generalILi64ELi8ELi1EEvPfPK15HIP_vector_typeIfLj2EEiiiiS1_IjLj3EES5_S5_S5_.has_indirect_call, 0
	.section	.AMDGPU.csdata,"",@progbits
; Kernel info:
; codeLenInByte = 2936
; TotalNumSgprs: 33
; NumVgprs: 17
; ScratchSize: 0
; MemoryBound: 0
; FloatMode: 240
; IeeeMode: 1
; LDSByteSize: 0 bytes/workgroup (compile time only)
; SGPRBlocks: 0
; VGPRBlocks: 2
; NumSGPRsForWavesPerEU: 33
; NumVGPRsForWavesPerEU: 17
; Occupancy: 16
; WaveLimiterHint : 0
; COMPUTE_PGM_RSRC2:SCRATCH_EN: 0
; COMPUTE_PGM_RSRC2:USER_SGPR: 6
; COMPUTE_PGM_RSRC2:TRAP_HANDLER: 0
; COMPUTE_PGM_RSRC2:TGID_X_EN: 1
; COMPUTE_PGM_RSRC2:TGID_Y_EN: 1
; COMPUTE_PGM_RSRC2:TGID_Z_EN: 1
; COMPUTE_PGM_RSRC2:TIDIG_COMP_CNT: 0
	.section	.text._ZL15flash_attn_tileILi64ELi64ELi4ELi1ELb0EEvPKcS1_S1_S1_S1_PKiPfP15HIP_vector_typeIfLj2EEffffjfiS5_IjLj3EEiiiiiiiiiiiliiliiiiil,"axG",@progbits,_ZL15flash_attn_tileILi64ELi64ELi4ELi1ELb0EEvPKcS1_S1_S1_S1_PKiPfP15HIP_vector_typeIfLj2EEffffjfiS5_IjLj3EEiiiiiiiiiiiliiliiiiil,comdat
	.globl	_ZL15flash_attn_tileILi64ELi64ELi4ELi1ELb0EEvPKcS1_S1_S1_S1_PKiPfP15HIP_vector_typeIfLj2EEffffjfiS5_IjLj3EEiiiiiiiiiiiliiliiiiil ; -- Begin function _ZL15flash_attn_tileILi64ELi64ELi4ELi1ELb0EEvPKcS1_S1_S1_S1_PKiPfP15HIP_vector_typeIfLj2EEffffjfiS5_IjLj3EEiiiiiiiiiiiliiliiiiil
	.p2align	8
	.type	_ZL15flash_attn_tileILi64ELi64ELi4ELi1ELb0EEvPKcS1_S1_S1_S1_PKiPfP15HIP_vector_typeIfLj2EEffffjfiS5_IjLj3EEiiiiiiiiiiiliiliiiiil,@function
_ZL15flash_attn_tileILi64ELi64ELi4ELi1ELb0EEvPKcS1_S1_S1_S1_PKiPfP15HIP_vector_typeIfLj2EEffffjfiS5_IjLj3EEiiiiiiiiiiiliiliiiiil: ; @_ZL15flash_attn_tileILi64ELi64ELi4ELi1ELb0EEvPKcS1_S1_S1_S1_PKiPfP15HIP_vector_typeIfLj2EEffffjfiS5_IjLj3EEiiiiiiiiiiiliiliiiiil
; %bb.0:
	s_add_u32 s6, s6, s11
	s_addc_u32 s7, s7, 0
	s_setreg_b32 hwreg(HW_REG_FLAT_SCR_LO), s6
	s_setreg_b32 hwreg(HW_REG_FLAT_SCR_HI), s7
	s_clause 0x1
	s_load_dwordx4 s[28:31], s[4:5], 0x5c
	s_load_dwordx2 s[48:49], s[4:5], 0x80
	s_add_u32 s0, s0, s11
	s_addc_u32 s1, s1, 0
	s_mov_b32 s34, s9
	s_load_dwordx2 s[50:51], s[4:5], 0xb8
	s_mov_b64 s[46:47], 0
	s_waitcnt lgkmcnt(0)
	v_cvt_f32_u32_e32 v2, s31
	s_sub_i32 s7, 0, s31
	v_rcp_iflag_f32_e32 v2, v2
	v_mul_f32_e32 v2, 0x4f7ffffe, v2
	v_cvt_u32_f32_e32 v2, v2
	v_readfirstlane_b32 s6, v2
	s_mul_i32 s7, s7, s6
	s_mul_hi_u32 s7, s6, s7
	s_add_i32 s6, s6, s7
	s_mul_hi_u32 s6, s10, s6
	s_mul_i32 s7, s6, s31
	s_add_i32 s9, s6, 1
	s_sub_i32 s7, s10, s7
	s_sub_i32 s11, s7, s31
	s_cmp_ge_u32 s7, s31
	s_cselect_b32 s6, s9, s6
	s_cselect_b32 s7, s11, s7
	s_add_i32 s9, s6, 1
	s_cmp_ge_u32 s7, s31
	s_cselect_b32 s33, s9, s6
	s_abs_i32 s6, s49
	s_abs_i32 s12, s31
	v_cvt_f32_u32_e32 v2, s6
	s_sub_i32 s9, 0, s6
	s_mul_i32 s11, s33, s31
	s_sub_i32 s44, s10, s11
	v_rcp_iflag_f32_e32 v2, v2
	v_mul_f32_e32 v2, 0x4f7ffffe, v2
	v_cvt_u32_f32_e32 v2, v2
	v_readfirstlane_b32 s7, v2
	s_mul_i32 s9, s9, s7
	s_mul_hi_u32 s9, s7, s9
	s_add_i32 s7, s7, s9
	s_xor_b32 s9, s31, s49
	s_mul_hi_u32 s7, s12, s7
	s_ashr_i32 s9, s9, 31
	s_mul_i32 s10, s7, s6
	s_add_i32 s11, s7, 1
	s_sub_i32 s10, s12, s10
	s_sub_i32 s12, s10, s6
	s_cmp_ge_u32 s10, s6
	s_cselect_b32 s7, s11, s7
	s_cselect_b32 s10, s12, s10
	s_add_i32 s11, s7, 1
	s_cmp_ge_u32 s10, s6
	s_load_dwordx16 s[12:27], s[4:5], 0x0
	s_cselect_b32 s6, s11, s7
	s_abs_i32 s49, s44
	s_xor_b32 s6, s6, s9
	s_sub_i32 s10, s6, s9
	s_abs_i32 s35, s10
	v_cvt_f32_u32_e32 v2, s35
	s_sub_i32 s7, 0, s35
	v_rcp_iflag_f32_e32 v2, v2
	v_mul_f32_e32 v2, 0x4f7ffffe, v2
	v_cvt_u32_f32_e32 v2, v2
	v_readfirstlane_b32 s6, v2
	s_mul_i32 s7, s7, s6
	s_mul_hi_u32 s7, s6, s7
	s_add_i32 s6, s6, s7
	s_waitcnt lgkmcnt(0)
	s_cmp_eq_u64 s[18:19], 0
	s_cbranch_scc1 .LBB65_2
; %bb.1:
	s_abs_i32 s7, s50
	s_abs_i32 s38, s33
	v_cvt_f32_u32_e32 v2, s7
	s_sub_i32 s11, 0, s7
	s_load_dwordx2 s[36:37], s[4:5], 0xc8
	v_rcp_iflag_f32_e32 v2, v2
	v_mul_f32_e32 v2, 0x4f7ffffe, v2
	v_cvt_u32_f32_e32 v2, v2
	v_readfirstlane_b32 s9, v2
	s_mul_i32 s11, s11, s9
	s_mul_hi_u32 s11, s9, s11
	s_add_i32 s9, s9, s11
	s_ashr_i32 s11, s33, 31
	s_mul_hi_u32 s9, s38, s9
	s_mul_i32 s9, s9, s7
	s_sub_i32 s9, s38, s9
	s_sub_i32 s38, s9, s7
	s_cmp_ge_u32 s9, s7
	s_cselect_b32 s9, s38, s9
	s_sub_i32 s38, s9, s7
	s_cmp_ge_u32 s9, s7
	s_cselect_b32 s7, s38, s9
	s_xor_b32 s7, s7, s11
	s_sub_i32 s7, s7, s11
	s_ashr_i32 s9, s7, 31
	s_waitcnt lgkmcnt(0)
	s_mul_hi_u32 s11, s36, s7
	s_mul_i32 s9, s36, s9
	s_add_i32 s9, s11, s9
	s_mul_i32 s11, s37, s7
	s_mul_i32 s7, s36, s7
	s_add_i32 s9, s9, s11
	s_add_u32 s46, s18, s7
	s_addc_u32 s47, s19, s9
.LBB65_2:
	s_clause 0x1
	s_load_dwordx4 s[36:39], s[4:5], 0x40
	s_load_dword s7, s[4:5], 0x50
	v_mov_b32_e32 v28, 1.0
	s_waitcnt lgkmcnt(0)
	v_cmp_le_f32_e64 s9, s37, 0
	s_mul_hi_u32 s37, s49, s6
	s_and_b32 vcc_lo, exec_lo, s9
	s_cbranch_vccnz .LBB65_4
; %bb.3:
	v_sub_co_u32 v3, vcc_lo, s44, s7
	v_mov_b32_e32 v2, s38
	s_add_i32 s6, s44, 1
	v_lshlrev_b32_e32 v3, 1, v3
	v_cndmask_b32_e32 v2, s39, v2, vcc_lo
	v_or_b32_e32 v3, 1, v3
	v_cndmask_b32_e64 v3, v3, s6, vcc_lo
	v_cmp_neq_f32_e32 vcc_lo, 1.0, v2
	s_mov_b32 s6, 0x3e76c4e1
	v_cvt_f32_i32_e32 v3, v3
	v_cndmask_b32_e32 v4, 1.0, v3, vcc_lo
	v_cmp_neq_f32_e32 vcc_lo, 0, v4
	v_cndmask_b32_e32 v5, 1.0, v2, vcc_lo
	v_frexp_mant_f32_e64 v2, |v5|
	v_cmp_eq_f32_e64 s9, 0, v5
	v_cmp_gt_f32_e32 vcc_lo, 0x3f2aaaab, v2
	v_cndmask_b32_e64 v3, 1.0, 2.0, vcc_lo
	v_mul_f32_e32 v2, v2, v3
	v_add_f32_e32 v3, 1.0, v2
	v_add_f32_e32 v7, -1.0, v2
	v_rcp_f32_e32 v6, v3
	v_add_f32_e32 v9, -1.0, v3
	v_sub_f32_e32 v2, v2, v9
	v_mul_f32_e32 v8, v7, v6
	v_mul_f32_e32 v10, v3, v8
	v_fma_f32 v3, v8, v3, -v10
	v_fmac_f32_e32 v3, v8, v2
	v_add_f32_e32 v2, v10, v3
	v_sub_f32_e32 v9, v7, v2
	v_sub_f32_e32 v10, v2, v10
	;; [unrolled: 1-line block ×5, first 2 shown]
	v_add_f32_e32 v2, v3, v2
	v_add_f32_e32 v2, v9, v2
	v_mul_f32_e32 v2, v6, v2
	v_add_f32_e32 v6, v8, v2
	v_sub_f32_e32 v3, v6, v8
	v_mul_f32_e32 v7, v6, v6
	v_sub_f32_e32 v8, v2, v3
	v_fma_f32 v2, v6, v6, -v7
	v_add_f32_e32 v3, v8, v8
	v_fmac_f32_e32 v2, v6, v3
	v_add_f32_e32 v9, v7, v2
	v_fmaak_f32 v3, s6, v9, 0x3e91f4c4
	v_sub_f32_e32 v7, v9, v7
	v_mul_f32_e32 v14, v6, v9
	v_fmaak_f32 v3, v9, v3, 0x3ecccdef
	v_sub_f32_e32 v7, v2, v7
	v_fma_f32 v15, v9, v6, -v14
	v_mul_f32_e32 v10, v9, v3
	v_fmac_f32_e32 v15, v9, v8
	v_ldexp_f32 v8, v8, 1
	v_fma_f32 v11, v9, v3, -v10
	v_fmac_f32_e32 v15, v7, v6
	v_fmac_f32_e32 v11, v7, v3
	v_cvt_f64_f32_e64 v[2:3], |v5|
	v_add_f32_e32 v12, v10, v11
	v_sub_f32_e32 v10, v12, v10
	v_add_f32_e32 v13, 0x3f2aaaaa, v12
	v_sub_f32_e32 v10, v11, v10
	v_add_f32_e32 v11, 0xbf2aaaaa, v13
	v_add_f32_e32 v10, 0x31739010, v10
	v_sub_f32_e32 v11, v12, v11
	v_frexp_exp_i32_f64_e32 v2, v[2:3]
	v_add_f32_e32 v9, v10, v11
	v_add_f32_e32 v10, v14, v15
	;; [unrolled: 1-line block ×3, first 2 shown]
	v_sub_f32_e32 v12, v10, v14
	v_sub_f32_e32 v3, v13, v7
	v_mul_f32_e32 v11, v10, v7
	v_sub_f32_e32 v12, v15, v12
	v_add_f32_e32 v3, v9, v3
	v_fma_f32 v9, v10, v7, -v11
	v_subrev_co_ci_u32_e64 v2, null, 0, v2, vcc_lo
	v_fmac_f32_e32 v9, v10, v3
	v_ldexp_f32 v3, v6, 1
	v_cvt_f32_i32_e32 v2, v2
	v_fmac_f32_e32 v9, v12, v7
	v_add_f32_e32 v6, v11, v9
	v_add_f32_e32 v7, v3, v6
	v_sub_f32_e32 v10, v6, v11
	v_mul_f32_e32 v11, 0x3f317218, v2
	v_sub_f32_e32 v3, v7, v3
	v_sub_f32_e32 v9, v9, v10
	v_fma_f32 v10, 0x3f317218, v2, -v11
	v_sub_f32_e32 v3, v6, v3
	v_add_f32_e32 v6, v8, v9
	v_fmamk_f32 v2, v2, 0xb102e308, v10
	v_add_f32_e32 v3, v6, v3
	v_add_f32_e32 v6, v11, v2
	;; [unrolled: 1-line block ×3, first 2 shown]
	v_sub_f32_e32 v11, v6, v11
	v_add_f32_e32 v9, v6, v8
	v_sub_f32_e32 v7, v8, v7
	v_sub_f32_e32 v2, v2, v11
	;; [unrolled: 1-line block ×6, first 2 shown]
	v_add_f32_e32 v8, v2, v3
	v_sub_f32_e32 v6, v6, v12
	v_add_f32_e32 v6, v7, v6
	v_sub_f32_e32 v7, v8, v2
	;; [unrolled: 2-line block ×3, first 2 shown]
	v_sub_f32_e32 v3, v3, v7
	v_add_f32_e32 v10, v9, v6
	v_sub_f32_e32 v2, v2, v8
	v_sub_f32_e32 v7, v10, v9
	v_add_f32_e32 v2, v3, v2
	v_sub_f32_e32 v3, v6, v7
	v_add_f32_e32 v2, v2, v3
	v_add_f32_e32 v3, v10, v2
	v_sub_f32_e32 v6, v3, v10
	v_mul_f32_e32 v7, v4, v3
	v_sub_f32_e32 v2, v2, v6
	v_fma_f32 v3, v4, v3, -v7
	v_cmp_class_f32_e64 vcc_lo, v7, 0x204
	v_fmac_f32_e32 v3, v4, v2
	v_add_f32_e32 v2, v7, v3
	v_cndmask_b32_e32 v6, v2, v7, vcc_lo
	v_sub_f32_e32 v2, v2, v7
	v_cmp_eq_f32_e32 vcc_lo, 0x42b17218, v6
	v_sub_f32_e32 v2, v3, v2
	v_cndmask_b32_e64 v8, 0, 0x37000000, vcc_lo
	v_cmp_neq_f32_e64 vcc_lo, 0x7f800000, |v6|
	v_sub_f32_e32 v9, v6, v8
	v_cndmask_b32_e32 v2, 0, v2, vcc_lo
	v_trunc_f32_e32 v6, v4
	v_mul_f32_e32 v10, 0x3fb8aa3b, v9
	v_cmp_ngt_f32_e32 vcc_lo, 0xc2ce8ed0, v9
	v_add_f32_e32 v2, v8, v2
	v_fma_f32 v11, 0x3fb8aa3b, v9, -v10
	v_rndne_f32_e32 v12, v10
	v_fmamk_f32 v11, v9, 0x32a5705f, v11
	v_sub_f32_e32 v10, v10, v12
	v_cvt_i32_f32_e32 v7, v12
	v_add_f32_e32 v10, v10, v11
	v_exp_f32_e32 v10, v10
	v_ldexp_f32 v3, v10, v7
	v_mul_f32_e32 v7, 0.5, v4
	v_cndmask_b32_e32 v3, 0, v3, vcc_lo
	v_cmp_nlt_f32_e32 vcc_lo, 0x42b17218, v9
	v_trunc_f32_e32 v10, v7
	v_cndmask_b32_e32 v3, 0x7f800000, v3, vcc_lo
	v_cmp_eq_f32_e32 vcc_lo, v6, v4
	v_cmp_neq_f32_e64 s6, v10, v7
	v_fma_f32 v2, v3, v2, v3
	v_cmp_class_f32_e64 s7, v3, 0x204
	s_and_b32 s6, vcc_lo, s6
	v_cndmask_b32_e64 v6, 1.0, v5, s6
	v_cndmask_b32_e64 v2, v2, v3, s7
	v_cmp_gt_f32_e64 s7, 0, v4
	v_bfi_b32 v2, 0x7fffffff, v2, v6
	s_xor_b32 s7, s7, s9
	v_cndmask_b32_e64 v6, 0, v5, s6
	v_cndmask_b32_e64 v3, 0x7f800000, 0, s7
	v_cmp_class_f32_e64 s6, v5, 0x204
	v_cndmask_b32_e32 v4, 0x7fc00000, v2, vcc_lo
	v_cmp_gt_f32_e32 vcc_lo, 0, v5
	v_bfi_b32 v3, 0x7fffffff, v3, v6
	v_cndmask_b32_e32 v2, v2, v4, vcc_lo
	s_or_b32 vcc_lo, s9, s6
	v_cndmask_b32_e32 v2, v2, v3, vcc_lo
	v_cmp_o_f32_e32 vcc_lo, v5, v5
	v_cndmask_b32_e32 v28, 0x7fc00000, v2, vcc_lo
.LBB65_4:
	v_lshlrev_b32_e32 v22, 1, v1
	s_lshl_b32 s18, s8, 2
	s_load_dwordx4 s[40:43], s[4:5], 0x70
	s_ashr_i32 s45, s44, 31
	s_ashr_i32 s38, s10, 31
	v_or_b32_e32 v20, 1, v22
	v_add_nc_u32_e32 v23, s18, v22
	v_lshlrev_b32_e32 v31, 8, v1
	v_mov_b32_e32 v29, 0
	v_add_nc_u32_e32 v21, s18, v20
	v_mul_hi_u32 v2, v23, s28
	v_mul_hi_u32 v3, v21, s28
	v_add_nc_u32_e32 v2, v23, v2
	s_waitcnt lgkmcnt(0)
	s_mul_i32 s6, s33, s42
	v_add_nc_u32_e32 v3, v21, v3
	v_lshrrev_b32_e32 v2, s29, v2
	s_mul_i32 s7, s44, s41
	s_ashr_i32 s9, s6, 31
	s_add_u32 s6, s12, s6
	v_lshrrev_b32_e32 v3, s29, v3
	v_mul_lo_u32 v2, v2, s30
	s_addc_u32 s9, s13, s9
	s_ashr_i32 s10, s7, 31
	s_add_u32 s11, s6, s7
	v_mul_lo_u32 v4, v3, s30
	s_addc_u32 s9, s9, s10
	s_ashr_i32 s41, s40, 31
	v_sub_nc_u32_e32 v30, v23, v2
	s_lshr_b64 s[6:7], s[40:41], 2
	s_mov_b32 s7, 0
	v_sub_nc_u32_e32 v8, v21, v4
	v_mad_u64_u32 v[2:3], null, s6, v30, 0
	v_mad_u64_u32 v[4:5], null, s6, v8, 0
	s_lshr_b32 s6, s41, 2
	s_cmp_eq_u64 s[22:23], 0
	v_mad_u64_u32 v[6:7], null, s6, v30, v[3:4]
	v_mov_b32_e32 v3, v5
	v_mad_u64_u32 v[7:8], null, s6, v8, v[3:4]
	v_mov_b32_e32 v3, v6
	v_lshlrev_b32_e32 v6, 3, v0
	v_lshlrev_b64 v[2:3], 2, v[2:3]
	v_mov_b32_e32 v5, v7
	v_add_co_u32 v6, s6, s11, v6
	v_add_co_ci_u32_e64 v7, null, s9, 0, s6
	v_lshlrev_b64 v[4:5], 2, v[4:5]
	v_add_co_u32 v2, vcc_lo, v6, v2
	v_add_co_ci_u32_e64 v3, null, v7, v3, vcc_lo
	v_add_co_u32 v4, vcc_lo, v6, v4
	v_add_co_ci_u32_e64 v5, null, v7, v5, vcc_lo
	s_clause 0x1
	global_load_dwordx2 v[2:3], v[2:3], off
	global_load_dwordx2 v[4:5], v[4:5], off
	v_lshl_or_b32 v6, v0, 2, 0x1200
	v_add_nc_u32_e32 v7, v6, v31
	v_lshl_add_u32 v6, v20, 7, v6
	s_waitcnt vmcnt(1)
	v_fma_mixlo_f16 v3, s36, v3, 0
	s_waitcnt vmcnt(0)
	v_fma_mixlo_f16 v5, s36, v5, 0
	v_fma_mixlo_f16 v2, s36, v2, 0
	;; [unrolled: 1-line block ×3, first 2 shown]
	v_lshlrev_b32_e32 v3, 16, v3
	v_lshlrev_b32_e32 v5, 16, v5
	v_or_b32_sdwa v2, v3, v2 dst_sel:DWORD dst_unused:UNUSED_PAD src0_sel:DWORD src1_sel:WORD_0
	v_or_b32_sdwa v3, v5, v4 dst_sel:DWORD dst_unused:UNUSED_PAD src0_sel:DWORD src1_sel:WORD_0
	ds_write_b32 v7, v2
	ds_write_b32 v6, v3
	s_waitcnt lgkmcnt(0)
	s_barrier
	buffer_gl0_inv
	s_cbranch_scc1 .LBB65_6
; %bb.5:
	s_load_dword s6, s[4:5], 0xd0
	s_waitcnt lgkmcnt(0)
	s_mul_i32 s6, s6, s33
	s_add_i32 s6, s6, s8
	s_lshl_b64 s[6:7], s[6:7], 2
	s_add_u32 s6, s22, s6
	s_addc_u32 s7, s23, s7
	s_load_dword s48, s[6:7], 0x0
.LBB65_6:
	s_clause 0x2
	s_load_dwordx2 s[6:7], s[4:5], 0x8c
	s_load_dwordx4 s[8:11], s[4:5], 0x98
	s_load_dwordx2 s[40:41], s[4:5], 0xa8
	s_ashr_i32 s13, s33, 31
	s_ashr_i32 s19, s51, 1
	s_mul_i32 s23, s37, s35
	v_lshrrev_b32_e32 v34, 3, v0
	v_lshlrev_b32_e32 v25, 2, v0
	v_mul_u32_u24_e32 v33, 0x90, v0
	v_mbcnt_lo_u32_b32 v24, -1, 0
	s_waitcnt lgkmcnt(0)
	s_ashr_i32 s22, s6, 2
	s_ashr_i32 s12, s10, 2
	s_mul_hi_u32 s6, s8, s33
	s_mul_i32 s10, s8, s13
	s_mul_i32 s9, s9, s33
	s_add_i32 s6, s6, s10
	s_mul_i32 s8, s8, s33
	s_add_i32 s6, s6, s9
	s_add_u32 s8, s14, s8
	s_addc_u32 s6, s15, s6
	s_sub_i32 s10, s49, s23
	s_xor_b32 s9, s45, s38
	s_add_i32 s14, s37, 1
	s_sub_i32 s15, s10, s35
	s_cmp_ge_u32 s10, s35
	s_mul_i32 s13, s40, s13
	s_cselect_b32 s14, s14, s37
	s_cselect_b32 s10, s15, s10
	s_add_i32 s15, s14, 1
	s_cmp_ge_u32 s10, s35
	s_mul_i32 s23, s40, s33
	s_cselect_b32 s10, s15, s14
	s_mul_hi_u32 s14, s40, s33
	s_xor_b32 s10, s10, s9
	s_mul_i32 s15, s41, s33
	s_sub_i32 s10, s10, s9
	s_mul_i32 s7, s10, s7
	s_mul_i32 s10, s10, s11
	s_ashr_i32 s9, s7, 31
	s_add_u32 s8, s8, s7
	s_addc_u32 s9, s6, s9
	s_add_i32 s6, s14, s13
	s_add_i32 s6, s6, s15
	s_add_u32 s7, s16, s23
	s_addc_u32 s6, s17, s6
	s_ashr_i32 s11, s10, 31
	s_add_u32 s14, s7, s10
	s_addc_u32 s13, s6, s11
	s_lshl_b32 s15, s34, 5
	s_sub_i32 s10, s48, 32
	s_cmp_ge_i32 s15, s10
	s_cbranch_scc1 .LBB65_15
; %bb.7:
	v_or_b32_e32 v4, 1, v23
	v_lshl_add_u32 v3, v1, 2, v34
	v_and_b32_e32 v27, 28, v25
	s_lshl_b32 s6, s22, 3
	s_cmp_lg_u64 s[46:47], 0
	v_mul_hi_u32 v5, s28, v4
	v_mul_lo_u32 v2, s22, v3
	v_mul_lo_u32 v12, s12, v3
	v_lshlrev_b32_e32 v6, 2, v27
	s_cselect_b32 s11, -1, 0
	s_lshl_b32 s7, s12, 3
	v_lshl_add_u32 v37, v1, 7, 0x1400
	v_mul_lo_u32 v36, v30, s19
	v_add_nc_u32_e32 v5, v4, v5
	v_mad_u32_u24 v38, 0x90, v3, v6
	v_lshl_or_b32 v39, v3, 7, v6
	v_add_nc_u32_e32 v6, s6, v2
	v_add_nc_u32_e32 v14, s7, v12
	v_lshrrev_b32_e32 v5, s29, v5
	v_ashrrev_i32_e32 v3, 31, v2
	v_ashrrev_i32_e32 v13, 31, v12
	v_add_nc_u32_e32 v8, s6, v6
	v_add_nc_u32_e32 v16, s7, v14
	v_mul_lo_u32 v5, v5, s30
	v_ashrrev_i32_e32 v7, 31, v6
	v_ashrrev_i32_e32 v15, 31, v14
	v_add_nc_u32_e32 v10, s6, v8
	v_add_nc_u32_e32 v18, s7, v16
	v_ashrrev_i32_e32 v9, 31, v8
	v_ashrrev_i32_e32 v17, 31, v16
	v_lshlrev_b64 v[6:7], 2, v[6:7]
	v_sub_nc_u32_e32 v4, v4, v5
	v_ashrrev_i32_e32 v11, 31, v10
	v_ashrrev_i32_e32 v19, 31, v18
	v_lshlrev_b64 v[8:9], 2, v[8:9]
	v_lshlrev_b64 v[12:13], 2, v[12:13]
	v_mul_lo_u32 v44, v4, s19
	v_lshlrev_b64 v[4:5], 2, v[2:3]
	v_lshlrev_b64 v[10:11], 2, v[10:11]
	;; [unrolled: 1-line block ×5, first 2 shown]
	v_mov_b32_e32 v26, 0
	v_add_nc_u32_e32 v35, 0x1200, v31
	v_add_nc_u32_e32 v40, 0x480, v38
	;; [unrolled: 1-line block ×7, first 2 shown]
	v_mov_b32_e32 v53, 0xfeffffff
	v_lshlrev_b32_e32 v47, 2, v27
	v_add_nc_u32_e32 v48, v37, v25
	v_mbcnt_lo_u32_b32 v49, -1, 0
	v_mov_b32_e32 v50, 0x10001
	v_mov_b32_e32 v27, 0
	;; [unrolled: 1-line block ×5, first 2 shown]
	s_add_u32 s6, s4, 0xd0
	s_addc_u32 s7, s5, 0
.LBB65_8:                               ; =>This Inner Loop Header: Depth=1
	s_mul_hi_i32 s17, s15, s22
	s_mul_i32 s16, s15, s22
	s_lshl_b64 s[16:17], s[16:17], 2
	s_add_u32 s16, s8, s16
	s_addc_u32 s17, s9, s17
	v_add_co_u32 v2, vcc_lo, s16, v4
	v_add_co_ci_u32_e64 v3, null, s17, v5, vcc_lo
	v_add_co_u32 v29, vcc_lo, s16, v6
	v_add_co_ci_u32_e64 v32, null, s17, v7, vcc_lo
	v_add_co_u32 v2, vcc_lo, v2, v47
	v_add_co_ci_u32_e64 v3, null, 0, v3, vcc_lo
	v_add_co_u32 v59, vcc_lo, v29, v47
	v_add_co_ci_u32_e64 v60, null, 0, v32, vcc_lo
	v_add_co_u32 v29, vcc_lo, s16, v8
	v_add_co_ci_u32_e64 v32, null, s17, v9, vcc_lo
	v_add_co_u32 v55, vcc_lo, s16, v10
	v_add_co_ci_u32_e64 v56, null, s17, v11, vcc_lo
	v_add_co_u32 v63, vcc_lo, v29, v47
	v_add_co_ci_u32_e64 v64, null, 0, v32, vcc_lo
	v_add_co_u32 v67, vcc_lo, v55, v47
	v_add_co_ci_u32_e64 v68, null, 0, v56, vcc_lo
	s_clause 0x3
	global_load_dwordx4 v[55:58], v[2:3], off
	global_load_dwordx4 v[59:62], v[59:60], off
	;; [unrolled: 1-line block ×4, first 2 shown]
	v_mov_b32_e32 v3, 0
	v_mov_b32_e32 v2, 0
	;; [unrolled: 1-line block ×3, first 2 shown]
	s_andn2_b32 vcc_lo, exec_lo, s11
	s_waitcnt vmcnt(3)
	ds_write_b128 v38, v[55:58]
	s_waitcnt vmcnt(2)
	ds_write_b128 v40, v[59:62]
	;; [unrolled: 2-line block ×4, first 2 shown]
	s_waitcnt lgkmcnt(0)
	s_barrier
	buffer_gl0_inv
	ds_read_b128 v[55:58], v33
	ds_read_b128 v[59:62], v35
	ds_read_b128 v[63:66], v35 offset:128
	s_waitcnt lgkmcnt(1)
	;;#ASMSTART
	v_dot2_f32_f16 v3, v55, v59, v3
	;;#ASMEND
	;;#ASMSTART
	v_dot2_f32_f16 v3, v56, v60, v3
	;;#ASMEND
	;;#ASMSTART
	v_dot2_f32_f16 v3, v57, v61, v3
	;;#ASMEND
	;;#ASMSTART
	v_dot2_f32_f16 v3, v58, v62, v3
	;;#ASMEND
	s_waitcnt lgkmcnt(0)
	;;#ASMSTART
	v_dot2_f32_f16 v2, v55, v63, v2
	;;#ASMEND
	;;#ASMSTART
	v_dot2_f32_f16 v2, v56, v64, v2
	;;#ASMEND
	;;#ASMSTART
	v_dot2_f32_f16 v2, v57, v65, v2
	;;#ASMEND
	;;#ASMSTART
	v_dot2_f32_f16 v2, v58, v66, v2
	;;#ASMEND
	ds_read_b128 v[55:58], v33 offset:16
	ds_read_b128 v[59:62], v35 offset:16
	ds_read_b128 v[63:66], v35 offset:144
	s_waitcnt lgkmcnt(1)
	;;#ASMSTART
	v_dot2_f32_f16 v3, v55, v59, v3
	;;#ASMEND
	;;#ASMSTART
	v_dot2_f32_f16 v3, v56, v60, v3
	;;#ASMEND
	;;#ASMSTART
	v_dot2_f32_f16 v3, v57, v61, v3
	;;#ASMEND
	;;#ASMSTART
	v_dot2_f32_f16 v3, v58, v62, v3
	;;#ASMEND
	s_waitcnt lgkmcnt(0)
	;;#ASMSTART
	v_dot2_f32_f16 v2, v55, v63, v2
	;;#ASMEND
	;;#ASMSTART
	v_dot2_f32_f16 v2, v56, v64, v2
	;;#ASMEND
	;;#ASMSTART
	v_dot2_f32_f16 v2, v57, v65, v2
	;;#ASMEND
	;;#ASMSTART
	v_dot2_f32_f16 v2, v58, v66, v2
	;;#ASMEND
	ds_read_b128 v[55:58], v33 offset:32
	ds_read_b128 v[59:62], v35 offset:32
	;; [unrolled: 29-line block ×7, first 2 shown]
	ds_read_b128 v[65:68], v35 offset:240
	s_waitcnt lgkmcnt(1)
	;;#ASMSTART
	v_dot2_f32_f16 v3, v55, v61, v3
	;;#ASMEND
	v_add_nc_u32_e32 v60, s15, v0
	;;#ASMSTART
	v_dot2_f32_f16 v3, v56, v62, v3
	;;#ASMEND
	;;#ASMSTART
	v_dot2_f32_f16 v3, v57, v63, v3
	;;#ASMEND
	;; [unrolled: 3-line block ×3, first 2 shown]
	s_waitcnt lgkmcnt(0)
	;;#ASMSTART
	v_dot2_f32_f16 v2, v55, v65, v2
	;;#ASMEND
	;;#ASMSTART
	v_dot2_f32_f16 v2, v56, v66, v2
	;;#ASMEND
	;; [unrolled: 3-line block ×4, first 2 shown]
	s_cbranch_vccnz .LBB65_10
; %bb.9:                                ;   in Loop: Header=BB65_8 Depth=1
	v_add_nc_u32_e32 v55, v60, v36
	v_ashrrev_i32_e32 v56, 31, v55
	v_lshlrev_b64 v[55:56], 1, v[55:56]
	v_add_co_u32 v55, vcc_lo, s46, v55
	v_add_co_ci_u32_e64 v56, null, s47, v56, vcc_lo
	global_load_ushort v29, v[55:56], off
	s_waitcnt vmcnt(0)
	v_cvt_f32_f16_e32 v29, v29
	v_mul_f32_e32 v29, v28, v29
.LBB65_10:                              ;   in Loop: Header=BB65_8 Depth=1
	v_xor_b32_e32 v32, 16, v49
	v_add_f32_e32 v29, v3, v29
	v_max_f32_e32 v55, v53, v53
	v_xor_b32_e32 v56, 8, v49
	v_cmp_gt_i32_e32 vcc_lo, 32, v32
	v_cndmask_b32_e32 v3, v49, v32, vcc_lo
	v_add_f32_e32 v32, 0x40051340, v29
	v_cmp_gt_i32_e32 vcc_lo, 32, v56
	v_lshlrev_b32_e32 v3, 2, v3
	v_max_f32_e32 v55, v55, v32
	v_cndmask_b32_e32 v56, v49, v56, vcc_lo
	ds_bpermute_b32 v32, v3, v55
	s_waitcnt lgkmcnt(0)
	v_max_f32_e32 v57, v32, v32
	v_lshlrev_b32_e32 v32, 2, v56
	v_max_f32_e32 v56, v55, v57
	v_xor_b32_e32 v57, 4, v49
	ds_bpermute_b32 v55, v32, v56
	v_cmp_gt_i32_e32 vcc_lo, 32, v57
	v_cndmask_b32_e32 v57, v49, v57, vcc_lo
	s_waitcnt lgkmcnt(0)
	v_max_f32_e32 v58, v55, v55
	v_lshlrev_b32_e32 v55, 2, v57
	v_max_f32_e32 v57, v56, v58
	v_xor_b32_e32 v58, 2, v49
	ds_bpermute_b32 v56, v55, v57
	v_cmp_gt_i32_e32 vcc_lo, 32, v58
	v_cndmask_b32_e32 v58, v49, v58, vcc_lo
	;; [unrolled: 8-line block ×3, first 2 shown]
	s_andn2_b32 vcc_lo, exec_lo, s11
	s_waitcnt lgkmcnt(0)
	v_max_f32_e32 v61, v58, v58
	v_lshlrev_b32_e32 v58, 2, v59
	v_max_f32_e32 v57, v57, v61
	ds_bpermute_b32 v59, v58, v57
	s_cbranch_vccnz .LBB65_12
; %bb.11:                               ;   in Loop: Header=BB65_8 Depth=1
	v_add_nc_u32_e32 v60, v60, v44
	v_ashrrev_i32_e32 v61, 31, v60
	v_lshlrev_b64 v[60:61], 1, v[60:61]
	v_add_co_u32 v60, vcc_lo, s46, v60
	v_add_co_ci_u32_e64 v61, null, s47, v61, vcc_lo
	global_load_ushort v60, v[60:61], off
	s_waitcnt vmcnt(0)
	v_cvt_f32_f16_e32 v60, v60
	v_mul_f32_e32 v60, v28, v60
	s_branch .LBB65_13
.LBB65_12:                              ;   in Loop: Header=BB65_8 Depth=1
	v_mov_b32_e32 v60, 0
.LBB65_13:                              ;   in Loop: Header=BB65_8 Depth=1
	s_mul_hi_i32 s17, s15, s12
	s_mul_i32 s16, s15, s12
	s_waitcnt lgkmcnt(0)
	s_lshl_b64 s[16:17], s[16:17], 2
	s_barrier
	s_add_u32 s16, s14, s16
	s_addc_u32 s17, s13, s17
	v_add_co_u32 v61, vcc_lo, s16, v12
	v_add_co_ci_u32_e64 v62, null, s17, v13, vcc_lo
	v_add_co_u32 v63, vcc_lo, s16, v14
	v_add_co_ci_u32_e64 v64, null, s17, v15, vcc_lo
	;; [unrolled: 2-line block ×8, first 2 shown]
	buffer_gl0_inv
	s_clause 0x3
	global_load_dwordx4 v[61:64], v[61:62], off
	global_load_dwordx4 v[65:68], v[65:66], off
	;; [unrolled: 1-line block ×4, first 2 shown]
	v_add_f32_e32 v60, v2, v60
	v_max_f32_e32 v2, v54, v54
	v_add_f32_e32 v77, 0x40051340, v60
	v_max_f32_e32 v2, v2, v77
	ds_bpermute_b32 v3, v3, v2
	s_waitcnt lgkmcnt(0)
	v_max_f32_e32 v3, v3, v3
	v_max_f32_e32 v2, v2, v3
	ds_bpermute_b32 v3, v32, v2
	v_max_f32_e32 v32, v59, v59
	s_waitcnt lgkmcnt(0)
	v_max_f32_e32 v3, v3, v3
	v_max_f32_e32 v2, v2, v3
	ds_bpermute_b32 v3, v55, v2
	v_max_f32_e32 v55, v57, v57
	s_waitcnt lgkmcnt(0)
	v_max_f32_e32 v3, v3, v3
	v_max_f32_e32 v2, v2, v3
	ds_bpermute_b32 v3, v56, v2
	s_waitcnt lgkmcnt(0)
	v_max_f32_e32 v3, v3, v3
	v_max_f32_e32 v3, v2, v3
	ds_bpermute_b32 v2, v58, v3
	s_waitcnt lgkmcnt(0)
	v_max_f32_e32 v56, v2, v2
	v_max_f32_e32 v2, v55, v32
	;; [unrolled: 1-line block ×3, first 2 shown]
	v_sub_f32_e32 v29, v29, v2
	v_sub_f32_e32 v53, v53, v2
	;; [unrolled: 1-line block ×3, first 2 shown]
	v_mul_f32_e32 v32, 0x3fb8aa3b, v29
	v_sub_f32_e32 v54, v54, v3
	v_cmp_ngt_f32_e32 vcc_lo, 0xc2ce8ed0, v29
	v_mul_f32_e32 v56, 0x3fb8aa3b, v55
	v_fma_f32 v57, 0x3fb8aa3b, v29, -v32
	v_rndne_f32_e32 v58, v32
	v_fma_f32 v59, 0x3fb8aa3b, v55, -v56
	v_rndne_f32_e32 v60, v56
	v_fmac_f32_e32 v57, 0x32a5705f, v29
	v_sub_f32_e32 v32, v32, v58
	v_cvt_i32_f32_e32 v58, v58
	v_fmac_f32_e32 v59, 0x32a5705f, v55
	v_sub_f32_e32 v56, v56, v60
	v_cvt_i32_f32_e32 v60, v60
	v_add_f32_e32 v32, v32, v57
	v_mul_f32_e32 v57, 0x3fb8aa3b, v53
	v_add_f32_e32 v56, v56, v59
	v_exp_f32_e32 v32, v32
	v_fma_f32 v59, 0x3fb8aa3b, v53, -v57
	v_rndne_f32_e32 v77, v57
	v_exp_f32_e32 v56, v56
	v_fmac_f32_e32 v59, 0x32a5705f, v53
	v_sub_f32_e32 v57, v57, v77
	v_cvt_i32_f32_e32 v77, v77
	v_ldexp_f32 v32, v32, v58
	v_mul_f32_e32 v58, 0x3fb8aa3b, v54
	v_add_f32_e32 v57, v57, v59
	v_ldexp_f32 v56, v56, v60
	v_cndmask_b32_e32 v32, 0, v32, vcc_lo
	v_cmp_ngt_f32_e32 vcc_lo, 0xc2ce8ed0, v55
	v_fma_f32 v59, 0x3fb8aa3b, v54, -v58
	v_rndne_f32_e32 v60, v58
	v_cndmask_b32_e32 v56, 0, v56, vcc_lo
	v_cmp_nlt_f32_e32 vcc_lo, 0x42b17218, v29
	v_fmac_f32_e32 v59, 0x32a5705f, v54
	v_cndmask_b32_e32 v32, 0x7f800000, v32, vcc_lo
	v_cmp_nlt_f32_e32 vcc_lo, 0x42b17218, v55
	v_exp_f32_e32 v55, v57
	v_sub_f32_e32 v57, v58, v60
	v_cvt_i32_f32_e32 v60, v60
	v_cndmask_b32_e32 v29, 0x7f800000, v56, vcc_lo
	v_cvt_f16_f32_e32 v56, v32
	v_add_f32_e32 v57, v57, v59
	v_cmp_ngt_f32_e32 vcc_lo, 0xc2ce8ed0, v53
	v_cvt_f16_f32_e32 v58, v29
	v_ldexp_f32 v59, v55, v77
	v_exp_f32_e32 v77, v57
	v_pack_b32_f16 v56, v56, v58
	v_cndmask_b32_e32 v59, 0, v59, vcc_lo
	v_cmp_ngt_f32_e32 vcc_lo, 0xc2ce8ed0, v54
	ds_write_b32 v48, v56
	s_waitcnt vmcnt(3)
	ds_write_b128 v39, v[61:64]
	s_waitcnt vmcnt(2)
	ds_write_b128 v43, v[65:68]
	;; [unrolled: 2-line block ×4, first 2 shown]
	s_waitcnt lgkmcnt(0)
	s_barrier
	buffer_gl0_inv
	ds_read_b128 v[55:58], v37
	v_ldexp_f32 v60, v77, v60
	ds_read2_b32 v[63:64], v25 offset1:32
	v_cndmask_b32_e32 v60, 0, v60, vcc_lo
	v_cmp_nlt_f32_e32 vcc_lo, 0x42b17218, v53
	v_cndmask_b32_e32 v53, 0x7f800000, v59, vcc_lo
	v_cmp_nlt_f32_e32 vcc_lo, 0x42b17218, v54
	v_cvt_f16_f32_e32 v67, v53
	v_cndmask_b32_e32 v54, 0x7f800000, v60, vcc_lo
	ds_read_b128 v[59:62], v37 offset:16
	ds_read2_b32 v[65:66], v25 offset0:64 offset1:96
	s_waitcnt lgkmcnt(3)
	v_mul_u32_u24_sdwa v69, v55, v50 dst_sel:DWORD dst_unused:UNUSED_PAD src0_sel:WORD_0 src1_sel:DWORD
	v_mul_u32_u24_sdwa v55, v55, v50 dst_sel:DWORD dst_unused:UNUSED_PAD src0_sel:WORD_1 src1_sel:DWORD
	v_mul_u32_u24_sdwa v70, v67, v50 dst_sel:DWORD dst_unused:UNUSED_PAD src0_sel:WORD_0 src1_sel:DWORD
	v_cvt_f16_f32_e32 v68, v54
	v_fmac_f32_e32 v32, v51, v53
	s_waitcnt lgkmcnt(2)
	v_pk_mul_f16 v69, v63, v69
	v_pk_mul_f16 v55, v63, v55
	v_mul_u32_u24_sdwa v63, v56, v50 dst_sel:DWORD dst_unused:UNUSED_PAD src0_sel:WORD_0 src1_sel:DWORD
	v_mul_u32_u24_sdwa v71, v68, v50 dst_sel:DWORD dst_unused:UNUSED_PAD src0_sel:WORD_0 src1_sel:DWORD
	ds_read2_b32 v[67:68], v25 offset0:128 offset1:160
	v_mul_u32_u24_sdwa v56, v56, v50 dst_sel:DWORD dst_unused:UNUSED_PAD src0_sel:WORD_1 src1_sel:DWORD
	v_pk_fma_f16 v27, v27, v70, v69
	v_mul_u32_u24_sdwa v70, v58, v50 dst_sel:DWORD dst_unused:UNUSED_PAD src0_sel:WORD_1 src1_sel:DWORD
	v_pk_fma_f16 v26, v26, v71, v55
	v_mul_u32_u24_sdwa v55, v57, v50 dst_sel:DWORD dst_unused:UNUSED_PAD src0_sel:WORD_0 src1_sel:DWORD
	v_mul_u32_u24_sdwa v57, v57, v50 dst_sel:DWORD dst_unused:UNUSED_PAD src0_sel:WORD_1 src1_sel:DWORD
	v_pk_fma_f16 v63, v64, v63, v27
	v_add_nc_u32_e32 v69, 0x400, v25
	v_pk_fma_f16 v56, v64, v56, v26
	ds_read2_b32 v[26:27], v25 offset0:192 offset1:224
	v_mul_u32_u24_sdwa v64, v58, v50 dst_sel:DWORD dst_unused:UNUSED_PAD src0_sel:WORD_0 src1_sel:DWORD
	s_waitcnt lgkmcnt(2)
	v_pk_fma_f16 v63, v65, v55, v63
	v_mul_u32_u24_sdwa v71, v59, v50 dst_sel:DWORD dst_unused:UNUSED_PAD src0_sel:WORD_0 src1_sel:DWORD
	v_pk_fma_f16 v65, v65, v57, v56
	ds_read_b128 v[55:58], v37 offset:32
	v_mul_u32_u24_sdwa v59, v59, v50 dst_sel:DWORD dst_unused:UNUSED_PAD src0_sel:WORD_1 src1_sel:DWORD
	v_pk_fma_f16 v72, v66, v64, v63
	ds_read2_b32 v[63:64], v69 offset1:32
	v_pk_fma_f16 v65, v66, v70, v65
	v_mul_u32_u24_sdwa v66, v60, v50 dst_sel:DWORD dst_unused:UNUSED_PAD src0_sel:WORD_0 src1_sel:DWORD
	v_mul_u32_u24_sdwa v60, v60, v50 dst_sel:DWORD dst_unused:UNUSED_PAD src0_sel:WORD_1 src1_sel:DWORD
	s_waitcnt lgkmcnt(3)
	v_pk_fma_f16 v70, v67, v71, v72
	v_mul_u32_u24_sdwa v71, v62, v50 dst_sel:DWORD dst_unused:UNUSED_PAD src0_sel:WORD_1 src1_sel:DWORD
	v_pk_fma_f16 v59, v67, v59, v65
	v_mul_u32_u24_sdwa v67, v61, v50 dst_sel:DWORD dst_unused:UNUSED_PAD src0_sel:WORD_0 src1_sel:DWORD
	v_mul_u32_u24_sdwa v61, v61, v50 dst_sel:DWORD dst_unused:UNUSED_PAD src0_sel:WORD_1 src1_sel:DWORD
	v_pk_fma_f16 v70, v68, v66, v70
	ds_read2_b32 v[65:66], v69 offset0:64 offset1:96
	v_pk_fma_f16 v59, v68, v60, v59
	v_mul_u32_u24_sdwa v68, v62, v50 dst_sel:DWORD dst_unused:UNUSED_PAD src0_sel:WORD_0 src1_sel:DWORD
	v_add_nc_u32_e32 v72, 0xc00, v25
	s_waitcnt lgkmcnt(3)
	v_pk_fma_f16 v67, v26, v67, v70
	v_fmac_f32_e32 v29, v52, v54
	v_pk_fma_f16 v26, v26, v61, v59
	ds_read_b128 v[59:62], v37 offset:48
	s_waitcnt lgkmcnt(3)
	v_mul_u32_u24_sdwa v70, v55, v50 dst_sel:DWORD dst_unused:UNUSED_PAD src0_sel:WORD_0 src1_sel:DWORD
	v_mul_u32_u24_sdwa v55, v55, v50 dst_sel:DWORD dst_unused:UNUSED_PAD src0_sel:WORD_1 src1_sel:DWORD
	v_pk_fma_f16 v67, v27, v68, v67
	v_pk_fma_f16 v68, v27, v71, v26
	ds_read2_b32 v[26:27], v69 offset0:128 offset1:160
	v_mul_u32_u24_sdwa v71, v56, v50 dst_sel:DWORD dst_unused:UNUSED_PAD src0_sel:WORD_0 src1_sel:DWORD
	v_mul_u32_u24_sdwa v56, v56, v50 dst_sel:DWORD dst_unused:UNUSED_PAD src0_sel:WORD_1 src1_sel:DWORD
	s_waitcnt lgkmcnt(3)
	v_pk_fma_f16 v67, v63, v70, v67
	v_pk_fma_f16 v55, v63, v55, v68
	v_mul_u32_u24_sdwa v70, v57, v50 dst_sel:DWORD dst_unused:UNUSED_PAD src0_sel:WORD_0 src1_sel:DWORD
	v_mul_u32_u24_sdwa v57, v57, v50 dst_sel:DWORD dst_unused:UNUSED_PAD src0_sel:WORD_1 src1_sel:DWORD
	v_add_nc_u32_e32 v68, 0x800, v25
	v_pk_fma_f16 v67, v64, v71, v67
	v_pk_fma_f16 v55, v64, v56, v55
	ds_read2_b32 v[63:64], v69 offset0:192 offset1:224
	v_mul_u32_u24_sdwa v69, v58, v50 dst_sel:DWORD dst_unused:UNUSED_PAD src0_sel:WORD_0 src1_sel:DWORD
	v_mul_u32_u24_sdwa v71, v58, v50 dst_sel:DWORD dst_unused:UNUSED_PAD src0_sel:WORD_1 src1_sel:DWORD
	s_waitcnt lgkmcnt(3)
	v_pk_fma_f16 v67, v65, v70, v67
	v_pk_fma_f16 v65, v65, v57, v55
	ds_read_b128 v[55:58], v37 offset:64
	s_waitcnt lgkmcnt(3)
	v_mul_u32_u24_sdwa v70, v59, v50 dst_sel:DWORD dst_unused:UNUSED_PAD src0_sel:WORD_0 src1_sel:DWORD
	v_mul_u32_u24_sdwa v59, v59, v50 dst_sel:DWORD dst_unused:UNUSED_PAD src0_sel:WORD_1 src1_sel:DWORD
	v_pk_fma_f16 v67, v66, v69, v67
	v_pk_fma_f16 v69, v66, v71, v65
	ds_read2_b32 v[65:66], v68 offset1:32
	v_mul_u32_u24_sdwa v71, v60, v50 dst_sel:DWORD dst_unused:UNUSED_PAD src0_sel:WORD_0 src1_sel:DWORD
	v_mul_u32_u24_sdwa v60, v60, v50 dst_sel:DWORD dst_unused:UNUSED_PAD src0_sel:WORD_1 src1_sel:DWORD
	s_waitcnt lgkmcnt(3)
	v_pk_fma_f16 v67, v26, v70, v67
	v_pk_fma_f16 v26, v26, v59, v69
	v_mul_u32_u24_sdwa v59, v61, v50 dst_sel:DWORD dst_unused:UNUSED_PAD src0_sel:WORD_0 src1_sel:DWORD
	v_mul_u32_u24_sdwa v61, v61, v50 dst_sel:DWORD dst_unused:UNUSED_PAD src0_sel:WORD_1 src1_sel:DWORD
	v_mul_u32_u24_sdwa v69, v62, v50 dst_sel:DWORD dst_unused:UNUSED_PAD src0_sel:WORD_0 src1_sel:DWORD
	v_pk_fma_f16 v67, v27, v71, v67
	v_pk_fma_f16 v60, v27, v60, v26
	ds_read2_b32 v[26:27], v68 offset0:64 offset1:96
	v_mul_u32_u24_sdwa v70, v62, v50 dst_sel:DWORD dst_unused:UNUSED_PAD src0_sel:WORD_1 src1_sel:DWORD
	s_waitcnt lgkmcnt(3)
	v_pk_fma_f16 v67, v63, v59, v67
	v_pk_fma_f16 v63, v63, v61, v60
	ds_read_b128 v[59:62], v37 offset:80
	s_waitcnt lgkmcnt(3)
	v_mul_u32_u24_sdwa v71, v55, v50 dst_sel:DWORD dst_unused:UNUSED_PAD src0_sel:WORD_0 src1_sel:DWORD
	v_mul_u32_u24_sdwa v55, v55, v50 dst_sel:DWORD dst_unused:UNUSED_PAD src0_sel:WORD_1 src1_sel:DWORD
	v_pk_fma_f16 v67, v64, v69, v67
	v_pk_fma_f16 v69, v64, v70, v63
	ds_read2_b32 v[63:64], v68 offset0:128 offset1:160
	v_mul_u32_u24_sdwa v70, v56, v50 dst_sel:DWORD dst_unused:UNUSED_PAD src0_sel:WORD_0 src1_sel:DWORD
	v_mul_u32_u24_sdwa v56, v56, v50 dst_sel:DWORD dst_unused:UNUSED_PAD src0_sel:WORD_1 src1_sel:DWORD
	s_waitcnt lgkmcnt(3)
	v_pk_fma_f16 v71, v65, v71, v67
	v_pk_fma_f16 v55, v65, v55, v69
	v_mul_u32_u24_sdwa v65, v57, v50 dst_sel:DWORD dst_unused:UNUSED_PAD src0_sel:WORD_0 src1_sel:DWORD
	v_mul_u32_u24_sdwa v57, v57, v50 dst_sel:DWORD dst_unused:UNUSED_PAD src0_sel:WORD_1 src1_sel:DWORD
	ds_read2_b32 v[67:68], v68 offset0:192 offset1:224
	v_pk_fma_f16 v71, v66, v70, v71
	v_pk_fma_f16 v55, v66, v56, v55
	v_mul_u32_u24_sdwa v66, v58, v50 dst_sel:DWORD dst_unused:UNUSED_PAD src0_sel:WORD_0 src1_sel:DWORD
	v_mul_u32_u24_sdwa v73, v58, v50 dst_sel:DWORD dst_unused:UNUSED_PAD src0_sel:WORD_1 src1_sel:DWORD
	ds_read2_b32 v[69:70], v72 offset1:32
	s_waitcnt lgkmcnt(4)
	v_pk_fma_f16 v65, v26, v65, v71
	v_pk_fma_f16 v26, v26, v57, v55
	ds_read_b128 v[55:58], v37 offset:96
	s_waitcnt lgkmcnt(4)
	v_mul_u32_u24_sdwa v71, v59, v50 dst_sel:DWORD dst_unused:UNUSED_PAD src0_sel:WORD_0 src1_sel:DWORD
	v_mul_u32_u24_sdwa v59, v59, v50 dst_sel:DWORD dst_unused:UNUSED_PAD src0_sel:WORD_1 src1_sel:DWORD
	v_pk_fma_f16 v65, v27, v66, v65
	v_pk_fma_f16 v66, v27, v73, v26
	v_mul_u32_u24_sdwa v73, v60, v50 dst_sel:DWORD dst_unused:UNUSED_PAD src0_sel:WORD_0 src1_sel:DWORD
	v_mul_u32_u24_sdwa v74, v60, v50 dst_sel:DWORD dst_unused:UNUSED_PAD src0_sel:WORD_1 src1_sel:DWORD
	ds_read2_b32 v[26:27], v72 offset0:64 offset1:96
	s_waitcnt lgkmcnt(4)
	v_pk_fma_f16 v65, v63, v71, v65
	v_pk_fma_f16 v63, v63, v59, v66
	v_mul_u32_u24_sdwa v71, v61, v50 dst_sel:DWORD dst_unused:UNUSED_PAD src0_sel:WORD_0 src1_sel:DWORD
	v_mul_u32_u24_sdwa v61, v61, v50 dst_sel:DWORD dst_unused:UNUSED_PAD src0_sel:WORD_1 src1_sel:DWORD
	v_mul_u32_u24_sdwa v75, v62, v50 dst_sel:DWORD dst_unused:UNUSED_PAD src0_sel:WORD_0 src1_sel:DWORD
	v_pk_fma_f16 v73, v64, v73, v65
	v_pk_fma_f16 v74, v64, v74, v63
	v_mul_u32_u24_sdwa v76, v62, v50 dst_sel:DWORD dst_unused:UNUSED_PAD src0_sel:WORD_1 src1_sel:DWORD
	ds_read2_b32 v[59:60], v72 offset0:128 offset1:160
	ds_read_b128 v[63:66], v37 offset:112
	s_waitcnt lgkmcnt(5)
	v_pk_fma_f16 v71, v67, v71, v73
	v_pk_fma_f16 v67, v67, v61, v74
	ds_read2_b32 v[61:62], v72 offset0:192 offset1:224
	s_waitcnt lgkmcnt(4)
	v_mul_u32_u24_sdwa v72, v55, v50 dst_sel:DWORD dst_unused:UNUSED_PAD src0_sel:WORD_0 src1_sel:DWORD
	v_mul_u32_u24_sdwa v55, v55, v50 dst_sel:DWORD dst_unused:UNUSED_PAD src0_sel:WORD_1 src1_sel:DWORD
	v_pk_fma_f16 v71, v68, v75, v71
	v_pk_fma_f16 v67, v68, v76, v67
	v_mul_u32_u24_sdwa v68, v56, v50 dst_sel:DWORD dst_unused:UNUSED_PAD src0_sel:WORD_0 src1_sel:DWORD
	v_mul_u32_u24_sdwa v56, v56, v50 dst_sel:DWORD dst_unused:UNUSED_PAD src0_sel:WORD_1 src1_sel:DWORD
	s_waitcnt lgkmcnt(0)
	v_pk_fma_f16 v71, v69, v72, v71
	v_pk_fma_f16 v55, v69, v55, v67
	v_mul_u32_u24_sdwa v67, v57, v50 dst_sel:DWORD dst_unused:UNUSED_PAD src0_sel:WORD_0 src1_sel:DWORD
	v_mul_u32_u24_sdwa v57, v57, v50 dst_sel:DWORD dst_unused:UNUSED_PAD src0_sel:WORD_1 src1_sel:DWORD
	s_barrier
	v_pk_fma_f16 v68, v70, v68, v71
	v_pk_fma_f16 v55, v70, v56, v55
	v_mul_u32_u24_sdwa v56, v58, v50 dst_sel:DWORD dst_unused:UNUSED_PAD src0_sel:WORD_0 src1_sel:DWORD
	v_mul_u32_u24_sdwa v58, v58, v50 dst_sel:DWORD dst_unused:UNUSED_PAD src0_sel:WORD_1 src1_sel:DWORD
	buffer_gl0_inv
	v_pk_fma_f16 v67, v26, v67, v68
	v_pk_fma_f16 v26, v26, v57, v55
	s_load_dword s16, s[6:7], 0x4
	v_mul_u32_u24_sdwa v55, v63, v50 dst_sel:DWORD dst_unused:UNUSED_PAD src0_sel:WORD_0 src1_sel:DWORD
	v_mul_u32_u24_sdwa v57, v63, v50 dst_sel:DWORD dst_unused:UNUSED_PAD src0_sel:WORD_1 src1_sel:DWORD
	v_pk_fma_f16 v56, v27, v56, v67
	v_pk_fma_f16 v26, v27, v58, v26
	v_mul_u32_u24_sdwa v27, v64, v50 dst_sel:DWORD dst_unused:UNUSED_PAD src0_sel:WORD_0 src1_sel:DWORD
	v_mul_u32_u24_sdwa v58, v64, v50 dst_sel:DWORD dst_unused:UNUSED_PAD src0_sel:WORD_1 src1_sel:DWORD
	v_pk_fma_f16 v55, v59, v55, v56
	v_pk_fma_f16 v26, v59, v57, v26
	;; [unrolled: 4-line block ×4, first 2 shown]
	s_waitcnt lgkmcnt(0)
	s_lshl_b32 s16, s16, 5
	s_add_i32 s15, s16, s15
	v_pk_fma_f16 v27, v62, v55, v27
	v_pk_fma_f16 v26, v62, v58, v26
	s_cmp_lt_i32 s15, s10
	s_cbranch_scc0 .LBB65_16
; %bb.14:                               ;   in Loop: Header=BB65_8 Depth=1
	v_mov_b32_e32 v53, v2
	v_mov_b32_e32 v54, v3
	;; [unrolled: 1-line block ×4, first 2 shown]
	s_branch .LBB65_8
.LBB65_15:
	v_mov_b32_e32 v2, 0xfeffffff
	v_mov_b32_e32 v27, 0
	;; [unrolled: 1-line block ×5, first 2 shown]
.LBB65_16:
	v_lshlrev_b32_e32 v10, 1, v0
	s_cmp_gt_i32 s48, s15
	s_cbranch_scc1 .LBB65_19
; %bb.17:
	v_mbcnt_lo_u32_b32 v4, -1, 0
	v_mov_b32_e32 v13, 32
	v_xor_b32_e32 v9, 16, v4
	v_xor_b32_e32 v8, 8, v4
	v_xor_b32_e32 v11, 4, v4
	v_xor_b32_e32 v12, 2, v4
	v_xor_b32_e32 v14, 1, v4
	s_cbranch_execz .LBB65_20
; %bb.18:
	v_mov_b32_e32 v24, v4
	s_branch .LBB65_30
.LBB65_19:
                                        ; implicit-def: $vgpr4
                                        ; implicit-def: $vgpr13
                                        ; implicit-def: $vgpr9
                                        ; implicit-def: $vgpr8
                                        ; implicit-def: $vgpr11
                                        ; implicit-def: $vgpr12
                                        ; implicit-def: $vgpr14
.LBB65_20:
	v_lshl_add_u32 v7, v1, 2, v34
	s_mul_hi_i32 s7, s15, s22
	s_mul_i32 s6, s15, s22
	v_and_b32_e32 v4, 28, v25
	s_lshl_b64 s[6:7], s[6:7], 2
	v_mul_lo_u32 v5, s22, v7
	s_mov_b64 s[10:11], src_private_base
	s_sub_i32 s16, s48, s15
	s_add_u32 s10, s8, s6
	s_addc_u32 s9, s9, s7
	v_cmp_gt_i32_e64 s6, s16, v7
	s_lshl_b32 s17, s22, 3
	s_cmp_lg_u64 s[46:47], 0
	v_ashrrev_i32_e32 v6, 31, v5
	v_lshlrev_b64 v[8:9], 2, v[5:6]
	v_lshlrev_b32_e32 v6, 2, v4
	v_mad_u32_u24 v34, 0x90, v7, v6
	v_add_co_u32 v4, vcc_lo, s10, v8
	v_add_co_ci_u32_e64 v8, null, s9, v9, vcc_lo
	v_add_co_u32 v11, vcc_lo, v4, v6
	v_add_co_ci_u32_e64 v8, null, 0, v8, vcc_lo
	v_mov_b32_e32 v4, 0
	buffer_store_dword v4, off, s[0:3], 0
	buffer_store_dword v4, off, s[0:3], 0 offset:4
	buffer_store_dword v4, off, s[0:3], 0 offset:8
	;; [unrolled: 1-line block ×3, first 2 shown]
	v_cndmask_b32_e64 v9, s11, v8, s6
	v_cndmask_b32_e64 v8, 0, v11, s6
	flat_load_dwordx4 v[11:14], v[8:9]
	v_add_nc_u32_e32 v8, s17, v5
	buffer_store_dword v4, off, s[0:3], 0
	buffer_store_dword v4, off, s[0:3], 0 offset:4
	buffer_store_dword v4, off, s[0:3], 0 offset:8
	;; [unrolled: 1-line block ×3, first 2 shown]
	v_ashrrev_i32_e32 v9, 31, v8
	v_lshlrev_b64 v[15:16], 2, v[8:9]
	v_add_nc_u32_e32 v8, s17, v8
	v_add_co_u32 v5, vcc_lo, s10, v15
	v_add_co_ci_u32_e64 v9, null, s9, v16, vcc_lo
	v_add_nc_u32_e32 v16, 8, v7
	v_add_co_u32 v5, vcc_lo, v5, v6
	v_add_co_ci_u32_e64 v9, null, 0, v9, vcc_lo
	v_cmp_gt_i32_e64 s7, s16, v16
	v_add_nc_u32_e32 v15, 24, v7
	v_cndmask_b32_e64 v18, s11, v9, s7
	v_cndmask_b32_e64 v17, 0, v5, s7
	v_ashrrev_i32_e32 v9, 31, v8
	s_waitcnt vmcnt(0) lgkmcnt(0)
	ds_write_b128 v34, v[11:14]
	flat_load_dwordx4 v[11:14], v[17:18]
	v_lshlrev_b64 v[17:18], 2, v[8:9]
	buffer_store_dword v4, off, s[0:3], 0
	buffer_store_dword v4, off, s[0:3], 0 offset:4
	buffer_store_dword v4, off, s[0:3], 0 offset:8
	;; [unrolled: 1-line block ×3, first 2 shown]
	v_add_nc_u32_e32 v8, s17, v8
	s_cselect_b32 s17, -1, 0
	v_add_co_u32 v5, vcc_lo, s10, v17
	v_add_co_ci_u32_e64 v9, null, s9, v18, vcc_lo
	v_add_nc_u32_e32 v17, 16, v7
	v_add_co_u32 v5, vcc_lo, v5, v6
	v_add_co_ci_u32_e64 v9, null, 0, v9, vcc_lo
	v_cmp_gt_i32_e64 s8, s16, v17
	v_cndmask_b32_e64 v19, s11, v9, s8
	v_cndmask_b32_e64 v18, 0, v5, s8
	v_ashrrev_i32_e32 v9, 31, v8
	v_lshlrev_b64 v[8:9], 2, v[8:9]
	v_add_co_u32 v5, vcc_lo, s10, v8
	v_add_co_ci_u32_e64 v8, null, s9, v9, vcc_lo
	v_cmp_gt_i32_e64 s9, s16, v15
	v_add_co_u32 v5, vcc_lo, v5, v6
	v_add_co_ci_u32_e64 v8, null, 0, v8, vcc_lo
	v_cmp_gt_i32_e64 s10, s16, v0
	v_cndmask_b32_e64 v9, s11, v8, s9
	v_cndmask_b32_e64 v8, 0, v5, s9
	v_add_nc_u32_e32 v5, s15, v0
	s_waitcnt vmcnt(0) lgkmcnt(0)
	ds_write_b128 v34, v[11:14] offset:1152
	flat_load_dwordx4 v[11:14], v[18:19]
	buffer_store_dword v4, off, s[0:3], 0
	buffer_store_dword v4, off, s[0:3], 0 offset:4
	buffer_store_dword v4, off, s[0:3], 0 offset:8
	;; [unrolled: 1-line block ×3, first 2 shown]
	v_mov_b32_e32 v19, 0
	v_mov_b32_e32 v18, 0
	s_waitcnt vmcnt(0) lgkmcnt(0)
	ds_write_b128 v34, v[11:14] offset:2304
	flat_load_dwordx4 v[11:14], v[8:9]
	s_waitcnt vmcnt(0) lgkmcnt(0)
	ds_write_b128 v34, v[11:14] offset:3456
	s_waitcnt lgkmcnt(0)
	s_waitcnt_vscnt null, 0x0
	s_barrier
	buffer_gl0_inv
	ds_read_b128 v[11:14], v33
	ds_read_b128 v[34:37], v31 offset:4608
	ds_read_b128 v[38:41], v31 offset:4736
	s_waitcnt lgkmcnt(1)
	;;#ASMSTART
	v_dot2_f32_f16 v19, v11, v34, v19
	;;#ASMEND
	;;#ASMSTART
	v_dot2_f32_f16 v19, v12, v35, v19
	;;#ASMEND
	;;#ASMSTART
	v_dot2_f32_f16 v19, v13, v36, v19
	;;#ASMEND
	;;#ASMSTART
	v_dot2_f32_f16 v19, v14, v37, v19
	;;#ASMEND
	s_waitcnt lgkmcnt(0)
	;;#ASMSTART
	v_dot2_f32_f16 v18, v11, v38, v18
	;;#ASMEND
	;;#ASMSTART
	v_dot2_f32_f16 v18, v12, v39, v18
	;;#ASMEND
	;;#ASMSTART
	v_dot2_f32_f16 v18, v13, v40, v18
	;;#ASMEND
	;;#ASMSTART
	v_dot2_f32_f16 v18, v14, v41, v18
	;;#ASMEND
	ds_read_b128 v[11:14], v33 offset:16
	ds_read_b128 v[34:37], v31 offset:4624
	ds_read_b128 v[38:41], v31 offset:4752
	s_waitcnt lgkmcnt(1)
	;;#ASMSTART
	v_dot2_f32_f16 v19, v11, v34, v19
	;;#ASMEND
	;;#ASMSTART
	v_dot2_f32_f16 v19, v12, v35, v19
	;;#ASMEND
	;;#ASMSTART
	v_dot2_f32_f16 v19, v13, v36, v19
	;;#ASMEND
	;;#ASMSTART
	v_dot2_f32_f16 v19, v14, v37, v19
	;;#ASMEND
	s_waitcnt lgkmcnt(0)
	;;#ASMSTART
	v_dot2_f32_f16 v18, v11, v38, v18
	;;#ASMEND
	;;#ASMSTART
	v_dot2_f32_f16 v18, v12, v39, v18
	;;#ASMEND
	;;#ASMSTART
	v_dot2_f32_f16 v18, v13, v40, v18
	;;#ASMEND
	;;#ASMSTART
	v_dot2_f32_f16 v18, v14, v41, v18
	;;#ASMEND
	ds_read_b128 v[11:14], v33 offset:32
	;; [unrolled: 29-line block ×7, first 2 shown]
	ds_read_b128 v[37:40], v31 offset:4720
	ds_read_b128 v[41:44], v31 offset:4848
	s_waitcnt lgkmcnt(1)
	;;#ASMSTART
	v_dot2_f32_f16 v19, v33, v37, v19
	;;#ASMEND
	v_mov_b32_e32 v11, v2
	v_cndmask_b32_e64 v31, 0, 1, s17
	;;#ASMSTART
	v_dot2_f32_f16 v19, v34, v38, v19
	;;#ASMEND
	;;#ASMSTART
	v_dot2_f32_f16 v19, v35, v39, v19
	;;#ASMEND
	;; [unrolled: 3-line block ×3, first 2 shown]
	s_waitcnt lgkmcnt(0)
	;;#ASMSTART
	v_dot2_f32_f16 v18, v33, v41, v18
	;;#ASMEND
	;;#ASMSTART
	v_dot2_f32_f16 v18, v34, v42, v18
	;;#ASMEND
	;; [unrolled: 3-line block ×4, first 2 shown]
	s_and_saveexec_b32 s11, s10
	s_cbranch_execz .LBB65_24
; %bb.21:
	s_andn2_b32 vcc_lo, exec_lo, s17
	s_cbranch_vccnz .LBB65_23
; %bb.22:
	v_mad_u64_u32 v[8:9], null, v30, s19, v[5:6]
	v_ashrrev_i32_e32 v9, 31, v8
	v_lshlrev_b64 v[8:9], 1, v[8:9]
	v_add_co_u32 v8, vcc_lo, s46, v8
	v_add_co_ci_u32_e64 v9, null, s47, v9, vcc_lo
	global_load_ushort v4, v[8:9], off
	s_waitcnt vmcnt(0)
	v_cvt_f32_f16_e32 v4, v4
	v_mul_f32_e32 v4, v28, v4
.LBB65_23:
	v_add_f32_e32 v19, v19, v4
	v_max_f32_e32 v8, v2, v2
	v_add_f32_e32 v4, 0x40051340, v19
	v_max_f32_e32 v11, v8, v4
.LBB65_24:
	s_or_b32 exec_lo, exec_lo, s11
	v_xor_b32_e32 v9, 16, v24
	v_xor_b32_e32 v8, 8, v24
	v_cmp_gt_i32_e32 vcc_lo, 32, v9
	v_cndmask_b32_e32 v4, v24, v9, vcc_lo
	v_cmp_gt_i32_e32 vcc_lo, 32, v8
	v_lshlrev_b32_e32 v30, 2, v4
	v_cndmask_b32_e32 v12, v24, v8, vcc_lo
	ds_bpermute_b32 v4, v30, v11
	v_max_f32_e32 v11, v11, v11
	v_lshlrev_b32_e32 v33, 2, v12
	s_waitcnt lgkmcnt(0)
	v_max_f32_e32 v4, v4, v4
	v_max_f32_e32 v4, v11, v4
	v_xor_b32_e32 v11, 4, v24
	ds_bpermute_b32 v12, v33, v4
	v_cmp_gt_i32_e32 vcc_lo, 32, v11
	v_cndmask_b32_e32 v13, v24, v11, vcc_lo
	v_lshlrev_b32_e32 v34, 2, v13
	s_waitcnt lgkmcnt(0)
	v_max_f32_e32 v12, v12, v12
	v_max_f32_e32 v4, v4, v12
	v_xor_b32_e32 v12, 2, v24
	ds_bpermute_b32 v13, v34, v4
	v_cmp_gt_i32_e32 vcc_lo, 32, v12
	v_cndmask_b32_e32 v14, v24, v12, vcc_lo
	v_lshlrev_b32_e32 v35, 2, v14
	v_xor_b32_e32 v14, 1, v24
	v_cmp_gt_i32_e32 vcc_lo, 32, v14
	s_waitcnt lgkmcnt(0)
	v_max_f32_e32 v13, v13, v13
	v_cndmask_b32_e32 v36, v24, v14, vcc_lo
	v_max_f32_e32 v4, v4, v13
	v_lshlrev_b32_e32 v36, 2, v36
	ds_bpermute_b32 v13, v35, v4
	s_waitcnt lgkmcnt(0)
	v_max_f32_e32 v13, v13, v13
	v_max_f32_e32 v4, v4, v13
	ds_bpermute_b32 v13, v36, v4
	s_waitcnt lgkmcnt(0)
	v_max_f32_e32 v37, v13, v13
	v_mov_b32_e32 v13, 32
	v_max_f32_e32 v4, v4, v37
	v_mov_b32_e32 v37, v3
	s_and_saveexec_b32 s11, s10
	s_cbranch_execz .LBB65_29
; %bb.25:
	v_cmp_ne_u32_e32 vcc_lo, 1, v31
	s_cbranch_vccnz .LBB65_27
; %bb.26:
	v_or_b32_e32 v31, 1, v23
	v_mul_hi_u32 v37, s28, v31
	v_add_nc_u32_e32 v37, v31, v37
	v_lshrrev_b32_e32 v37, s29, v37
	v_mul_lo_u32 v37, v37, s30
	v_sub_nc_u32_e32 v31, v31, v37
	v_mad_u64_u32 v[37:38], null, v31, s19, v[5:6]
	v_ashrrev_i32_e32 v38, 31, v37
	v_lshlrev_b64 v[37:38], 1, v[37:38]
	v_add_co_u32 v37, vcc_lo, s46, v37
	v_add_co_ci_u32_e64 v38, null, s47, v38, vcc_lo
	global_load_ushort v5, v[37:38], off
	s_waitcnt vmcnt(0)
	v_cvt_f32_f16_e32 v5, v5
	v_mul_f32_e32 v5, v28, v5
	s_branch .LBB65_28
.LBB65_27:
	v_mov_b32_e32 v5, 0
.LBB65_28:
	v_add_f32_e32 v18, v18, v5
	v_max_f32_e32 v28, v3, v3
	v_add_f32_e32 v5, 0x40051340, v18
	v_max_f32_e32 v37, v28, v5
.LBB65_29:
	s_or_b32 exec_lo, exec_lo, s11
	ds_bpermute_b32 v5, v30, v37
	v_max_f32_e32 v28, v37, v37
	s_mov_b64 s[10:11], src_private_base
	s_mul_hi_i32 s23, s15, s12
	s_mul_i32 s22, s15, s12
	v_lshlrev_b32_e32 v1, 7, v1
	s_lshl_b64 s[22:23], s[22:23], 2
	v_mov_b32_e32 v39, 0
	s_add_u32 s14, s14, s22
	s_addc_u32 s13, s13, s23
	s_waitcnt lgkmcnt(0)
	s_barrier
	buffer_gl0_inv
	buffer_store_dword v39, off, s[0:3], 0
	buffer_store_dword v39, off, s[0:3], 0 offset:4
	buffer_store_dword v39, off, s[0:3], 0 offset:8
	;; [unrolled: 1-line block ×3, first 2 shown]
	v_lshl_or_b32 v16, v16, 7, v6
	v_sub_f32_e32 v2, v2, v4
	v_max_f32_e32 v5, v5, v5
	v_max_f32_e32 v5, v28, v5
	ds_bpermute_b32 v28, v33, v5
	s_waitcnt lgkmcnt(0)
	v_max_f32_e32 v28, v28, v28
	v_max_f32_e32 v5, v5, v28
	ds_bpermute_b32 v28, v34, v5
	s_waitcnt lgkmcnt(0)
	;; [unrolled: 4-line block ×3, first 2 shown]
	v_max_f32_e32 v28, v28, v28
	v_max_f32_e32 v5, v5, v28
	ds_bpermute_b32 v28, v36, v5
	v_add3_u32 v36, 0x1400, v1, v25
	s_waitcnt lgkmcnt(0)
	v_max_f32_e32 v28, v28, v28
	v_max_f32_e32 v5, v5, v28
	v_sub_f32_e32 v28, v19, v4
	v_sub_f32_e32 v33, v18, v5
	v_mul_f32_e32 v18, 0x3fb8aa3b, v28
	v_cmp_ngt_f32_e32 vcc_lo, 0xc2ce8ed0, v28
	v_sub_f32_e32 v3, v3, v5
	v_mul_f32_e32 v19, 0x3fb8aa3b, v33
	v_fma_f32 v30, 0x3fb8aa3b, v28, -v18
	v_rndne_f32_e32 v31, v18
	v_cmp_nlt_f32_e64 s10, 0x42b17218, v33
	v_fma_f32 v34, 0x3fb8aa3b, v33, -v19
	v_rndne_f32_e32 v35, v19
	v_fmac_f32_e32 v30, 0x32a5705f, v28
	v_sub_f32_e32 v18, v18, v31
	v_cvt_i32_f32_e32 v31, v31
	v_fmac_f32_e32 v34, 0x32a5705f, v33
	v_sub_f32_e32 v19, v19, v35
	v_add_f32_e32 v18, v18, v30
	v_mul_lo_u32 v30, s12, v7
	v_lshl_or_b32 v7, v7, 7, v6
	v_add_f32_e32 v19, v19, v34
	v_cvt_i32_f32_e32 v34, v35
	v_exp_f32_e32 v18, v18
	v_exp_f32_e32 v19, v19
	v_ldexp_f32 v18, v18, v31
	v_ashrrev_i32_e32 v31, 31, v30
	v_ldexp_f32 v34, v19, v34
	v_cndmask_b32_e32 v35, 0, v18, vcc_lo
	v_cmp_ngt_f32_e32 vcc_lo, 0xc2ce8ed0, v33
	v_lshlrev_b64 v[18:19], 2, v[30:31]
	v_cndmask_b32_e32 v31, 0, v34, vcc_lo
	v_cmp_nlt_f32_e32 vcc_lo, 0x42b17218, v28
	v_cndmask_b32_e64 v31, 0x7f800000, v31, s10
	v_cndmask_b32_e32 v28, 0x7f800000, v35, vcc_lo
	v_cmp_gt_u32_e32 vcc_lo, s16, v0
	v_add_co_u32 v33, s10, s14, v18
	v_add_co_ci_u32_e64 v34, null, s13, v19, s10
	v_cndmask_b32_e32 v18, 0, v28, vcc_lo
	v_cndmask_b32_e32 v19, 0, v31, vcc_lo
	v_add_co_u32 v28, vcc_lo, v33, v6
	v_add_co_ci_u32_e64 v31, null, 0, v34, vcc_lo
	v_cvt_f16_f32_e32 v33, v18
	v_cvt_f16_f32_e32 v35, v19
	v_cndmask_b32_e64 v34, s11, v31, s6
	v_pack_b32_f16 v31, v33, v35
	v_cndmask_b32_e64 v33, 0, v28, s6
	s_lshl_b32 s6, s12, 3
	v_add_nc_u32_e32 v30, s6, v30
	ds_write_b32 v36, v31
	flat_load_dwordx4 v[33:36], v[33:34]
	buffer_store_dword v39, off, s[0:3], 0
	buffer_store_dword v39, off, s[0:3], 0 offset:4
	buffer_store_dword v39, off, s[0:3], 0 offset:8
	;; [unrolled: 1-line block ×3, first 2 shown]
	v_ashrrev_i32_e32 v31, 31, v30
	v_lshlrev_b64 v[37:38], 2, v[30:31]
	v_add_nc_u32_e32 v30, s6, v30
	v_add_co_u32 v28, vcc_lo, s14, v37
	v_add_co_ci_u32_e64 v31, null, s13, v38, vcc_lo
	v_add_co_u32 v28, vcc_lo, v28, v6
	v_add_co_ci_u32_e64 v31, null, 0, v31, vcc_lo
	v_cndmask_b32_e64 v37, 0, v28, s7
	v_cndmask_b32_e64 v38, s11, v31, s7
	v_ashrrev_i32_e32 v31, 31, v30
	s_waitcnt vmcnt(0) lgkmcnt(0)
	ds_write_b128 v7, v[33:36]
	flat_load_dwordx4 v[33:36], v[37:38]
	v_lshlrev_b64 v[37:38], 2, v[30:31]
	buffer_store_dword v39, off, s[0:3], 0
	buffer_store_dword v39, off, s[0:3], 0 offset:4
	buffer_store_dword v39, off, s[0:3], 0 offset:8
	;; [unrolled: 1-line block ×3, first 2 shown]
	v_add_nc_u32_e32 v30, s6, v30
	v_add_co_u32 v7, vcc_lo, s14, v37
	v_add_co_ci_u32_e64 v28, null, s13, v38, vcc_lo
	v_ashrrev_i32_e32 v31, 31, v30
	v_add_co_u32 v7, vcc_lo, v7, v6
	v_add_co_ci_u32_e64 v28, null, 0, v28, vcc_lo
	v_lshlrev_b64 v[30:31], 2, v[30:31]
	v_cndmask_b32_e64 v37, 0, v7, s8
	v_cndmask_b32_e64 v38, s11, v28, s8
	v_lshl_or_b32 v28, v17, 7, v6
	v_add_co_u32 v7, vcc_lo, s14, v30
	s_waitcnt vmcnt(0) lgkmcnt(0)
	ds_write_b128 v16, v[33:36]
	flat_load_dwordx4 v[33:36], v[37:38]
	v_add_co_ci_u32_e64 v16, null, s13, v31, vcc_lo
	v_add_co_u32 v7, vcc_lo, v7, v6
	buffer_store_dword v39, off, s[0:3], 0
	buffer_store_dword v39, off, s[0:3], 0 offset:4
	buffer_store_dword v39, off, s[0:3], 0 offset:8
	;; [unrolled: 1-line block ×3, first 2 shown]
	v_add_co_ci_u32_e64 v16, null, 0, v16, vcc_lo
	v_lshl_or_b32 v6, v15, 7, v6
	v_cmp_ngt_f32_e32 vcc_lo, 0xc2ce8ed0, v2
	v_cndmask_b32_e64 v17, s11, v16, s9
	v_cndmask_b32_e64 v16, 0, v7, s9
	v_mul_f32_e32 v7, 0x3fb8aa3b, v2
	s_waitcnt vmcnt(0) lgkmcnt(0)
	ds_write_b128 v28, v[33:36]
	flat_load_dwordx4 v[33:36], v[16:17]
	v_fma_f32 v16, 0x3fb8aa3b, v2, -v7
	v_rndne_f32_e32 v17, v7
	v_mul_f32_e32 v28, 0x3fb8aa3b, v3
	v_fmac_f32_e32 v16, 0x32a5705f, v2
	v_sub_f32_e32 v7, v7, v17
	v_fma_f32 v30, 0x3fb8aa3b, v3, -v28
	v_rndne_f32_e32 v31, v28
	v_cvt_i32_f32_e32 v17, v17
	v_add_f32_e32 v7, v7, v16
	v_fmac_f32_e32 v30, 0x32a5705f, v3
	v_sub_f32_e32 v16, v28, v31
	v_exp_f32_e32 v7, v7
	v_add_f32_e32 v16, v16, v30
	v_exp_f32_e32 v15, v16
	v_cvt_i32_f32_e32 v16, v31
	v_ldexp_f32 v7, v7, v17
	v_cndmask_b32_e32 v7, 0, v7, vcc_lo
	v_cmp_ngt_f32_e32 vcc_lo, 0xc2ce8ed0, v3
	s_waitcnt vmcnt(0) lgkmcnt(0)
	ds_write_b128 v6, v[33:36]
	s_waitcnt lgkmcnt(0)
	s_waitcnt_vscnt null, 0x0
	s_barrier
	buffer_gl0_inv
	ds_read_b128 v[33:36], v1 offset:5120
	v_ldexp_f32 v6, v15, v16
	ds_read2_b32 v[15:16], v25 offset1:32
	ds_read_b128 v[37:40], v1 offset:5136
	ds_read2_b32 v[30:31], v25 offset0:64 offset1:96
	ds_read2_b32 v[41:42], v25 offset0:128 offset1:160
	v_cndmask_b32_e32 v17, 0, v6, vcc_lo
	v_cmp_nlt_f32_e32 vcc_lo, 0x42b17218, v2
	v_mov_b32_e32 v2, 0x10001
	v_cndmask_b32_e32 v6, 0x7f800000, v7, vcc_lo
	v_cmp_nlt_f32_e32 vcc_lo, 0x42b17218, v3
	v_cvt_f16_f32_e32 v7, v6
	v_cndmask_b32_e32 v3, 0x7f800000, v17, vcc_lo
	v_fmac_f32_e32 v18, v32, v6
	s_waitcnt lgkmcnt(4)
	v_mul_u32_u24_sdwa v28, v33, v2 dst_sel:DWORD dst_unused:UNUSED_PAD src0_sel:WORD_0 src1_sel:DWORD
	v_mul_u32_u24_sdwa v33, v33, v2 dst_sel:DWORD dst_unused:UNUSED_PAD src0_sel:WORD_1 src1_sel:DWORD
	v_mul_u32_u24_sdwa v7, v7, v2 dst_sel:DWORD dst_unused:UNUSED_PAD src0_sel:WORD_0 src1_sel:DWORD
	v_cvt_f16_f32_e32 v17, v3
	v_mul_u32_u24_sdwa v43, v36, v2 dst_sel:DWORD dst_unused:UNUSED_PAD src0_sel:WORD_0 src1_sel:DWORD
	s_waitcnt lgkmcnt(3)
	v_pk_mul_f16 v28, v15, v28
	v_pk_mul_f16 v15, v15, v33
	v_mul_u32_u24_sdwa v33, v34, v2 dst_sel:DWORD dst_unused:UNUSED_PAD src0_sel:WORD_0 src1_sel:DWORD
	v_mul_u32_u24_sdwa v17, v17, v2 dst_sel:DWORD dst_unused:UNUSED_PAD src0_sel:WORD_0 src1_sel:DWORD
	v_mul_u32_u24_sdwa v34, v34, v2 dst_sel:DWORD dst_unused:UNUSED_PAD src0_sel:WORD_1 src1_sel:DWORD
	v_pk_fma_f16 v7, v27, v7, v28
	v_mul_u32_u24_sdwa v27, v35, v2 dst_sel:DWORD dst_unused:UNUSED_PAD src0_sel:WORD_1 src1_sel:DWORD
	v_mul_u32_u24_sdwa v44, v36, v2 dst_sel:DWORD dst_unused:UNUSED_PAD src0_sel:WORD_1 src1_sel:DWORD
	v_pk_fma_f16 v15, v26, v17, v15
	v_mul_u32_u24_sdwa v26, v35, v2 dst_sel:DWORD dst_unused:UNUSED_PAD src0_sel:WORD_0 src1_sel:DWORD
	v_pk_fma_f16 v7, v16, v33, v7
	v_add_nc_u32_e32 v17, 0x400, v25
	v_fmac_f32_e32 v19, v29, v3
	v_pk_fma_f16 v28, v16, v34, v15
	ds_read2_b32 v[15:16], v25 offset0:192 offset1:224
	s_waitcnt lgkmcnt(2)
	v_pk_fma_f16 v7, v30, v26, v7
	ds_read_b128 v[33:36], v1 offset:5152
	v_mov_b32_e32 v32, v18
	v_pk_fma_f16 v26, v30, v27, v28
	v_mul_u32_u24_sdwa v28, v37, v2 dst_sel:DWORD dst_unused:UNUSED_PAD src0_sel:WORD_0 src1_sel:DWORD
	v_mul_u32_u24_sdwa v30, v37, v2 dst_sel:DWORD dst_unused:UNUSED_PAD src0_sel:WORD_1 src1_sel:DWORD
	v_pk_fma_f16 v7, v31, v43, v7
	v_mul_u32_u24_sdwa v37, v38, v2 dst_sel:DWORD dst_unused:UNUSED_PAD src0_sel:WORD_0 src1_sel:DWORD
	v_pk_fma_f16 v31, v31, v44, v26
	ds_read2_b32 v[26:27], v17 offset1:32
	v_mul_u32_u24_sdwa v38, v38, v2 dst_sel:DWORD dst_unused:UNUSED_PAD src0_sel:WORD_1 src1_sel:DWORD
	s_waitcnt lgkmcnt(3)
	v_pk_fma_f16 v7, v41, v28, v7
	v_mul_u32_u24_sdwa v43, v40, v2 dst_sel:DWORD dst_unused:UNUSED_PAD src0_sel:WORD_1 src1_sel:DWORD
	v_pk_fma_f16 v28, v41, v30, v31
	v_mul_u32_u24_sdwa v41, v39, v2 dst_sel:DWORD dst_unused:UNUSED_PAD src0_sel:WORD_0 src1_sel:DWORD
	v_mul_u32_u24_sdwa v39, v39, v2 dst_sel:DWORD dst_unused:UNUSED_PAD src0_sel:WORD_1 src1_sel:DWORD
	v_pk_fma_f16 v7, v42, v37, v7
	ds_read2_b32 v[30:31], v17 offset0:64 offset1:96
	v_pk_fma_f16 v28, v42, v38, v28
	v_mul_u32_u24_sdwa v42, v40, v2 dst_sel:DWORD dst_unused:UNUSED_PAD src0_sel:WORD_0 src1_sel:DWORD
	v_mov_b32_e32 v29, v19
	s_waitcnt lgkmcnt(3)
	v_pk_fma_f16 v7, v15, v41, v7
	v_pk_fma_f16 v15, v15, v39, v28
	ds_read_b128 v[37:40], v1 offset:5168
	s_waitcnt lgkmcnt(3)
	v_mul_u32_u24_sdwa v28, v33, v2 dst_sel:DWORD dst_unused:UNUSED_PAD src0_sel:WORD_0 src1_sel:DWORD
	v_mul_u32_u24_sdwa v33, v33, v2 dst_sel:DWORD dst_unused:UNUSED_PAD src0_sel:WORD_1 src1_sel:DWORD
	v_pk_fma_f16 v7, v16, v42, v7
	v_pk_fma_f16 v41, v16, v43, v15
	ds_read2_b32 v[15:16], v17 offset0:128 offset1:160
	v_mul_u32_u24_sdwa v42, v34, v2 dst_sel:DWORD dst_unused:UNUSED_PAD src0_sel:WORD_0 src1_sel:DWORD
	v_mul_u32_u24_sdwa v34, v34, v2 dst_sel:DWORD dst_unused:UNUSED_PAD src0_sel:WORD_1 src1_sel:DWORD
	s_waitcnt lgkmcnt(3)
	v_pk_fma_f16 v7, v26, v28, v7
	v_pk_fma_f16 v26, v26, v33, v41
	v_mul_u32_u24_sdwa v33, v35, v2 dst_sel:DWORD dst_unused:UNUSED_PAD src0_sel:WORD_0 src1_sel:DWORD
	v_mul_u32_u24_sdwa v35, v35, v2 dst_sel:DWORD dst_unused:UNUSED_PAD src0_sel:WORD_1 src1_sel:DWORD
	v_mul_u32_u24_sdwa v41, v36, v2 dst_sel:DWORD dst_unused:UNUSED_PAD src0_sel:WORD_1 src1_sel:DWORD
	v_pk_fma_f16 v7, v27, v42, v7
	v_pk_fma_f16 v34, v27, v34, v26
	ds_read2_b32 v[26:27], v17 offset0:192 offset1:224
	v_mul_u32_u24_sdwa v17, v36, v2 dst_sel:DWORD dst_unused:UNUSED_PAD src0_sel:WORD_0 src1_sel:DWORD
	v_add_nc_u32_e32 v28, 0x800, v25
	s_waitcnt lgkmcnt(3)
	v_pk_fma_f16 v7, v30, v33, v7
	v_pk_fma_f16 v30, v30, v35, v34
	ds_read_b128 v[33:36], v1 offset:5184
	s_waitcnt lgkmcnt(3)
	v_mul_u32_u24_sdwa v42, v37, v2 dst_sel:DWORD dst_unused:UNUSED_PAD src0_sel:WORD_0 src1_sel:DWORD
	v_mul_u32_u24_sdwa v37, v37, v2 dst_sel:DWORD dst_unused:UNUSED_PAD src0_sel:WORD_1 src1_sel:DWORD
	v_pk_fma_f16 v7, v31, v17, v7
	v_pk_fma_f16 v17, v31, v41, v30
	ds_read2_b32 v[30:31], v28 offset1:32
	v_mul_u32_u24_sdwa v41, v38, v2 dst_sel:DWORD dst_unused:UNUSED_PAD src0_sel:WORD_0 src1_sel:DWORD
	v_mul_u32_u24_sdwa v38, v38, v2 dst_sel:DWORD dst_unused:UNUSED_PAD src0_sel:WORD_1 src1_sel:DWORD
	s_waitcnt lgkmcnt(3)
	v_pk_fma_f16 v7, v15, v42, v7
	v_pk_fma_f16 v15, v15, v37, v17
	v_mul_u32_u24_sdwa v17, v39, v2 dst_sel:DWORD dst_unused:UNUSED_PAD src0_sel:WORD_0 src1_sel:DWORD
	v_mul_u32_u24_sdwa v37, v39, v2 dst_sel:DWORD dst_unused:UNUSED_PAD src0_sel:WORD_1 src1_sel:DWORD
	v_mul_u32_u24_sdwa v42, v40, v2 dst_sel:DWORD dst_unused:UNUSED_PAD src0_sel:WORD_1 src1_sel:DWORD
	v_pk_fma_f16 v7, v16, v41, v7
	v_pk_fma_f16 v38, v16, v38, v15
	ds_read2_b32 v[15:16], v28 offset0:64 offset1:96
	v_mul_u32_u24_sdwa v41, v40, v2 dst_sel:DWORD dst_unused:UNUSED_PAD src0_sel:WORD_0 src1_sel:DWORD
	v_add_nc_u32_e32 v43, 0xc00, v25
	s_waitcnt lgkmcnt(3)
	v_pk_fma_f16 v7, v26, v17, v7
	v_pk_fma_f16 v17, v26, v37, v38
	ds_read_b128 v[37:40], v1 offset:5200
	s_waitcnt lgkmcnt(3)
	v_mul_u32_u24_sdwa v26, v33, v2 dst_sel:DWORD dst_unused:UNUSED_PAD src0_sel:WORD_0 src1_sel:DWORD
	v_mul_u32_u24_sdwa v33, v33, v2 dst_sel:DWORD dst_unused:UNUSED_PAD src0_sel:WORD_1 src1_sel:DWORD
	v_pk_fma_f16 v7, v27, v41, v7
	v_pk_fma_f16 v17, v27, v42, v17
	ds_read2_b32 v[41:42], v28 offset0:128 offset1:160
	v_mul_u32_u24_sdwa v27, v34, v2 dst_sel:DWORD dst_unused:UNUSED_PAD src0_sel:WORD_0 src1_sel:DWORD
	v_mul_u32_u24_sdwa v34, v34, v2 dst_sel:DWORD dst_unused:UNUSED_PAD src0_sel:WORD_1 src1_sel:DWORD
	s_waitcnt lgkmcnt(3)
	v_pk_fma_f16 v7, v30, v26, v7
	v_pk_fma_f16 v17, v30, v33, v17
	v_mul_u32_u24_sdwa v25, v35, v2 dst_sel:DWORD dst_unused:UNUSED_PAD src0_sel:WORD_0 src1_sel:DWORD
	v_mul_u32_u24_sdwa v26, v35, v2 dst_sel:DWORD dst_unused:UNUSED_PAD src0_sel:WORD_1 src1_sel:DWORD
	v_mul_u32_u24_sdwa v33, v36, v2 dst_sel:DWORD dst_unused:UNUSED_PAD src0_sel:WORD_0 src1_sel:DWORD
	v_pk_fma_f16 v7, v31, v27, v7
	v_pk_fma_f16 v17, v31, v34, v17
	ds_read2_b32 v[30:31], v28 offset0:192 offset1:224
	v_mul_u32_u24_sdwa v34, v36, v2 dst_sel:DWORD dst_unused:UNUSED_PAD src0_sel:WORD_1 src1_sel:DWORD
	s_waitcnt lgkmcnt(3)
	v_pk_fma_f16 v7, v15, v25, v7
	v_pk_fma_f16 v15, v15, v26, v17
	ds_read_b128 v[25:28], v1 offset:5216
	s_waitcnt lgkmcnt(3)
	v_mul_u32_u24_sdwa v17, v37, v2 dst_sel:DWORD dst_unused:UNUSED_PAD src0_sel:WORD_0 src1_sel:DWORD
	v_mul_u32_u24_sdwa v35, v37, v2 dst_sel:DWORD dst_unused:UNUSED_PAD src0_sel:WORD_1 src1_sel:DWORD
	v_pk_fma_f16 v7, v16, v33, v7
	v_pk_fma_f16 v33, v16, v34, v15
	ds_read2_b32 v[15:16], v43 offset1:32
	v_mul_u32_u24_sdwa v34, v38, v2 dst_sel:DWORD dst_unused:UNUSED_PAD src0_sel:WORD_0 src1_sel:DWORD
	v_mul_u32_u24_sdwa v36, v38, v2 dst_sel:DWORD dst_unused:UNUSED_PAD src0_sel:WORD_1 src1_sel:DWORD
	s_waitcnt lgkmcnt(3)
	v_pk_fma_f16 v7, v41, v17, v7
	v_pk_fma_f16 v17, v41, v35, v33
	v_mul_u32_u24_sdwa v33, v39, v2 dst_sel:DWORD dst_unused:UNUSED_PAD src0_sel:WORD_0 src1_sel:DWORD
	v_mul_u32_u24_sdwa v35, v39, v2 dst_sel:DWORD dst_unused:UNUSED_PAD src0_sel:WORD_1 src1_sel:DWORD
	ds_read2_b32 v[37:38], v43 offset0:64 offset1:96
	v_pk_fma_f16 v7, v42, v34, v7
	v_pk_fma_f16 v17, v42, v36, v17
	v_mul_u32_u24_sdwa v39, v40, v2 dst_sel:DWORD dst_unused:UNUSED_PAD src0_sel:WORD_0 src1_sel:DWORD
	v_mul_u32_u24_sdwa v40, v40, v2 dst_sel:DWORD dst_unused:UNUSED_PAD src0_sel:WORD_1 src1_sel:DWORD
	s_waitcnt lgkmcnt(3)
	v_pk_fma_f16 v7, v30, v33, v7
	v_pk_fma_f16 v17, v30, v35, v17
	ds_read_b128 v[33:36], v1 offset:5232
	s_waitcnt lgkmcnt(3)
	v_mul_u32_u24_sdwa v1, v25, v2 dst_sel:DWORD dst_unused:UNUSED_PAD src0_sel:WORD_0 src1_sel:DWORD
	v_mul_u32_u24_sdwa v25, v25, v2 dst_sel:DWORD dst_unused:UNUSED_PAD src0_sel:WORD_1 src1_sel:DWORD
	v_pk_fma_f16 v7, v31, v39, v7
	v_pk_fma_f16 v17, v31, v40, v17
	ds_read2_b32 v[30:31], v43 offset0:128 offset1:160
	v_mul_u32_u24_sdwa v39, v26, v2 dst_sel:DWORD dst_unused:UNUSED_PAD src0_sel:WORD_0 src1_sel:DWORD
	v_mul_u32_u24_sdwa v26, v26, v2 dst_sel:DWORD dst_unused:UNUSED_PAD src0_sel:WORD_1 src1_sel:DWORD
	s_waitcnt lgkmcnt(3)
	v_pk_fma_f16 v1, v15, v1, v7
	v_pk_fma_f16 v7, v15, v25, v17
	v_mul_u32_u24_sdwa v17, v27, v2 dst_sel:DWORD dst_unused:UNUSED_PAD src0_sel:WORD_0 src1_sel:DWORD
	v_mul_u32_u24_sdwa v25, v27, v2 dst_sel:DWORD dst_unused:UNUSED_PAD src0_sel:WORD_1 src1_sel:DWORD
	v_mul_u32_u24_sdwa v27, v28, v2 dst_sel:DWORD dst_unused:UNUSED_PAD src0_sel:WORD_1 src1_sel:DWORD
	v_pk_fma_f16 v1, v16, v39, v1
	v_pk_fma_f16 v7, v16, v26, v7
	ds_read2_b32 v[15:16], v43 offset0:192 offset1:224
	v_mul_u32_u24_sdwa v26, v28, v2 dst_sel:DWORD dst_unused:UNUSED_PAD src0_sel:WORD_0 src1_sel:DWORD
	s_waitcnt lgkmcnt(0)
	v_pk_fma_f16 v1, v37, v17, v1
	v_pk_fma_f16 v7, v37, v25, v7
	v_mul_u32_u24_sdwa v17, v33, v2 dst_sel:DWORD dst_unused:UNUSED_PAD src0_sel:WORD_0 src1_sel:DWORD
	v_mul_u32_u24_sdwa v25, v33, v2 dst_sel:DWORD dst_unused:UNUSED_PAD src0_sel:WORD_1 src1_sel:DWORD
	v_mul_u32_u24_sdwa v6, v35, v2 dst_sel:DWORD dst_unused:UNUSED_PAD src0_sel:WORD_0 src1_sel:DWORD
	v_pk_fma_f16 v1, v38, v26, v1
	v_pk_fma_f16 v7, v38, v27, v7
	v_mul_u32_u24_sdwa v26, v34, v2 dst_sel:DWORD dst_unused:UNUSED_PAD src0_sel:WORD_0 src1_sel:DWORD
	v_mul_u32_u24_sdwa v27, v34, v2 dst_sel:DWORD dst_unused:UNUSED_PAD src0_sel:WORD_1 src1_sel:DWORD
	v_mul_u32_u24_sdwa v3, v36, v2 dst_sel:DWORD dst_unused:UNUSED_PAD src0_sel:WORD_0 src1_sel:DWORD
	v_pk_fma_f16 v1, v30, v17, v1
	v_pk_fma_f16 v7, v30, v25, v7
	v_mul_u32_u24_sdwa v17, v35, v2 dst_sel:DWORD dst_unused:UNUSED_PAD src0_sel:WORD_1 src1_sel:DWORD
	v_mul_u32_u24_sdwa v2, v36, v2 dst_sel:DWORD dst_unused:UNUSED_PAD src0_sel:WORD_1 src1_sel:DWORD
	s_barrier
	v_pk_fma_f16 v1, v31, v26, v1
	v_pk_fma_f16 v7, v31, v27, v7
	buffer_gl0_inv
	v_pk_fma_f16 v1, v15, v6, v1
	v_pk_fma_f16 v6, v15, v17, v7
	;; [unrolled: 1-line block ×4, first 2 shown]
	v_mov_b32_e32 v2, v4
	v_mov_b32_e32 v3, v5
.LBB65_30:
	v_cmp_lt_i32_e32 vcc_lo, v9, v13
	s_cmp_eq_u64 s[20:21], 0
	s_cselect_b32 s6, -1, 0
	s_cmp_lg_u32 s34, 0
	v_cndmask_b32_e32 v1, v24, v9, vcc_lo
	v_cmp_lt_i32_e32 vcc_lo, v8, v13
	s_cselect_b32 s7, -1, 0
	s_or_b32 s6, s7, s6
	v_lshlrev_b32_e32 v1, 2, v1
	v_cndmask_b32_e32 v5, v24, v8, vcc_lo
	v_cmp_lt_i32_e32 vcc_lo, v11, v13
	ds_bpermute_b32 v4, v1, v32
	ds_bpermute_b32 v1, v1, v29
	v_lshlrev_b32_e32 v5, 2, v5
	v_cndmask_b32_e32 v7, v24, v11, vcc_lo
	v_cmp_lt_i32_e32 vcc_lo, v12, v13
	v_lshlrev_b32_e32 v7, 2, v7
	s_waitcnt lgkmcnt(1)
	v_add_f32_e32 v4, v32, v4
	s_waitcnt lgkmcnt(0)
	v_add_f32_e32 v1, v29, v1
	ds_bpermute_b32 v6, v5, v4
	ds_bpermute_b32 v5, v5, v1
	s_waitcnt lgkmcnt(1)
	v_add_f32_e32 v4, v4, v6
	s_waitcnt lgkmcnt(0)
	v_add_f32_e32 v1, v1, v5
	ds_bpermute_b32 v5, v7, v4
	ds_bpermute_b32 v6, v7, v1
	v_cndmask_b32_e32 v7, v24, v12, vcc_lo
	v_cmp_lt_i32_e32 vcc_lo, v14, v13
	v_lshlrev_b32_e32 v7, 2, v7
	s_waitcnt lgkmcnt(1)
	v_add_f32_e32 v4, v4, v5
	s_waitcnt lgkmcnt(0)
	v_add_f32_e32 v1, v1, v6
	ds_bpermute_b32 v5, v7, v4
	ds_bpermute_b32 v6, v7, v1
	v_cndmask_b32_e32 v7, v24, v14, vcc_lo
	s_and_b32 vcc_lo, exec_lo, s6
	v_lshlrev_b32_e32 v7, 2, v7
	s_waitcnt lgkmcnt(1)
	v_add_f32_e32 v4, v4, v5
	s_waitcnt lgkmcnt(0)
	v_add_f32_e32 v1, v1, v6
	ds_bpermute_b32 v5, v7, v4
	ds_bpermute_b32 v6, v7, v1
	s_waitcnt lgkmcnt(1)
	v_add_f32_e32 v4, v4, v5
	s_waitcnt lgkmcnt(0)
	v_add_f32_e32 v5, v1, v6
	s_cbranch_vccnz .LBB65_33
; %bb.31:
	s_lshl_b64 s[6:7], s[44:45], 2
	v_mov_b32_e32 v1, 0
	s_add_u32 s6, s20, s6
	s_addc_u32 s7, s21, s7
	v_max_f32_e32 v6, v2, v2
	v_max_f32_e32 v9, v3, v3
	global_load_dword v1, v1, s[6:7]
	s_waitcnt vmcnt(0)
	v_max_f32_e32 v7, v1, v1
	v_max_f32_e32 v8, v6, v7
	;; [unrolled: 1-line block ×3, first 2 shown]
	v_sub_f32_e32 v2, v2, v8
	v_sub_f32_e32 v6, v1, v8
	v_sub_f32_e32 v3, v3, v9
	v_sub_f32_e32 v1, v1, v9
	v_mul_f32_e32 v7, 0x3fb8aa3b, v2
	v_mul_f32_e32 v11, 0x3fb8aa3b, v6
	;; [unrolled: 1-line block ×4, first 2 shown]
	v_cmp_ngt_f32_e32 vcc_lo, 0xc2ce8ed0, v2
	v_fma_f32 v14, 0x3fb8aa3b, v2, -v7
	v_rndne_f32_e32 v15, v7
	v_fma_f32 v16, 0x3fb8aa3b, v6, -v11
	v_rndne_f32_e32 v17, v11
	v_fma_f32 v18, 0x3fb8aa3b, v3, -v12
	v_fmac_f32_e32 v14, 0x32a5705f, v2
	v_sub_f32_e32 v7, v7, v15
	v_rndne_f32_e32 v19, v12
	v_fmac_f32_e32 v16, 0x32a5705f, v6
	v_sub_f32_e32 v11, v11, v17
	v_fma_f32 v24, 0x3fb8aa3b, v1, -v13
	v_add_f32_e32 v7, v7, v14
	v_rndne_f32_e32 v25, v13
	v_fmac_f32_e32 v18, 0x32a5705f, v3
	v_sub_f32_e32 v12, v12, v19
	v_add_f32_e32 v11, v11, v16
	v_exp_f32_e32 v7, v7
	v_fmac_f32_e32 v24, 0x32a5705f, v1
	v_sub_f32_e32 v13, v13, v25
	v_add_f32_e32 v12, v12, v18
	v_exp_f32_e32 v11, v11
	v_cvt_i32_f32_e32 v14, v15
	v_cvt_i32_f32_e32 v15, v17
	v_add_f32_e32 v13, v13, v24
	v_exp_f32_e32 v12, v12
	v_cvt_i32_f32_e32 v16, v19
	v_ldexp_f32 v7, v7, v14
	v_cvt_i32_f32_e32 v17, v25
	v_exp_f32_e32 v13, v13
	v_mov_b32_e32 v18, 0x10001
	v_ldexp_f32 v11, v11, v15
	v_cndmask_b32_e32 v7, 0, v7, vcc_lo
	v_cmp_ngt_f32_e32 vcc_lo, 0xc2ce8ed0, v6
	v_ldexp_f32 v12, v12, v16
	v_cndmask_b32_e32 v11, 0, v11, vcc_lo
	v_cmp_ngt_f32_e32 vcc_lo, 0xc2ce8ed0, v3
	;; [unrolled: 3-line block ×3, first 2 shown]
	v_cndmask_b32_e32 v13, 0, v13, vcc_lo
	v_cmp_nlt_f32_e32 vcc_lo, 0x42b17218, v2
	v_cndmask_b32_e32 v2, 0x7f800000, v7, vcc_lo
	v_cmp_nlt_f32_e32 vcc_lo, 0x42b17218, v3
	;; [unrolled: 2-line block ×4, first 2 shown]
	v_cvt_f16_f32_e32 v11, v3
	v_cvt_f16_f32_e32 v1, v2
	v_fmac_f32_e32 v6, v4, v2
	v_cndmask_b32_e32 v7, 0x7f800000, v13, vcc_lo
	v_mul_u32_u24_sdwa v2, v11, v18 dst_sel:DWORD dst_unused:UNUSED_PAD src0_sel:WORD_0 src1_sel:DWORD
	v_mul_u32_u24_sdwa v1, v1, v18 dst_sel:DWORD dst_unused:UNUSED_PAD src0_sel:WORD_0 src1_sel:DWORD
	v_fmac_f32_e32 v7, v5, v3
	v_mov_b32_e32 v4, v6
	v_pk_mul_f16 v26, v26, v2
	v_mov_b32_e32 v2, v8
	v_pk_mul_f16 v27, v27, v1
	v_mov_b32_e32 v5, v7
	v_mov_b32_e32 v3, v9
	s_mov_b32 s6, exec_lo
	v_cmpx_gt_i32_e64 s30, v23
	s_cbranch_execnz .LBB65_34
.LBB65_32:
	s_endpgm
.LBB65_33:
	v_mov_b32_e32 v6, v4
	v_mov_b32_e32 v7, v5
	s_mov_b32 s6, exec_lo
	v_cmpx_gt_i32_e64 s30, v23
	s_cbranch_execz .LBB65_32
.LBB65_34:
	s_load_dword s5, s[4:5], 0xd4
	v_mov_b32_e32 v1, 1.0
	s_waitcnt lgkmcnt(0)
	s_cmp_lg_u32 s5, 1
	s_cselect_b32 s8, -1, 0
	s_cmp_eq_u32 s5, 1
	s_cselect_b32 s6, -1, 0
	s_and_b32 vcc_lo, exec_lo, s8
	s_cbranch_vccnz .LBB65_36
; %bb.35:
	v_div_scale_f32 v1, null, v6, v6, 1.0
	v_rcp_f32_e32 v8, v1
	v_fma_f32 v9, -v1, v8, 1.0
	v_fmac_f32_e32 v8, v9, v8
	v_div_scale_f32 v9, vcc_lo, 1.0, v6, 1.0
	v_mul_f32_e32 v11, v9, v8
	v_fma_f32 v12, -v1, v11, v9
	v_fmac_f32_e32 v11, v12, v8
	v_fma_f32 v1, -v1, v11, v9
	v_div_fmas_f32 v1, v1, v8, v11
	v_div_fixup_f32 v1, v1, v6, 1.0
.LBB65_36:
	s_mul_i32 s7, s33, s30
	v_mov_b32_e32 v12, 0
	s_add_i32 s7, s7, s18
	v_cmp_eq_u32_e32 vcc_lo, 0, v0
	v_add_nc_u32_e32 v6, s7, v22
	v_mad_u64_u32 v[8:9], null, v6, s31, s[44:45]
	v_cvt_f32_f16_e32 v6, v27
	v_mul_f32_e32 v0, v1, v6
	v_mad_u64_u32 v[8:9], null, s5, v8, s[34:35]
	v_cvt_f32_f16_sdwa v9, v27 dst_sel:DWORD dst_unused:UNUSED_PAD src0_sel:WORD_1
	v_mul_f32_e32 v1, v1, v9
	v_lshl_add_u32 v11, v8, 6, v10
	v_lshlrev_b64 v[11:12], 2, v[11:12]
	v_add_co_u32 v11, s4, s24, v11
	v_add_co_ci_u32_e64 v12, null, s25, v12, s4
	s_and_b32 s4, vcc_lo, s8
	global_store_dwordx2 v[11:12], v[0:1], off
	s_and_saveexec_b32 s8, s4
	s_cbranch_execz .LBB65_38
; %bb.37:
	v_ashrrev_i32_e32 v9, 31, v8
	v_lshlrev_b64 v[0:1], 3, v[8:9]
	v_mov_b32_e32 v8, v2
	v_mov_b32_e32 v9, v4
	v_add_co_u32 v0, vcc_lo, s26, v0
	v_add_co_ci_u32_e64 v1, null, s27, v1, vcc_lo
	global_store_dwordx2 v[0:1], v[8:9], off
.LBB65_38:
	s_or_b32 exec_lo, exec_lo, s8
	v_cmp_gt_i32_e32 vcc_lo, s30, v21
	s_and_b32 exec_lo, exec_lo, vcc_lo
	s_cbranch_execz .LBB65_32
; %bb.39:
	v_mov_b32_e32 v2, 1.0
	s_andn2_b32 vcc_lo, exec_lo, s6
	s_cbranch_vccnz .LBB65_41
; %bb.40:
	v_div_scale_f32 v0, null, v7, v7, 1.0
	v_rcp_f32_e32 v1, v0
	v_fma_f32 v2, -v0, v1, 1.0
	v_fmac_f32_e32 v1, v2, v1
	v_div_scale_f32 v2, vcc_lo, 1.0, v7, 1.0
	v_mul_f32_e32 v4, v2, v1
	v_fma_f32 v6, -v0, v4, v2
	v_fmac_f32_e32 v4, v6, v1
	v_fma_f32 v0, -v0, v4, v2
	v_div_fmas_f32 v0, v0, v1, v4
	v_div_fixup_f32 v2, v0, v7, 1.0
.LBB65_41:
	v_add_nc_u32_e32 v0, s7, v20
	v_mov_b32_e32 v7, 0
	v_cvt_f32_f16_sdwa v4, v26 dst_sel:DWORD dst_unused:UNUSED_PAD src0_sel:WORD_1
	v_mad_u64_u32 v[0:1], null, v0, s31, s[44:45]
	v_mad_u64_u32 v[0:1], null, s5, v0, s[34:35]
	v_cvt_f32_f16_e32 v1, v26
	v_mul_f32_e32 v1, v2, v1
	v_lshl_add_u32 v6, v0, 6, v10
	v_mul_f32_e32 v2, v2, v4
	v_lshlrev_b64 v[6:7], 2, v[6:7]
	v_add_co_u32 v6, vcc_lo, s24, v6
	v_add_co_ci_u32_e64 v7, null, s25, v7, vcc_lo
	global_store_dwordx2 v[6:7], v[1:2], off
	s_and_b32 exec_lo, exec_lo, s4
	s_cbranch_execz .LBB65_32
; %bb.42:
	v_ashrrev_i32_e32 v1, 31, v0
	v_mov_b32_e32 v4, v3
	v_lshlrev_b64 v[0:1], 3, v[0:1]
	v_add_co_u32 v0, vcc_lo, s26, v0
	v_add_co_ci_u32_e64 v1, null, s27, v1, vcc_lo
	global_store_dwordx2 v[0:1], v[4:5], off
	s_endpgm
	.section	.rodata,"a",@progbits
	.p2align	6, 0x0
	.amdhsa_kernel _ZL15flash_attn_tileILi64ELi64ELi4ELi1ELb0EEvPKcS1_S1_S1_S1_PKiPfP15HIP_vector_typeIfLj2EEffffjfiS5_IjLj3EEiiiiiiiiiiiliiliiiiil
		.amdhsa_group_segment_fixed_size 5376
		.amdhsa_private_segment_fixed_size 32
		.amdhsa_kernarg_size 464
		.amdhsa_user_sgpr_count 8
		.amdhsa_user_sgpr_private_segment_buffer 1
		.amdhsa_user_sgpr_dispatch_ptr 0
		.amdhsa_user_sgpr_queue_ptr 0
		.amdhsa_user_sgpr_kernarg_segment_ptr 1
		.amdhsa_user_sgpr_dispatch_id 0
		.amdhsa_user_sgpr_flat_scratch_init 1
		.amdhsa_user_sgpr_private_segment_size 0
		.amdhsa_wavefront_size32 1
		.amdhsa_uses_dynamic_stack 0
		.amdhsa_system_sgpr_private_segment_wavefront_offset 1
		.amdhsa_system_sgpr_workgroup_id_x 1
		.amdhsa_system_sgpr_workgroup_id_y 1
		.amdhsa_system_sgpr_workgroup_id_z 1
		.amdhsa_system_sgpr_workgroup_info 0
		.amdhsa_system_vgpr_workitem_id 1
		.amdhsa_next_free_vgpr 78
		.amdhsa_next_free_sgpr 52
		.amdhsa_reserve_vcc 1
		.amdhsa_reserve_flat_scratch 1
		.amdhsa_float_round_mode_32 0
		.amdhsa_float_round_mode_16_64 0
		.amdhsa_float_denorm_mode_32 3
		.amdhsa_float_denorm_mode_16_64 3
		.amdhsa_dx10_clamp 1
		.amdhsa_ieee_mode 1
		.amdhsa_fp16_overflow 0
		.amdhsa_workgroup_processor_mode 1
		.amdhsa_memory_ordered 1
		.amdhsa_forward_progress 1
		.amdhsa_shared_vgpr_count 0
		.amdhsa_exception_fp_ieee_invalid_op 0
		.amdhsa_exception_fp_denorm_src 0
		.amdhsa_exception_fp_ieee_div_zero 0
		.amdhsa_exception_fp_ieee_overflow 0
		.amdhsa_exception_fp_ieee_underflow 0
		.amdhsa_exception_fp_ieee_inexact 0
		.amdhsa_exception_int_div_zero 0
	.end_amdhsa_kernel
	.section	.text._ZL15flash_attn_tileILi64ELi64ELi4ELi1ELb0EEvPKcS1_S1_S1_S1_PKiPfP15HIP_vector_typeIfLj2EEffffjfiS5_IjLj3EEiiiiiiiiiiiliiliiiiil,"axG",@progbits,_ZL15flash_attn_tileILi64ELi64ELi4ELi1ELb0EEvPKcS1_S1_S1_S1_PKiPfP15HIP_vector_typeIfLj2EEffffjfiS5_IjLj3EEiiiiiiiiiiiliiliiiiil,comdat
.Lfunc_end65:
	.size	_ZL15flash_attn_tileILi64ELi64ELi4ELi1ELb0EEvPKcS1_S1_S1_S1_PKiPfP15HIP_vector_typeIfLj2EEffffjfiS5_IjLj3EEiiiiiiiiiiiliiliiiiil, .Lfunc_end65-_ZL15flash_attn_tileILi64ELi64ELi4ELi1ELb0EEvPKcS1_S1_S1_S1_PKiPfP15HIP_vector_typeIfLj2EEffffjfiS5_IjLj3EEiiiiiiiiiiiliiliiiiil
                                        ; -- End function
	.set _ZL15flash_attn_tileILi64ELi64ELi4ELi1ELb0EEvPKcS1_S1_S1_S1_PKiPfP15HIP_vector_typeIfLj2EEffffjfiS5_IjLj3EEiiiiiiiiiiiliiliiiiil.num_vgpr, 78
	.set _ZL15flash_attn_tileILi64ELi64ELi4ELi1ELb0EEvPKcS1_S1_S1_S1_PKiPfP15HIP_vector_typeIfLj2EEffffjfiS5_IjLj3EEiiiiiiiiiiiliiliiiiil.num_agpr, 0
	.set _ZL15flash_attn_tileILi64ELi64ELi4ELi1ELb0EEvPKcS1_S1_S1_S1_PKiPfP15HIP_vector_typeIfLj2EEffffjfiS5_IjLj3EEiiiiiiiiiiiliiliiiiil.numbered_sgpr, 52
	.set _ZL15flash_attn_tileILi64ELi64ELi4ELi1ELb0EEvPKcS1_S1_S1_S1_PKiPfP15HIP_vector_typeIfLj2EEffffjfiS5_IjLj3EEiiiiiiiiiiiliiliiiiil.num_named_barrier, 0
	.set _ZL15flash_attn_tileILi64ELi64ELi4ELi1ELb0EEvPKcS1_S1_S1_S1_PKiPfP15HIP_vector_typeIfLj2EEffffjfiS5_IjLj3EEiiiiiiiiiiiliiliiiiil.private_seg_size, 32
	.set _ZL15flash_attn_tileILi64ELi64ELi4ELi1ELb0EEvPKcS1_S1_S1_S1_PKiPfP15HIP_vector_typeIfLj2EEffffjfiS5_IjLj3EEiiiiiiiiiiiliiliiiiil.uses_vcc, 1
	.set _ZL15flash_attn_tileILi64ELi64ELi4ELi1ELb0EEvPKcS1_S1_S1_S1_PKiPfP15HIP_vector_typeIfLj2EEffffjfiS5_IjLj3EEiiiiiiiiiiiliiliiiiil.uses_flat_scratch, 1
	.set _ZL15flash_attn_tileILi64ELi64ELi4ELi1ELb0EEvPKcS1_S1_S1_S1_PKiPfP15HIP_vector_typeIfLj2EEffffjfiS5_IjLj3EEiiiiiiiiiiiliiliiiiil.has_dyn_sized_stack, 0
	.set _ZL15flash_attn_tileILi64ELi64ELi4ELi1ELb0EEvPKcS1_S1_S1_S1_PKiPfP15HIP_vector_typeIfLj2EEffffjfiS5_IjLj3EEiiiiiiiiiiiliiliiiiil.has_recursion, 0
	.set _ZL15flash_attn_tileILi64ELi64ELi4ELi1ELb0EEvPKcS1_S1_S1_S1_PKiPfP15HIP_vector_typeIfLj2EEffffjfiS5_IjLj3EEiiiiiiiiiiiliiliiiiil.has_indirect_call, 0
	.section	.AMDGPU.csdata,"",@progbits
; Kernel info:
; codeLenInByte = 13224
; TotalNumSgprs: 54
; NumVgprs: 78
; ScratchSize: 32
; MemoryBound: 0
; FloatMode: 240
; IeeeMode: 1
; LDSByteSize: 5376 bytes/workgroup (compile time only)
; SGPRBlocks: 0
; VGPRBlocks: 9
; NumSGPRsForWavesPerEU: 54
; NumVGPRsForWavesPerEU: 78
; Occupancy: 12
; WaveLimiterHint : 1
; COMPUTE_PGM_RSRC2:SCRATCH_EN: 1
; COMPUTE_PGM_RSRC2:USER_SGPR: 8
; COMPUTE_PGM_RSRC2:TRAP_HANDLER: 0
; COMPUTE_PGM_RSRC2:TGID_X_EN: 1
; COMPUTE_PGM_RSRC2:TGID_Y_EN: 1
; COMPUTE_PGM_RSRC2:TGID_Z_EN: 1
; COMPUTE_PGM_RSRC2:TIDIG_COMP_CNT: 1
	.section	.text._ZL33flash_attn_stream_k_fixup_uniformILi64ELi4ELi1EEvPfPK15HIP_vector_typeIfLj2EEiiiiiiS1_IjLj3EES5_S5_,"axG",@progbits,_ZL33flash_attn_stream_k_fixup_uniformILi64ELi4ELi1EEvPfPK15HIP_vector_typeIfLj2EEiiiiiiS1_IjLj3EES5_S5_,comdat
	.globl	_ZL33flash_attn_stream_k_fixup_uniformILi64ELi4ELi1EEvPfPK15HIP_vector_typeIfLj2EEiiiiiiS1_IjLj3EES5_S5_ ; -- Begin function _ZL33flash_attn_stream_k_fixup_uniformILi64ELi4ELi1EEvPfPK15HIP_vector_typeIfLj2EEiiiiiiS1_IjLj3EES5_S5_
	.p2align	8
	.type	_ZL33flash_attn_stream_k_fixup_uniformILi64ELi4ELi1EEvPfPK15HIP_vector_typeIfLj2EEiiiiiiS1_IjLj3EES5_S5_,@function
_ZL33flash_attn_stream_k_fixup_uniformILi64ELi4ELi1EEvPfPK15HIP_vector_typeIfLj2EEiiiiiiS1_IjLj3EES5_S5_: ; @_ZL33flash_attn_stream_k_fixup_uniformILi64ELi4ELi1EEvPfPK15HIP_vector_typeIfLj2EEiiiiiiS1_IjLj3EES5_S5_
; %bb.0:
	s_clause 0x2
	s_load_dwordx8 s[12:19], s[4:5], 0x1c
	s_load_dwordx4 s[20:23], s[4:5], 0x3c
	s_load_dwordx2 s[10:11], s[4:5], 0x10
	s_waitcnt lgkmcnt(0)
	s_mul_hi_u32 s0, s15, s6
	s_add_i32 s0, s6, s0
	s_lshr_b32 s0, s0, s16
	s_mul_i32 s1, s0, s17
	s_sub_i32 s2, s6, s1
	s_mul_hi_u32 s1, s2, s18
	s_add_i32 s1, s2, s1
	s_lshr_b32 s1, s1, s19
	s_mul_i32 s3, s1, s20
	s_sub_i32 s2, s2, s3
	;; [unrolled: 5-line block ×3, first 2 shown]
	s_lshl_b32 s2, s15, 2
	s_add_i32 s2, s2, s7
	s_cmp_lt_i32 s2, s10
	s_cselect_b32 s2, -1, 0
	s_add_i32 s3, s9, s8
	s_cmp_lt_i32 s3, s13
	s_cselect_b32 s3, -1, 0
	s_and_b32 s2, s2, s3
	s_andn2_b32 vcc_lo, exec_lo, s2
	s_cbranch_vccnz .LBB66_6
; %bb.1:
	s_mul_i32 s0, s0, s10
	s_mul_i32 s10, s1, s13
	s_add_i32 s0, s0, s7
	s_mul_i32 s0, s0, s11
	s_add_i32 s13, s0, s8
	s_load_dwordx4 s[0:3], s[4:5], 0x0
	s_add_i32 s4, s13, s10
	s_mul_i32 s5, s11, s15
	s_add_i32 s4, s4, s9
	s_lshl_b32 s5, s5, 8
	s_lshl_b32 s4, s4, 6
	s_add_i32 s8, s7, s8
	s_add_i32 s5, s5, s4
	s_mul_i32 s4, s14, s6
	v_or_b32_e32 v1, s5, v0
	s_add_i32 s9, s4, s14
	v_ashrrev_i32_e32 v2, 31, v1
	v_lshlrev_b64 v[1:2], 2, v[1:2]
	s_waitcnt lgkmcnt(0)
	v_add_co_u32 v1, vcc_lo, s0, v1
	v_add_co_ci_u32_e64 v2, null, s1, v2, vcc_lo
	s_lshl_b32 s0, s9, 2
	s_add_i32 s0, s8, s0
	global_load_dword v5, v[1:2], off
	s_add_i32 s0, s0, -4
	s_ashr_i32 s1, s0, 31
	s_lshl_b64 s[0:1], s[0:1], 3
	s_add_u32 s0, s2, s0
	s_addc_u32 s1, s3, s1
	s_add_i32 s5, s9, -2
	s_load_dword s10, s[0:1], 0x4
	s_cmp_lt_i32 s5, s4
	s_cbranch_scc1 .LBB66_4
; %bb.2:
	s_lshl_b32 s16, s12, 4
	s_load_dword s11, s[0:1], 0x0
	s_ashr_i32 s17, s16, 31
	s_waitcnt lgkmcnt(0)
	v_mov_b32_e32 v6, s10
	s_lshl_b64 s[0:1], s[16:17], 2
	s_add_u32 s5, s2, s0
	s_addc_u32 s7, s3, s1
	s_add_i32 s6, s6, 1
	s_lshl_b32 s1, s8, 6
	s_mul_i32 s0, s14, s6
	s_lshl_b32 s6, s0, 8
	s_lshl_b32 s0, s0, 2
	s_add_i32 s1, s1, s6
	s_add_i32 s0, s8, s0
	v_or_b32_e32 v0, s1, v0
	s_lshl_b32 s1, s12, 2
	s_add_i32 s6, s9, -1
	s_add_i32 s0, s0, s1
	v_add_nc_u32_e32 v3, 0xfffffe00, v0
	v_mov_b32_e32 v0, s11
	s_add_i32 s0, s0, -8
.LBB66_3:                               ; =>This Inner Loop Header: Depth=1
	v_ashrrev_i32_e32 v4, 31, v3
	s_ashr_i32 s1, s0, 31
	s_lshl_b64 s[8:9], s[0:1], 3
	s_add_u32 s8, s2, s8
	v_lshlrev_b64 v[7:8], 2, v[3:4]
	s_addc_u32 s9, s3, s9
	v_add_nc_u32_e32 v3, 0xffffff00, v3
	s_add_i32 s6, s6, -1
	s_add_i32 s0, s0, -4
	s_cmp_le_i32 s6, s4
	v_add_co_u32 v7, vcc_lo, s5, v7
	v_add_co_ci_u32_e64 v8, null, s7, v8, vcc_lo
	s_load_dwordx2 s[8:9], s[8:9], 0x0
	global_load_dword v4, v[7:8], off
	v_max_f32_e32 v7, v0, v0
	s_waitcnt lgkmcnt(0)
	v_max_f32_e64 v8, s8, s8
	v_max_f32_e32 v7, v7, v8
	v_sub_f32_e32 v8, s8, v7
	v_sub_f32_e32 v0, v0, v7
	v_mul_f32_e32 v9, 0x3fb8aa3b, v8
	v_mul_f32_e32 v12, 0x3fb8aa3b, v0
	v_cmp_ngt_f32_e32 vcc_lo, 0xc2ce8ed0, v8
	v_fma_f32 v10, 0x3fb8aa3b, v8, -v9
	v_rndne_f32_e32 v11, v9
	v_fma_f32 v13, 0x3fb8aa3b, v0, -v12
	v_rndne_f32_e32 v14, v12
	v_fmac_f32_e32 v10, 0x32a5705f, v8
	v_sub_f32_e32 v9, v9, v11
	v_fmac_f32_e32 v13, 0x32a5705f, v0
	v_cvt_i32_f32_e32 v11, v11
	v_add_f32_e32 v9, v9, v10
	v_sub_f32_e32 v10, v12, v14
	v_exp_f32_e32 v9, v9
	v_add_f32_e32 v10, v10, v13
	v_exp_f32_e32 v10, v10
	v_ldexp_f32 v9, v9, v11
	v_cvt_i32_f32_e32 v11, v14
	v_cndmask_b32_e32 v9, 0, v9, vcc_lo
	v_cmp_nlt_f32_e32 vcc_lo, 0x42b17218, v8
	v_ldexp_f32 v10, v10, v11
	v_mov_b32_e32 v11, v6
	v_cndmask_b32_e32 v9, 0x7f800000, v9, vcc_lo
	v_cmp_ngt_f32_e32 vcc_lo, 0xc2ce8ed0, v0
	v_cndmask_b32_e32 v10, 0, v10, vcc_lo
	v_cmp_le_f32_e32 vcc_lo, 0xc1a00000, v8
	v_cndmask_b32_e32 v8, 0, v9, vcc_lo
	v_cmp_nlt_f32_e32 vcc_lo, 0x42b17218, v0
	s_waitcnt vmcnt(1)
	v_mov_b32_e32 v9, v5
	v_cndmask_b32_e32 v5, 0x7f800000, v10, vcc_lo
	v_mul_f32_e32 v10, s9, v8
	v_cmp_le_f32_e32 vcc_lo, 0xc1a00000, v0
	v_mov_b32_e32 v0, v7
	v_mov_b32_e32 v6, v10
	v_cndmask_b32_e32 v12, 0, v5, vcc_lo
	v_fmac_f32_e32 v6, v11, v12
	s_waitcnt vmcnt(0)
	v_mul_f32_e32 v5, v4, v8
	v_fmac_f32_e32 v5, v9, v12
	s_cbranch_scc0 .LBB66_3
	s_branch .LBB66_5
.LBB66_4:
	s_waitcnt lgkmcnt(0)
	v_mov_b32_e32 v6, s10
.LBB66_5:
	s_waitcnt vmcnt(0)
	v_div_scale_f32 v0, null, v6, v6, v5
	v_rcp_f32_e32 v3, v0
	v_fma_f32 v4, -v0, v3, 1.0
	v_fmac_f32_e32 v3, v4, v3
	v_div_scale_f32 v4, vcc_lo, v5, v6, v5
	v_mul_f32_e32 v7, v4, v3
	v_fma_f32 v8, -v0, v7, v4
	v_fmac_f32_e32 v7, v8, v3
	v_fma_f32 v0, -v0, v7, v4
	v_div_fmas_f32 v0, v0, v3, v7
	v_div_fixup_f32 v0, v0, v6, v5
	global_store_dword v[1:2], v0, off
.LBB66_6:
	s_endpgm
	.section	.rodata,"a",@progbits
	.p2align	6, 0x0
	.amdhsa_kernel _ZL33flash_attn_stream_k_fixup_uniformILi64ELi4ELi1EEvPfPK15HIP_vector_typeIfLj2EEiiiiiiS1_IjLj3EES5_S5_
		.amdhsa_group_segment_fixed_size 0
		.amdhsa_private_segment_fixed_size 0
		.amdhsa_kernarg_size 76
		.amdhsa_user_sgpr_count 6
		.amdhsa_user_sgpr_private_segment_buffer 1
		.amdhsa_user_sgpr_dispatch_ptr 0
		.amdhsa_user_sgpr_queue_ptr 0
		.amdhsa_user_sgpr_kernarg_segment_ptr 1
		.amdhsa_user_sgpr_dispatch_id 0
		.amdhsa_user_sgpr_flat_scratch_init 0
		.amdhsa_user_sgpr_private_segment_size 0
		.amdhsa_wavefront_size32 1
		.amdhsa_uses_dynamic_stack 0
		.amdhsa_system_sgpr_private_segment_wavefront_offset 0
		.amdhsa_system_sgpr_workgroup_id_x 1
		.amdhsa_system_sgpr_workgroup_id_y 1
		.amdhsa_system_sgpr_workgroup_id_z 1
		.amdhsa_system_sgpr_workgroup_info 0
		.amdhsa_system_vgpr_workitem_id 0
		.amdhsa_next_free_vgpr 15
		.amdhsa_next_free_sgpr 24
		.amdhsa_reserve_vcc 1
		.amdhsa_reserve_flat_scratch 0
		.amdhsa_float_round_mode_32 0
		.amdhsa_float_round_mode_16_64 0
		.amdhsa_float_denorm_mode_32 3
		.amdhsa_float_denorm_mode_16_64 3
		.amdhsa_dx10_clamp 1
		.amdhsa_ieee_mode 1
		.amdhsa_fp16_overflow 0
		.amdhsa_workgroup_processor_mode 1
		.amdhsa_memory_ordered 1
		.amdhsa_forward_progress 1
		.amdhsa_shared_vgpr_count 0
		.amdhsa_exception_fp_ieee_invalid_op 0
		.amdhsa_exception_fp_denorm_src 0
		.amdhsa_exception_fp_ieee_div_zero 0
		.amdhsa_exception_fp_ieee_overflow 0
		.amdhsa_exception_fp_ieee_underflow 0
		.amdhsa_exception_fp_ieee_inexact 0
		.amdhsa_exception_int_div_zero 0
	.end_amdhsa_kernel
	.section	.text._ZL33flash_attn_stream_k_fixup_uniformILi64ELi4ELi1EEvPfPK15HIP_vector_typeIfLj2EEiiiiiiS1_IjLj3EES5_S5_,"axG",@progbits,_ZL33flash_attn_stream_k_fixup_uniformILi64ELi4ELi1EEvPfPK15HIP_vector_typeIfLj2EEiiiiiiS1_IjLj3EES5_S5_,comdat
.Lfunc_end66:
	.size	_ZL33flash_attn_stream_k_fixup_uniformILi64ELi4ELi1EEvPfPK15HIP_vector_typeIfLj2EEiiiiiiS1_IjLj3EES5_S5_, .Lfunc_end66-_ZL33flash_attn_stream_k_fixup_uniformILi64ELi4ELi1EEvPfPK15HIP_vector_typeIfLj2EEiiiiiiS1_IjLj3EES5_S5_
                                        ; -- End function
	.set _ZL33flash_attn_stream_k_fixup_uniformILi64ELi4ELi1EEvPfPK15HIP_vector_typeIfLj2EEiiiiiiS1_IjLj3EES5_S5_.num_vgpr, 15
	.set _ZL33flash_attn_stream_k_fixup_uniformILi64ELi4ELi1EEvPfPK15HIP_vector_typeIfLj2EEiiiiiiS1_IjLj3EES5_S5_.num_agpr, 0
	.set _ZL33flash_attn_stream_k_fixup_uniformILi64ELi4ELi1EEvPfPK15HIP_vector_typeIfLj2EEiiiiiiS1_IjLj3EES5_S5_.numbered_sgpr, 24
	.set _ZL33flash_attn_stream_k_fixup_uniformILi64ELi4ELi1EEvPfPK15HIP_vector_typeIfLj2EEiiiiiiS1_IjLj3EES5_S5_.num_named_barrier, 0
	.set _ZL33flash_attn_stream_k_fixup_uniformILi64ELi4ELi1EEvPfPK15HIP_vector_typeIfLj2EEiiiiiiS1_IjLj3EES5_S5_.private_seg_size, 0
	.set _ZL33flash_attn_stream_k_fixup_uniformILi64ELi4ELi1EEvPfPK15HIP_vector_typeIfLj2EEiiiiiiS1_IjLj3EES5_S5_.uses_vcc, 1
	.set _ZL33flash_attn_stream_k_fixup_uniformILi64ELi4ELi1EEvPfPK15HIP_vector_typeIfLj2EEiiiiiiS1_IjLj3EES5_S5_.uses_flat_scratch, 0
	.set _ZL33flash_attn_stream_k_fixup_uniformILi64ELi4ELi1EEvPfPK15HIP_vector_typeIfLj2EEiiiiiiS1_IjLj3EES5_S5_.has_dyn_sized_stack, 0
	.set _ZL33flash_attn_stream_k_fixup_uniformILi64ELi4ELi1EEvPfPK15HIP_vector_typeIfLj2EEiiiiiiS1_IjLj3EES5_S5_.has_recursion, 0
	.set _ZL33flash_attn_stream_k_fixup_uniformILi64ELi4ELi1EEvPfPK15HIP_vector_typeIfLj2EEiiiiiiS1_IjLj3EES5_S5_.has_indirect_call, 0
	.section	.AMDGPU.csdata,"",@progbits
; Kernel info:
; codeLenInByte = 828
; TotalNumSgprs: 26
; NumVgprs: 15
; ScratchSize: 0
; MemoryBound: 0
; FloatMode: 240
; IeeeMode: 1
; LDSByteSize: 0 bytes/workgroup (compile time only)
; SGPRBlocks: 0
; VGPRBlocks: 1
; NumSGPRsForWavesPerEU: 26
; NumVGPRsForWavesPerEU: 15
; Occupancy: 16
; WaveLimiterHint : 0
; COMPUTE_PGM_RSRC2:SCRATCH_EN: 0
; COMPUTE_PGM_RSRC2:USER_SGPR: 6
; COMPUTE_PGM_RSRC2:TRAP_HANDLER: 0
; COMPUTE_PGM_RSRC2:TGID_X_EN: 1
; COMPUTE_PGM_RSRC2:TGID_Y_EN: 1
; COMPUTE_PGM_RSRC2:TGID_Z_EN: 1
; COMPUTE_PGM_RSRC2:TIDIG_COMP_CNT: 0
	.section	.text._ZL33flash_attn_stream_k_fixup_generalILi64ELi4ELi1EEvPfPK15HIP_vector_typeIfLj2EEiiiiS1_IjLj3EES5_S5_S5_,"axG",@progbits,_ZL33flash_attn_stream_k_fixup_generalILi64ELi4ELi1EEvPfPK15HIP_vector_typeIfLj2EEiiiiS1_IjLj3EES5_S5_S5_,comdat
	.globl	_ZL33flash_attn_stream_k_fixup_generalILi64ELi4ELi1EEvPfPK15HIP_vector_typeIfLj2EEiiiiS1_IjLj3EES5_S5_S5_ ; -- Begin function _ZL33flash_attn_stream_k_fixup_generalILi64ELi4ELi1EEvPfPK15HIP_vector_typeIfLj2EEiiiiS1_IjLj3EES5_S5_S5_
	.p2align	8
	.type	_ZL33flash_attn_stream_k_fixup_generalILi64ELi4ELi1EEvPfPK15HIP_vector_typeIfLj2EEiiiiS1_IjLj3EES5_S5_S5_,@function
_ZL33flash_attn_stream_k_fixup_generalILi64ELi4ELi1EEvPfPK15HIP_vector_typeIfLj2EEiiiiS1_IjLj3EES5_S5_S5_: ; @_ZL33flash_attn_stream_k_fixup_generalILi64ELi4ELi1EEvPfPK15HIP_vector_typeIfLj2EEiiiiS1_IjLj3EES5_S5_S5_
; %bb.0:
	s_clause 0x1
	s_load_dwordx4 s[0:3], s[4:5], 0x10
	s_load_dword s9, s[4:5], 0x50
	s_mov_b32 s16, 0
	s_waitcnt lgkmcnt(0)
	s_mul_hi_i32 s17, s3, s6
	s_mul_i32 s18, s3, s6
	s_cmp_lg_u64 s[16:17], 0
	s_cbranch_scc0 .LBB67_21
; %bb.1:
	s_add_u32 s10, s9, 0
	s_addc_u32 s11, 0, 0
	s_xor_b64 s[10:11], s[10:11], 0
	v_cvt_f32_u32_e32 v1, s10
	v_cvt_f32_u32_e32 v2, s11
	s_sub_u32 s14, 0, s10
	s_subb_u32 s15, 0, s11
	v_fmamk_f32 v1, v2, 0x4f800000, v1
	v_rcp_f32_e32 v1, v1
	v_mul_f32_e32 v1, 0x5f7ffffc, v1
	v_mul_f32_e32 v2, 0x2f800000, v1
	v_trunc_f32_e32 v2, v2
	v_fmamk_f32 v1, v2, 0xcf800000, v1
	v_cvt_u32_f32_e32 v2, v2
	v_cvt_u32_f32_e32 v1, v1
	v_readfirstlane_b32 s12, v2
	v_readfirstlane_b32 s13, v1
	s_mul_i32 s19, s14, s12
	s_mul_hi_u32 s21, s14, s13
	s_mul_i32 s20, s15, s13
	s_add_i32 s19, s21, s19
	s_mul_i32 s22, s14, s13
	s_add_i32 s19, s19, s20
	s_mul_hi_u32 s21, s13, s22
	s_mul_i32 s24, s13, s19
	s_mul_hi_u32 s23, s12, s22
	s_mul_i32 s20, s12, s22
	s_mul_hi_u32 s22, s13, s19
	s_add_u32 s21, s21, s24
	s_addc_u32 s22, 0, s22
	s_mul_hi_u32 s25, s12, s19
	s_add_u32 s20, s21, s20
	s_mul_i32 s19, s12, s19
	s_addc_u32 s20, s22, s23
	s_addc_u32 s21, s25, 0
	s_add_u32 s19, s20, s19
	s_addc_u32 s20, 0, s21
	s_add_u32 s13, s13, s19
	s_cselect_b32 s19, -1, 0
	s_mul_hi_u32 s21, s14, s13
	s_cmp_lg_u32 s19, 0
	s_mul_i32 s19, s14, s13
	s_addc_u32 s12, s12, s20
	s_mul_i32 s15, s15, s13
	s_mul_i32 s14, s14, s12
	s_mul_hi_u32 s20, s13, s19
	s_add_i32 s14, s21, s14
	s_mul_hi_u32 s21, s12, s19
	s_add_i32 s14, s14, s15
	s_mul_i32 s15, s12, s19
	s_mul_i32 s23, s13, s14
	s_mul_hi_u32 s22, s13, s14
	s_add_u32 s20, s20, s23
	s_addc_u32 s22, 0, s22
	s_mul_hi_u32 s19, s12, s14
	s_add_u32 s15, s20, s15
	s_mul_i32 s14, s12, s14
	s_addc_u32 s15, s22, s21
	s_addc_u32 s19, s19, 0
	s_add_u32 s14, s15, s14
	s_addc_u32 s15, 0, s19
	s_add_u32 s19, s13, s14
	s_cselect_b32 s13, -1, 0
	s_cmp_lg_u32 s13, 0
	s_addc_u32 s20, s12, s15
	s_ashr_i32 s12, s17, 31
	s_add_u32 s14, s18, s12
	s_mov_b32 s13, s12
	s_addc_u32 s15, s17, s12
	s_xor_b64 s[14:15], s[14:15], s[12:13]
	s_mul_i32 s21, s14, s20
	s_mul_hi_u32 s22, s14, s19
	s_mul_hi_u32 s17, s14, s20
	;; [unrolled: 1-line block ×3, first 2 shown]
	s_mul_i32 s19, s15, s19
	s_add_u32 s21, s22, s21
	s_addc_u32 s17, 0, s17
	s_mul_hi_u32 s23, s15, s20
	s_add_u32 s19, s21, s19
	s_mul_i32 s20, s15, s20
	s_addc_u32 s17, s17, s24
	s_addc_u32 s19, s23, 0
	s_add_u32 s17, s17, s20
	s_addc_u32 s19, 0, s19
	s_mul_hi_u32 s20, s10, s17
	s_mul_i32 s21, s10, s19
	s_mul_i32 s22, s11, s17
	s_add_i32 s20, s20, s21
	s_mul_i32 s21, s10, s17
	s_add_i32 s20, s20, s22
	s_sub_i32 s22, s15, s20
	s_sub_u32 s14, s14, s21
	s_cselect_b32 s21, -1, 0
	s_cmp_lg_u32 s21, 0
	s_subb_u32 s22, s22, s11
	s_sub_u32 s23, s14, s10
	s_cselect_b32 s24, -1, 0
	s_cmp_lg_u32 s24, 0
	s_subb_u32 s22, s22, 0
	s_cmp_ge_u32 s22, s11
	s_cselect_b32 s24, -1, 0
	s_cmp_ge_u32 s23, s10
	s_cselect_b32 s23, -1, 0
	s_cmp_eq_u32 s22, s11
	s_cselect_b32 s22, s23, s24
	s_add_u32 s23, s17, 1
	s_addc_u32 s24, s19, 0
	s_add_u32 s25, s17, 2
	s_addc_u32 s26, s19, 0
	s_cmp_lg_u32 s22, 0
	s_cselect_b32 s22, s25, s23
	s_cselect_b32 s23, s26, s24
	s_cmp_lg_u32 s21, 0
	s_subb_u32 s15, s15, s20
	s_cmp_ge_u32 s15, s11
	s_cselect_b32 s20, -1, 0
	s_cmp_ge_u32 s14, s10
	s_cselect_b32 s10, -1, 0
	s_cmp_eq_u32 s15, s11
	s_cselect_b32 s10, s10, s20
	s_cmp_lg_u32 s10, 0
	s_cselect_b32 s11, s23, s19
	s_cselect_b32 s10, s22, s17
	s_xor_b64 s[12:13], s[12:13], 0
	s_xor_b64 s[10:11], s[10:11], s[12:13]
	s_sub_u32 s10, s10, s12
	s_load_dwordx4 s[12:15], s[4:5], 0x44
	s_andn2_b32 vcc_lo, exec_lo, s16
	s_cbranch_vccnz .LBB67_3
.LBB67_2:
	v_cvt_f32_u32_e32 v1, s9
	s_sub_i32 s11, 0, s9
	v_rcp_iflag_f32_e32 v1, v1
	v_mul_f32_e32 v1, 0x4f7ffffe, v1
	v_cvt_u32_f32_e32 v1, v1
	v_readfirstlane_b32 s10, v1
	s_mul_i32 s11, s11, s10
	s_mul_hi_u32 s11, s10, s11
	s_add_i32 s10, s10, s11
	s_mul_hi_u32 s10, s18, s10
	s_mul_i32 s11, s10, s9
	s_waitcnt lgkmcnt(0)
	s_add_i32 s15, s10, 1
	s_sub_i32 s11, s18, s11
	s_sub_i32 s16, s11, s9
	s_cmp_ge_u32 s11, s9
	s_cselect_b32 s10, s15, s10
	s_cselect_b32 s11, s16, s11
	s_add_i32 s15, s10, 1
	s_cmp_ge_u32 s11, s9
	s_cselect_b32 s10, s15, s10
.LBB67_3:
	s_add_i32 s11, s6, 1
	s_mov_b32 s16, 0
	s_mul_hi_i32 s17, s3, s11
	s_mul_i32 s11, s3, s11
	s_cmp_lg_u64 s[16:17], 0
	s_cbranch_scc0 .LBB67_22
; %bb.4:
	s_add_u32 s18, s9, 0
	s_addc_u32 s19, 0, 0
	s_xor_b64 s[18:19], s[18:19], 0
	v_cvt_f32_u32_e32 v1, s18
	v_cvt_f32_u32_e32 v2, s19
	s_sub_u32 s21, 0, s18
	s_subb_u32 s22, 0, s19
	v_fmamk_f32 v1, v2, 0x4f800000, v1
	v_rcp_f32_e32 v1, v1
	v_mul_f32_e32 v1, 0x5f7ffffc, v1
	v_mul_f32_e32 v2, 0x2f800000, v1
	v_trunc_f32_e32 v2, v2
	v_fmamk_f32 v1, v2, 0xcf800000, v1
	v_cvt_u32_f32_e32 v2, v2
	v_cvt_u32_f32_e32 v1, v1
	s_waitcnt lgkmcnt(0)
	v_readfirstlane_b32 s15, v2
	v_readfirstlane_b32 s20, v1
	s_mul_i32 s23, s21, s15
	s_mul_hi_u32 s25, s21, s20
	s_mul_i32 s24, s22, s20
	s_add_i32 s23, s25, s23
	s_mul_i32 s26, s21, s20
	s_add_i32 s23, s23, s24
	s_mul_hi_u32 s25, s20, s26
	s_mul_i32 s28, s20, s23
	s_mul_hi_u32 s27, s15, s26
	s_mul_i32 s24, s15, s26
	s_mul_hi_u32 s26, s20, s23
	s_add_u32 s25, s25, s28
	s_addc_u32 s26, 0, s26
	s_mul_hi_u32 s29, s15, s23
	s_add_u32 s24, s25, s24
	s_mul_i32 s23, s15, s23
	s_addc_u32 s24, s26, s27
	s_addc_u32 s25, s29, 0
	s_add_u32 s23, s24, s23
	s_addc_u32 s24, 0, s25
	s_add_u32 s20, s20, s23
	s_cselect_b32 s23, -1, 0
	s_mul_hi_u32 s25, s21, s20
	s_cmp_lg_u32 s23, 0
	s_mul_i32 s23, s21, s20
	s_addc_u32 s15, s15, s24
	s_mul_i32 s22, s22, s20
	s_mul_i32 s21, s21, s15
	s_mul_hi_u32 s24, s20, s23
	s_add_i32 s21, s25, s21
	s_mul_hi_u32 s25, s15, s23
	s_add_i32 s21, s21, s22
	s_mul_i32 s22, s15, s23
	s_mul_i32 s27, s20, s21
	s_mul_hi_u32 s26, s20, s21
	s_add_u32 s24, s24, s27
	s_addc_u32 s26, 0, s26
	s_mul_hi_u32 s23, s15, s21
	s_add_u32 s22, s24, s22
	s_mul_i32 s21, s15, s21
	s_addc_u32 s22, s26, s25
	s_addc_u32 s23, s23, 0
	s_add_u32 s21, s22, s21
	s_addc_u32 s22, 0, s23
	s_add_u32 s24, s20, s21
	s_cselect_b32 s20, -1, 0
	s_cmp_lg_u32 s20, 0
	s_addc_u32 s15, s15, s22
	s_ashr_i32 s20, s17, 31
	s_add_u32 s22, s11, s20
	s_mov_b32 s21, s20
	s_addc_u32 s23, s17, s20
	s_xor_b64 s[22:23], s[22:23], s[20:21]
	s_mul_i32 s25, s22, s15
	s_mul_hi_u32 s26, s22, s24
	s_mul_hi_u32 s17, s22, s15
	;; [unrolled: 1-line block ×3, first 2 shown]
	s_mul_i32 s24, s23, s24
	s_add_u32 s25, s26, s25
	s_addc_u32 s17, 0, s17
	s_mul_hi_u32 s27, s23, s15
	s_add_u32 s24, s25, s24
	s_mul_i32 s15, s23, s15
	s_addc_u32 s17, s17, s28
	s_addc_u32 s24, s27, 0
	s_add_u32 s15, s17, s15
	s_addc_u32 s17, 0, s24
	s_mul_hi_u32 s24, s18, s15
	s_mul_i32 s25, s18, s17
	s_mul_i32 s26, s19, s15
	s_add_i32 s24, s24, s25
	s_mul_i32 s25, s18, s15
	s_add_i32 s24, s24, s26
	s_sub_i32 s26, s23, s24
	s_sub_u32 s22, s22, s25
	s_cselect_b32 s25, -1, 0
	s_cmp_lg_u32 s25, 0
	s_subb_u32 s26, s26, s19
	s_sub_u32 s27, s22, s18
	s_cselect_b32 s28, -1, 0
	s_cmp_lg_u32 s28, 0
	s_subb_u32 s26, s26, 0
	s_cmp_ge_u32 s26, s19
	s_cselect_b32 s28, -1, 0
	s_cmp_ge_u32 s27, s18
	s_cselect_b32 s27, -1, 0
	s_cmp_eq_u32 s26, s19
	s_cselect_b32 s26, s27, s28
	s_add_u32 s27, s15, 1
	s_addc_u32 s28, s17, 0
	s_add_u32 s29, s15, 2
	s_addc_u32 s30, s17, 0
	s_cmp_lg_u32 s26, 0
	s_cselect_b32 s26, s29, s27
	s_cselect_b32 s27, s30, s28
	s_cmp_lg_u32 s25, 0
	s_subb_u32 s23, s23, s24
	s_cmp_ge_u32 s23, s19
	s_cselect_b32 s24, -1, 0
	s_cmp_ge_u32 s22, s18
	s_cselect_b32 s18, -1, 0
	s_cmp_eq_u32 s23, s19
	s_cselect_b32 s18, s18, s24
	s_cmp_lg_u32 s18, 0
	s_cselect_b32 s19, s27, s17
	s_cselect_b32 s18, s26, s15
	s_xor_b64 s[20:21], s[20:21], 0
	s_xor_b64 s[18:19], s[18:19], s[20:21]
	s_sub_u32 s18, s18, s20
	s_andn2_b32 vcc_lo, exec_lo, s16
	s_cbranch_vccnz .LBB67_6
.LBB67_5:
	v_cvt_f32_u32_e32 v1, s9
	s_sub_i32 s16, 0, s9
	v_rcp_iflag_f32_e32 v1, v1
	v_mul_f32_e32 v1, 0x4f7ffffe, v1
	v_cvt_u32_f32_e32 v1, v1
	s_waitcnt lgkmcnt(0)
	v_readfirstlane_b32 s15, v1
	s_mul_i32 s16, s16, s15
	s_mul_hi_u32 s16, s15, s16
	s_add_i32 s15, s15, s16
	s_mul_hi_u32 s15, s11, s15
	s_mul_i32 s16, s15, s9
	s_sub_i32 s11, s11, s16
	s_add_i32 s16, s15, 1
	s_sub_i32 s17, s11, s9
	s_cmp_ge_u32 s11, s9
	s_cselect_b32 s15, s16, s15
	s_cselect_b32 s11, s17, s11
	s_add_i32 s16, s15, 1
	s_cmp_ge_u32 s11, s9
	s_cselect_b32 s18, s16, s15
.LBB67_6:
	s_cmp_eq_u32 s10, s18
	s_waitcnt lgkmcnt(0)
	s_mul_hi_u32 s11, s10, s12
	s_cselect_b32 s15, -1, 0
	s_add_i32 s11, s11, s10
	s_lshr_b32 s11, s11, s13
	s_mul_i32 s16, s11, s14
	s_cmp_eq_u32 s16, s10
	s_mul_hi_u32 s16, s18, s12
	s_cselect_b32 s17, -1, 0
	s_add_i32 s16, s16, s18
	s_lshr_b32 s16, s16, s13
	s_cmp_eq_u32 s11, s16
	s_mul_i32 s16, s16, s14
	s_cselect_b32 s19, -1, 0
	s_cmp_lg_u32 s16, s18
	s_cselect_b32 s16, -1, 0
	s_or_b32 s15, s15, s17
	s_and_b32 s16, s19, s16
	s_or_b32 s15, s15, s16
	s_and_b32 vcc_lo, exec_lo, s15
	s_cbranch_vccnz .LBB67_24
; %bb.7:
	s_load_dwordx8 s[20:27], s[4:5], 0x20
	s_waitcnt lgkmcnt(0)
	s_mul_hi_u32 s15, s10, s20
	s_add_i32 s15, s15, s10
	s_lshr_b32 s20, s15, s21
	s_load_dword s15, s[4:5], 0x40
	s_mul_i32 s16, s20, s22
	s_sub_i32 s16, s10, s16
	s_mul_hi_u32 s17, s16, s23
	s_add_i32 s17, s16, s17
	s_lshr_b32 s22, s17, s24
	s_mul_i32 s17, s22, s25
	s_sub_i32 s16, s16, s17
	s_mul_hi_u32 s17, s16, s26
	s_add_i32 s17, s16, s17
	s_lshr_b32 s23, s17, s27
	s_waitcnt lgkmcnt(0)
	s_mul_i32 s15, s23, s15
	s_sub_i32 s15, s16, s15
	s_mul_hi_u32 s16, s15, s12
	s_add_i32 s15, s15, s16
	s_lshr_b32 s24, s15, s13
	s_lshl_b32 s15, s24, 2
	s_add_i32 s15, s15, s7
	s_cmp_lt_i32 s15, s0
	s_cselect_b32 s15, -1, 0
	s_add_i32 s16, s23, s8
	s_cmp_lt_i32 s16, s2
	s_cselect_b32 s16, -1, 0
	s_and_b32 s15, s15, s16
	s_andn2_b32 vcc_lo, exec_lo, s15
	s_cbranch_vccnz .LBB67_24
; %bb.8:
	s_load_dwordx4 s[16:19], s[4:5], 0x0
	s_mov_b32 s4, 0
	s_lshl_b32 s26, s9, 4
	s_mov_b32 s27, s4
	s_add_i32 s15, s7, s8
	s_lshl_b64 s[26:27], s[26:27], 2
	s_mul_i32 s0, s20, s0
	s_mul_i32 s22, s22, s2
	v_cvt_f32_u32_e32 v4, s9
	v_rcp_iflag_f32_e32 v4, v4
	s_waitcnt lgkmcnt(0)
	s_add_u32 s20, s18, s26
	s_addc_u32 s21, s19, s27
	s_add_i32 s0, s0, s7
	v_mul_f32_e32 v4, 0x4f7ffffe, v4
	s_mul_i32 s0, s0, s1
	s_mul_i32 s1, s1, s24
	s_add_i32 s0, s0, s8
	s_lshl_b32 s1, s1, 8
	s_add_i32 s0, s0, s22
	v_cvt_u32_f32_e32 v4, v4
	s_add_i32 s0, s0, s23
	s_lshl_b32 s0, s0, 6
	s_add_i32 s1, s1, s0
	s_lshl_b32 s0, s6, 2
	v_or_b32_e32 v1, s1, v0
	s_add_i32 s0, s0, s15
	v_lshl_or_b32 v0, s15, 6, v0
	s_ashr_i32 s1, s0, 31
	v_ashrrev_i32_e32 v2, 31, v1
	s_lshl_b64 s[0:1], s[0:1], 3
	s_add_u32 s0, s18, s0
	s_addc_u32 s1, s19, s1
	v_lshlrev_b64 v[1:2], 2, v[1:2]
	s_load_dwordx2 s[0:1], s[0:1], 0x0
	s_add_i32 s8, s6, -1
	s_sub_i32 s2, 0, s9
	v_add_co_u32 v1, vcc_lo, s16, v1
	v_add_co_ci_u32_e64 v2, null, s17, v2, vcc_lo
	global_load_dword v3, v[1:2], off
	s_waitcnt lgkmcnt(0)
	v_mov_b32_e32 v5, s1
	v_mov_b32_e32 v6, s0
.LBB67_9:                               ; =>This Inner Loop Header: Depth=1
	s_mul_hi_i32 s5, s8, s3
	s_mul_i32 s6, s8, s3
	s_cmp_lg_u64 s[4:5], 0
	s_mov_b32 s7, -1
                                        ; implicit-def: $sgpr0_sgpr1
	s_cbranch_scc0 .LBB67_11
; %bb.10:                               ;   in Loop: Header=BB67_9 Depth=1
	s_add_u32 s0, s9, 0
	s_addc_u32 s1, 0, 0
	s_xor_b64 s[0:1], s[0:1], 0
	v_cvt_f32_u32_e32 v7, s0
	v_cvt_f32_u32_e32 v8, s1
	s_sub_u32 s17, 0, s0
	s_subb_u32 s22, 0, s1
	v_fmac_f32_e32 v7, 0x4f800000, v8
	v_rcp_f32_e32 v7, v7
	v_mul_f32_e32 v7, 0x5f7ffffc, v7
	v_mul_f32_e32 v8, 0x2f800000, v7
	v_trunc_f32_e32 v8, v8
	v_fmac_f32_e32 v7, 0xcf800000, v8
	v_cvt_u32_f32_e32 v8, v8
	v_cvt_u32_f32_e32 v7, v7
	v_readfirstlane_b32 s7, v8
	v_readfirstlane_b32 s16, v7
	s_mul_i32 s23, s17, s7
	s_mul_hi_u32 s25, s17, s16
	s_mul_i32 s24, s22, s16
	s_add_i32 s23, s25, s23
	s_mul_i32 s26, s17, s16
	s_add_i32 s23, s23, s24
	s_mul_hi_u32 s25, s16, s26
	s_mul_i32 s28, s16, s23
	s_mul_hi_u32 s27, s7, s26
	s_mul_i32 s24, s7, s26
	s_mul_hi_u32 s26, s16, s23
	s_add_u32 s25, s25, s28
	s_addc_u32 s26, 0, s26
	s_mul_hi_u32 s29, s7, s23
	s_add_u32 s24, s25, s24
	s_mul_i32 s23, s7, s23
	s_addc_u32 s24, s26, s27
	s_addc_u32 s25, s29, 0
	s_add_u32 s23, s24, s23
	s_addc_u32 s24, 0, s25
	s_add_u32 s16, s16, s23
	s_cselect_b32 s23, -1, 0
	s_mul_hi_u32 s25, s17, s16
	s_cmp_lg_u32 s23, 0
	s_mul_i32 s23, s17, s16
	s_addc_u32 s7, s7, s24
	s_mul_i32 s22, s22, s16
	s_mul_i32 s17, s17, s7
	s_mul_hi_u32 s24, s16, s23
	s_add_i32 s17, s25, s17
	s_mul_hi_u32 s25, s7, s23
	s_add_i32 s17, s17, s22
	s_mul_i32 s22, s7, s23
	s_mul_i32 s27, s16, s17
	s_mul_hi_u32 s26, s16, s17
	s_add_u32 s24, s24, s27
	s_addc_u32 s26, 0, s26
	s_mul_hi_u32 s23, s7, s17
	s_add_u32 s22, s24, s22
	s_mul_i32 s17, s7, s17
	s_addc_u32 s22, s26, s25
	s_addc_u32 s23, s23, 0
	s_add_u32 s17, s22, s17
	s_addc_u32 s22, 0, s23
	s_add_u32 s24, s16, s17
	s_cselect_b32 s16, -1, 0
	s_cmp_lg_u32 s16, 0
	s_addc_u32 s7, s7, s22
	s_ashr_i32 s16, s5, 31
	s_add_u32 s22, s6, s16
	s_mov_b32 s17, s16
	s_addc_u32 s23, s5, s16
	s_xor_b64 s[22:23], s[22:23], s[16:17]
	s_mul_i32 s25, s22, s7
	s_mul_hi_u32 s26, s22, s24
	s_mul_hi_u32 s5, s22, s7
	;; [unrolled: 1-line block ×3, first 2 shown]
	s_mul_i32 s24, s23, s24
	s_add_u32 s25, s26, s25
	s_addc_u32 s5, 0, s5
	s_mul_hi_u32 s27, s23, s7
	s_add_u32 s24, s25, s24
	s_mul_i32 s7, s23, s7
	s_addc_u32 s5, s5, s28
	s_addc_u32 s24, s27, 0
	s_add_u32 s5, s5, s7
	s_addc_u32 s7, 0, s24
	s_mul_hi_u32 s24, s0, s5
	s_mul_i32 s25, s0, s7
	s_mul_i32 s26, s1, s5
	s_add_i32 s24, s24, s25
	s_mul_i32 s25, s0, s5
	s_add_i32 s24, s24, s26
	s_sub_i32 s26, s23, s24
	s_sub_u32 s22, s22, s25
	s_cselect_b32 s25, -1, 0
	s_cmp_lg_u32 s25, 0
	s_subb_u32 s26, s26, s1
	s_sub_u32 s27, s22, s0
	s_cselect_b32 s28, -1, 0
	s_cmp_lg_u32 s28, 0
	s_subb_u32 s26, s26, 0
	s_cmp_ge_u32 s26, s1
	s_cselect_b32 s28, -1, 0
	s_cmp_ge_u32 s27, s0
	s_cselect_b32 s27, -1, 0
	s_cmp_eq_u32 s26, s1
	s_cselect_b32 s26, s27, s28
	s_add_u32 s27, s5, 1
	s_addc_u32 s28, s7, 0
	s_add_u32 s29, s5, 2
	s_addc_u32 s30, s7, 0
	s_cmp_lg_u32 s26, 0
	s_cselect_b32 s26, s29, s27
	s_cselect_b32 s27, s30, s28
	s_cmp_lg_u32 s25, 0
	s_subb_u32 s23, s23, s24
	s_cmp_ge_u32 s23, s1
	s_cselect_b32 s24, -1, 0
	s_cmp_ge_u32 s22, s0
	s_cselect_b32 s0, -1, 0
	s_cmp_eq_u32 s23, s1
	s_cselect_b32 s0, s0, s24
	s_cmp_lg_u32 s0, 0
	s_cselect_b32 s1, s27, s7
	s_cselect_b32 s0, s26, s5
	s_xor_b64 s[16:17], s[16:17], 0
	s_mov_b32 s7, 0
	s_xor_b64 s[0:1], s[0:1], s[16:17]
	s_sub_u32 s0, s0, s16
.LBB67_11:                              ;   in Loop: Header=BB67_9 Depth=1
	s_andn2_b32 vcc_lo, exec_lo, s7
	s_cbranch_vccnz .LBB67_13
; %bb.12:                               ;   in Loop: Header=BB67_9 Depth=1
	v_readfirstlane_b32 s0, v4
	s_mul_i32 s1, s2, s0
	s_mul_hi_u32 s1, s0, s1
	s_add_i32 s0, s0, s1
	s_mul_hi_u32 s0, s6, s0
	s_mul_i32 s1, s0, s9
	s_add_i32 s5, s0, 1
	s_sub_i32 s1, s6, s1
	s_sub_i32 s6, s1, s9
	s_cmp_ge_u32 s1, s9
	s_cselect_b32 s0, s5, s0
	s_cselect_b32 s1, s6, s1
	s_add_i32 s5, s0, 1
	s_cmp_ge_u32 s1, s9
	s_cselect_b32 s0, s5, s0
.LBB67_13:                              ;   in Loop: Header=BB67_9 Depth=1
	s_cmp_lg_u32 s10, s0
	s_mov_b32 s6, -1
                                        ; implicit-def: $sgpr5
                                        ; implicit-def: $vgpr8
                                        ; implicit-def: $vgpr7
                                        ; implicit-def: $vgpr9
                                        ; implicit-def: $sgpr1
                                        ; implicit-def: $sgpr16
	s_cbranch_scc0 .LBB67_18
; %bb.14:                               ;   in Loop: Header=BB67_9 Depth=1
	s_add_i32 s1, s8, s9
	s_mov_b32 s7, s4
	s_lshl_b32 s1, s1, 2
	s_mov_b32 s16, s10
	s_add_i32 s6, s1, s15
	s_mul_hi_u32 s1, s0, s12
	s_lshl_b64 s[6:7], s[6:7], 3
	s_add_u32 s6, s18, s6
	s_addc_u32 s7, s19, s7
	s_add_i32 s1, s1, s0
	s_lshr_b32 s1, s1, s13
	s_mul_i32 s5, s1, s14
	s_cmp_eq_u32 s5, s0
	s_cselect_b32 s5, -1, 0
	s_cmp_lt_u32 s1, s11
	s_cselect_b32 s1, -1, 0
	s_or_b32 s1, s1, s5
	s_mov_b32 s5, -1
	s_and_b32 vcc_lo, exec_lo, s1
	s_mov_b32 s1, s8
	s_cbranch_vccnz .LBB67_16
; %bb.15:                               ;   in Loop: Header=BB67_9 Depth=1
	s_add_i32 s1, s8, -1
	s_mov_b32 s5, 0
	s_mov_b32 s16, s0
.LBB67_16:                              ;   in Loop: Header=BB67_9 Depth=1
	v_lshl_add_u32 v7, s8, 8, v0
	s_load_dwordx2 s[6:7], s[6:7], 0x0
	v_ashrrev_i32_e32 v8, 31, v7
	v_lshlrev_b64 v[7:8], 2, v[7:8]
	v_add_co_u32 v7, vcc_lo, s20, v7
	v_add_co_ci_u32_e64 v8, null, s21, v8, vcc_lo
	s_waitcnt lgkmcnt(0)
	v_max_f32_e64 v9, s6, s6
	global_load_dword v8, v[7:8], off
	v_max_f32_e32 v7, v6, v6
	v_max_f32_e32 v7, v7, v9
	v_sub_f32_e32 v9, s6, v7
	v_sub_f32_e32 v10, v6, v7
	v_mul_f32_e32 v11, 0x3fb8aa3b, v9
	v_mul_f32_e32 v12, 0x3fb8aa3b, v10
	v_cmp_ngt_f32_e32 vcc_lo, 0xc2ce8ed0, v9
	v_fma_f32 v13, 0x3fb8aa3b, v9, -v11
	v_rndne_f32_e32 v14, v11
	v_fma_f32 v15, 0x3fb8aa3b, v10, -v12
	v_rndne_f32_e32 v16, v12
	v_fmac_f32_e32 v13, 0x32a5705f, v9
	v_sub_f32_e32 v11, v11, v14
	v_fmac_f32_e32 v15, 0x32a5705f, v10
	v_sub_f32_e32 v12, v12, v16
	v_add_f32_e32 v11, v11, v13
	v_cvt_i32_f32_e32 v13, v14
	v_add_f32_e32 v12, v12, v15
	v_cvt_i32_f32_e32 v14, v16
	v_exp_f32_e32 v11, v11
	v_exp_f32_e32 v12, v12
	v_ldexp_f32 v11, v11, v13
	v_ldexp_f32 v12, v12, v14
	v_cndmask_b32_e32 v11, 0, v11, vcc_lo
	v_cmp_ngt_f32_e32 vcc_lo, 0xc2ce8ed0, v10
	v_cndmask_b32_e32 v12, 0, v12, vcc_lo
	v_cmp_nlt_f32_e32 vcc_lo, 0x42b17218, v9
	v_cndmask_b32_e32 v11, 0x7f800000, v11, vcc_lo
	v_cmp_nlt_f32_e32 vcc_lo, 0x42b17218, v10
	v_cndmask_b32_e32 v12, 0x7f800000, v12, vcc_lo
	v_cmp_le_f32_e32 vcc_lo, 0xc1a00000, v9
	v_cndmask_b32_e32 v9, 0, v11, vcc_lo
	v_cmp_le_f32_e32 vcc_lo, 0xc1a00000, v10
	v_cndmask_b32_e32 v10, 0, v12, vcc_lo
	s_waitcnt vmcnt(0)
	v_mul_f32_e32 v8, v8, v9
	v_mul_f32_e32 v9, s7, v9
	v_fmac_f32_e32 v8, v3, v10
	v_fmac_f32_e32 v9, v5, v10
	s_cbranch_execz .LBB67_19
.LBB67_17:                              ;   in Loop: Header=BB67_9 Depth=1
	s_andn2_b32 vcc_lo, exec_lo, s5
	s_cbranch_vccnz .LBB67_20
	s_branch .LBB67_23
.LBB67_18:                              ;   in Loop: Header=BB67_9 Depth=1
	s_andn2_b32 vcc_lo, exec_lo, s6
	s_cbranch_vccnz .LBB67_17
.LBB67_19:                              ;   in Loop: Header=BB67_9 Depth=1
	v_mov_b32_e32 v9, v5
	v_mov_b32_e32 v7, v6
	s_waitcnt vmcnt(0)
	v_mov_b32_e32 v8, v3
	s_add_i32 s1, s8, -1
	s_mov_b32 s16, s10
	s_cbranch_execz .LBB67_23
.LBB67_20:                              ;   in Loop: Header=BB67_9 Depth=1
	v_mov_b32_e32 v5, v9
	v_mov_b32_e32 v6, v7
	s_waitcnt vmcnt(0)
	v_mov_b32_e32 v3, v8
	s_mov_b32 s10, s16
	s_mov_b32 s8, s1
	s_branch .LBB67_9
.LBB67_21:
                                        ; implicit-def: $sgpr10_sgpr11
	s_load_dwordx4 s[12:15], s[4:5], 0x44
	s_branch .LBB67_2
.LBB67_22:
                                        ; implicit-def: $sgpr18_sgpr19
	s_branch .LBB67_5
.LBB67_23:
	v_div_scale_f32 v0, null, v9, v9, v8
	s_waitcnt vmcnt(0)
	v_rcp_f32_e32 v3, v0
	v_fma_f32 v4, -v0, v3, 1.0
	v_fmac_f32_e32 v3, v4, v3
	v_div_scale_f32 v4, vcc_lo, v8, v9, v8
	v_mul_f32_e32 v5, v4, v3
	v_fma_f32 v6, -v0, v5, v4
	v_fmac_f32_e32 v5, v6, v3
	v_fma_f32 v0, -v0, v5, v4
	v_div_fmas_f32 v0, v0, v3, v5
	v_div_fixup_f32 v0, v0, v9, v8
	global_store_dword v[1:2], v0, off
.LBB67_24:
	s_endpgm
	.section	.rodata,"a",@progbits
	.p2align	6, 0x0
	.amdhsa_kernel _ZL33flash_attn_stream_k_fixup_generalILi64ELi4ELi1EEvPfPK15HIP_vector_typeIfLj2EEiiiiS1_IjLj3EES5_S5_S5_
		.amdhsa_group_segment_fixed_size 0
		.amdhsa_private_segment_fixed_size 0
		.amdhsa_kernarg_size 336
		.amdhsa_user_sgpr_count 6
		.amdhsa_user_sgpr_private_segment_buffer 1
		.amdhsa_user_sgpr_dispatch_ptr 0
		.amdhsa_user_sgpr_queue_ptr 0
		.amdhsa_user_sgpr_kernarg_segment_ptr 1
		.amdhsa_user_sgpr_dispatch_id 0
		.amdhsa_user_sgpr_flat_scratch_init 0
		.amdhsa_user_sgpr_private_segment_size 0
		.amdhsa_wavefront_size32 1
		.amdhsa_uses_dynamic_stack 0
		.amdhsa_system_sgpr_private_segment_wavefront_offset 0
		.amdhsa_system_sgpr_workgroup_id_x 1
		.amdhsa_system_sgpr_workgroup_id_y 1
		.amdhsa_system_sgpr_workgroup_id_z 1
		.amdhsa_system_sgpr_workgroup_info 0
		.amdhsa_system_vgpr_workitem_id 0
		.amdhsa_next_free_vgpr 17
		.amdhsa_next_free_sgpr 31
		.amdhsa_reserve_vcc 1
		.amdhsa_reserve_flat_scratch 0
		.amdhsa_float_round_mode_32 0
		.amdhsa_float_round_mode_16_64 0
		.amdhsa_float_denorm_mode_32 3
		.amdhsa_float_denorm_mode_16_64 3
		.amdhsa_dx10_clamp 1
		.amdhsa_ieee_mode 1
		.amdhsa_fp16_overflow 0
		.amdhsa_workgroup_processor_mode 1
		.amdhsa_memory_ordered 1
		.amdhsa_forward_progress 1
		.amdhsa_shared_vgpr_count 0
		.amdhsa_exception_fp_ieee_invalid_op 0
		.amdhsa_exception_fp_denorm_src 0
		.amdhsa_exception_fp_ieee_div_zero 0
		.amdhsa_exception_fp_ieee_overflow 0
		.amdhsa_exception_fp_ieee_underflow 0
		.amdhsa_exception_fp_ieee_inexact 0
		.amdhsa_exception_int_div_zero 0
	.end_amdhsa_kernel
	.section	.text._ZL33flash_attn_stream_k_fixup_generalILi64ELi4ELi1EEvPfPK15HIP_vector_typeIfLj2EEiiiiS1_IjLj3EES5_S5_S5_,"axG",@progbits,_ZL33flash_attn_stream_k_fixup_generalILi64ELi4ELi1EEvPfPK15HIP_vector_typeIfLj2EEiiiiS1_IjLj3EES5_S5_S5_,comdat
.Lfunc_end67:
	.size	_ZL33flash_attn_stream_k_fixup_generalILi64ELi4ELi1EEvPfPK15HIP_vector_typeIfLj2EEiiiiS1_IjLj3EES5_S5_S5_, .Lfunc_end67-_ZL33flash_attn_stream_k_fixup_generalILi64ELi4ELi1EEvPfPK15HIP_vector_typeIfLj2EEiiiiS1_IjLj3EES5_S5_S5_
                                        ; -- End function
	.set _ZL33flash_attn_stream_k_fixup_generalILi64ELi4ELi1EEvPfPK15HIP_vector_typeIfLj2EEiiiiS1_IjLj3EES5_S5_S5_.num_vgpr, 17
	.set _ZL33flash_attn_stream_k_fixup_generalILi64ELi4ELi1EEvPfPK15HIP_vector_typeIfLj2EEiiiiS1_IjLj3EES5_S5_S5_.num_agpr, 0
	.set _ZL33flash_attn_stream_k_fixup_generalILi64ELi4ELi1EEvPfPK15HIP_vector_typeIfLj2EEiiiiS1_IjLj3EES5_S5_S5_.numbered_sgpr, 31
	.set _ZL33flash_attn_stream_k_fixup_generalILi64ELi4ELi1EEvPfPK15HIP_vector_typeIfLj2EEiiiiS1_IjLj3EES5_S5_S5_.num_named_barrier, 0
	.set _ZL33flash_attn_stream_k_fixup_generalILi64ELi4ELi1EEvPfPK15HIP_vector_typeIfLj2EEiiiiS1_IjLj3EES5_S5_S5_.private_seg_size, 0
	.set _ZL33flash_attn_stream_k_fixup_generalILi64ELi4ELi1EEvPfPK15HIP_vector_typeIfLj2EEiiiiS1_IjLj3EES5_S5_S5_.uses_vcc, 1
	.set _ZL33flash_attn_stream_k_fixup_generalILi64ELi4ELi1EEvPfPK15HIP_vector_typeIfLj2EEiiiiS1_IjLj3EES5_S5_S5_.uses_flat_scratch, 0
	.set _ZL33flash_attn_stream_k_fixup_generalILi64ELi4ELi1EEvPfPK15HIP_vector_typeIfLj2EEiiiiS1_IjLj3EES5_S5_S5_.has_dyn_sized_stack, 0
	.set _ZL33flash_attn_stream_k_fixup_generalILi64ELi4ELi1EEvPfPK15HIP_vector_typeIfLj2EEiiiiS1_IjLj3EES5_S5_S5_.has_recursion, 0
	.set _ZL33flash_attn_stream_k_fixup_generalILi64ELi4ELi1EEvPfPK15HIP_vector_typeIfLj2EEiiiiS1_IjLj3EES5_S5_S5_.has_indirect_call, 0
	.section	.AMDGPU.csdata,"",@progbits
; Kernel info:
; codeLenInByte = 2936
; TotalNumSgprs: 33
; NumVgprs: 17
; ScratchSize: 0
; MemoryBound: 0
; FloatMode: 240
; IeeeMode: 1
; LDSByteSize: 0 bytes/workgroup (compile time only)
; SGPRBlocks: 0
; VGPRBlocks: 2
; NumSGPRsForWavesPerEU: 33
; NumVGPRsForWavesPerEU: 17
; Occupancy: 16
; WaveLimiterHint : 0
; COMPUTE_PGM_RSRC2:SCRATCH_EN: 0
; COMPUTE_PGM_RSRC2:USER_SGPR: 6
; COMPUTE_PGM_RSRC2:TRAP_HANDLER: 0
; COMPUTE_PGM_RSRC2:TGID_X_EN: 1
; COMPUTE_PGM_RSRC2:TGID_Y_EN: 1
; COMPUTE_PGM_RSRC2:TGID_Z_EN: 1
; COMPUTE_PGM_RSRC2:TIDIG_COMP_CNT: 0
	.section	.text._ZL15flash_attn_tileILi64ELi64ELi2ELi1ELb0EEvPKcS1_S1_S1_S1_PKiPfP15HIP_vector_typeIfLj2EEffffjfiS5_IjLj3EEiiiiiiiiiiiliiliiiiil,"axG",@progbits,_ZL15flash_attn_tileILi64ELi64ELi2ELi1ELb0EEvPKcS1_S1_S1_S1_PKiPfP15HIP_vector_typeIfLj2EEffffjfiS5_IjLj3EEiiiiiiiiiiiliiliiiiil,comdat
	.globl	_ZL15flash_attn_tileILi64ELi64ELi2ELi1ELb0EEvPKcS1_S1_S1_S1_PKiPfP15HIP_vector_typeIfLj2EEffffjfiS5_IjLj3EEiiiiiiiiiiiliiliiiiil ; -- Begin function _ZL15flash_attn_tileILi64ELi64ELi2ELi1ELb0EEvPKcS1_S1_S1_S1_PKiPfP15HIP_vector_typeIfLj2EEffffjfiS5_IjLj3EEiiiiiiiiiiiliiliiiiil
	.p2align	8
	.type	_ZL15flash_attn_tileILi64ELi64ELi2ELi1ELb0EEvPKcS1_S1_S1_S1_PKiPfP15HIP_vector_typeIfLj2EEffffjfiS5_IjLj3EEiiiiiiiiiiiliiliiiiil,@function
_ZL15flash_attn_tileILi64ELi64ELi2ELi1ELb0EEvPKcS1_S1_S1_S1_PKiPfP15HIP_vector_typeIfLj2EEffffjfiS5_IjLj3EEiiiiiiiiiiiliiliiiiil: ; @_ZL15flash_attn_tileILi64ELi64ELi2ELi1ELb0EEvPKcS1_S1_S1_S1_PKiPfP15HIP_vector_typeIfLj2EEffffjfiS5_IjLj3EEiiiiiiiiiiiliiliiiiil
; %bb.0:
	s_add_u32 s6, s6, s11
	s_addc_u32 s7, s7, 0
	s_setreg_b32 hwreg(HW_REG_FLAT_SCR_LO), s6
	s_setreg_b32 hwreg(HW_REG_FLAT_SCR_HI), s7
	s_clause 0x1
	s_load_dwordx4 s[28:31], s[4:5], 0x5c
	s_load_dwordx2 s[44:45], s[4:5], 0x80
	s_add_u32 s0, s0, s11
	s_addc_u32 s1, s1, 0
	s_mov_b32 s34, s9
	s_load_dwordx2 s[46:47], s[4:5], 0xb8
	s_mov_b64 s[42:43], 0
	s_waitcnt lgkmcnt(0)
	v_cvt_f32_u32_e32 v2, s31
	s_sub_i32 s7, 0, s31
	v_rcp_iflag_f32_e32 v2, v2
	v_mul_f32_e32 v2, 0x4f7ffffe, v2
	v_cvt_u32_f32_e32 v2, v2
	v_readfirstlane_b32 s6, v2
	s_mul_i32 s7, s7, s6
	s_mul_hi_u32 s7, s6, s7
	s_add_i32 s6, s6, s7
	s_mul_hi_u32 s6, s10, s6
	s_mul_i32 s7, s6, s31
	s_add_i32 s9, s6, 1
	s_sub_i32 s7, s10, s7
	s_sub_i32 s11, s7, s31
	s_cmp_ge_u32 s7, s31
	s_cselect_b32 s6, s9, s6
	s_cselect_b32 s7, s11, s7
	s_add_i32 s9, s6, 1
	s_cmp_ge_u32 s7, s31
	s_cselect_b32 s33, s9, s6
	s_abs_i32 s6, s45
	s_abs_i32 s12, s31
	v_cvt_f32_u32_e32 v2, s6
	s_sub_i32 s9, 0, s6
	s_mul_i32 s11, s33, s31
	s_sub_i32 s40, s10, s11
	v_rcp_iflag_f32_e32 v2, v2
	v_mul_f32_e32 v2, 0x4f7ffffe, v2
	v_cvt_u32_f32_e32 v2, v2
	v_readfirstlane_b32 s7, v2
	s_mul_i32 s9, s9, s7
	s_mul_hi_u32 s9, s7, s9
	s_add_i32 s7, s7, s9
	s_xor_b32 s9, s31, s45
	s_mul_hi_u32 s7, s12, s7
	s_ashr_i32 s9, s9, 31
	s_mul_i32 s10, s7, s6
	s_add_i32 s11, s7, 1
	s_sub_i32 s10, s12, s10
	s_sub_i32 s12, s10, s6
	s_cmp_ge_u32 s10, s6
	s_cselect_b32 s7, s11, s7
	s_cselect_b32 s10, s12, s10
	s_add_i32 s11, s7, 1
	s_cmp_ge_u32 s10, s6
	s_load_dwordx16 s[12:27], s[4:5], 0x0
	s_cselect_b32 s6, s11, s7
	s_abs_i32 s45, s40
	s_xor_b32 s6, s6, s9
	s_sub_i32 s10, s6, s9
	s_abs_i32 s35, s10
	v_cvt_f32_u32_e32 v2, s35
	s_sub_i32 s7, 0, s35
	v_rcp_iflag_f32_e32 v2, v2
	v_mul_f32_e32 v2, 0x4f7ffffe, v2
	v_cvt_u32_f32_e32 v2, v2
	v_readfirstlane_b32 s6, v2
	s_mul_i32 s7, s7, s6
	s_mul_hi_u32 s7, s6, s7
	s_add_i32 s6, s6, s7
	s_waitcnt lgkmcnt(0)
	s_cmp_eq_u64 s[18:19], 0
	s_cbranch_scc1 .LBB68_2
; %bb.1:
	s_abs_i32 s7, s46
	s_abs_i32 s38, s33
	v_cvt_f32_u32_e32 v2, s7
	s_sub_i32 s11, 0, s7
	s_load_dwordx2 s[36:37], s[4:5], 0xc8
	v_rcp_iflag_f32_e32 v2, v2
	v_mul_f32_e32 v2, 0x4f7ffffe, v2
	v_cvt_u32_f32_e32 v2, v2
	v_readfirstlane_b32 s9, v2
	s_mul_i32 s11, s11, s9
	s_mul_hi_u32 s11, s9, s11
	s_add_i32 s9, s9, s11
	s_ashr_i32 s11, s33, 31
	s_mul_hi_u32 s9, s38, s9
	s_mul_i32 s9, s9, s7
	s_sub_i32 s9, s38, s9
	s_sub_i32 s38, s9, s7
	s_cmp_ge_u32 s9, s7
	s_cselect_b32 s9, s38, s9
	s_sub_i32 s38, s9, s7
	s_cmp_ge_u32 s9, s7
	s_cselect_b32 s7, s38, s9
	s_xor_b32 s7, s7, s11
	s_sub_i32 s7, s7, s11
	s_ashr_i32 s9, s7, 31
	s_waitcnt lgkmcnt(0)
	s_mul_hi_u32 s11, s36, s7
	s_mul_i32 s9, s36, s9
	s_add_i32 s9, s11, s9
	s_mul_i32 s11, s37, s7
	s_mul_i32 s7, s36, s7
	s_add_i32 s9, s9, s11
	s_add_u32 s42, s18, s7
	s_addc_u32 s43, s19, s9
.LBB68_2:
	s_clause 0x1
	s_load_dwordx4 s[36:39], s[4:5], 0x40
	s_load_dword s7, s[4:5], 0x50
	v_mov_b32_e32 v24, 1.0
	s_waitcnt lgkmcnt(0)
	v_cmp_le_f32_e64 s9, s37, 0
	s_mul_hi_u32 s37, s45, s6
	s_and_b32 vcc_lo, exec_lo, s9
	s_cbranch_vccnz .LBB68_4
; %bb.3:
	v_sub_co_u32 v3, vcc_lo, s40, s7
	v_mov_b32_e32 v2, s38
	s_add_i32 s6, s40, 1
	v_lshlrev_b32_e32 v3, 1, v3
	v_cndmask_b32_e32 v2, s39, v2, vcc_lo
	v_or_b32_e32 v3, 1, v3
	v_cndmask_b32_e64 v3, v3, s6, vcc_lo
	v_cmp_neq_f32_e32 vcc_lo, 1.0, v2
	s_mov_b32 s6, 0x3e76c4e1
	v_cvt_f32_i32_e32 v3, v3
	v_cndmask_b32_e32 v4, 1.0, v3, vcc_lo
	v_cmp_neq_f32_e32 vcc_lo, 0, v4
	v_cndmask_b32_e32 v5, 1.0, v2, vcc_lo
	v_frexp_mant_f32_e64 v2, |v5|
	v_cmp_eq_f32_e64 s9, 0, v5
	v_cmp_gt_f32_e32 vcc_lo, 0x3f2aaaab, v2
	v_cndmask_b32_e64 v3, 1.0, 2.0, vcc_lo
	v_mul_f32_e32 v2, v2, v3
	v_add_f32_e32 v3, 1.0, v2
	v_add_f32_e32 v7, -1.0, v2
	v_rcp_f32_e32 v6, v3
	v_add_f32_e32 v9, -1.0, v3
	v_sub_f32_e32 v2, v2, v9
	v_mul_f32_e32 v8, v7, v6
	v_mul_f32_e32 v10, v3, v8
	v_fma_f32 v3, v8, v3, -v10
	v_fmac_f32_e32 v3, v8, v2
	v_add_f32_e32 v2, v10, v3
	v_sub_f32_e32 v9, v7, v2
	v_sub_f32_e32 v10, v2, v10
	;; [unrolled: 1-line block ×5, first 2 shown]
	v_add_f32_e32 v2, v3, v2
	v_add_f32_e32 v2, v9, v2
	v_mul_f32_e32 v2, v6, v2
	v_add_f32_e32 v6, v8, v2
	v_sub_f32_e32 v3, v6, v8
	v_mul_f32_e32 v7, v6, v6
	v_sub_f32_e32 v8, v2, v3
	v_fma_f32 v2, v6, v6, -v7
	v_add_f32_e32 v3, v8, v8
	v_fmac_f32_e32 v2, v6, v3
	v_add_f32_e32 v9, v7, v2
	v_fmaak_f32 v3, s6, v9, 0x3e91f4c4
	v_sub_f32_e32 v7, v9, v7
	v_mul_f32_e32 v14, v6, v9
	v_fmaak_f32 v3, v9, v3, 0x3ecccdef
	v_sub_f32_e32 v7, v2, v7
	v_fma_f32 v15, v9, v6, -v14
	v_mul_f32_e32 v10, v9, v3
	v_fmac_f32_e32 v15, v9, v8
	v_ldexp_f32 v8, v8, 1
	v_fma_f32 v11, v9, v3, -v10
	v_fmac_f32_e32 v15, v7, v6
	v_fmac_f32_e32 v11, v7, v3
	v_cvt_f64_f32_e64 v[2:3], |v5|
	v_add_f32_e32 v12, v10, v11
	v_sub_f32_e32 v10, v12, v10
	v_add_f32_e32 v13, 0x3f2aaaaa, v12
	v_sub_f32_e32 v10, v11, v10
	v_add_f32_e32 v11, 0xbf2aaaaa, v13
	v_add_f32_e32 v10, 0x31739010, v10
	v_sub_f32_e32 v11, v12, v11
	v_frexp_exp_i32_f64_e32 v2, v[2:3]
	v_add_f32_e32 v9, v10, v11
	v_add_f32_e32 v10, v14, v15
	;; [unrolled: 1-line block ×3, first 2 shown]
	v_sub_f32_e32 v12, v10, v14
	v_sub_f32_e32 v3, v13, v7
	v_mul_f32_e32 v11, v10, v7
	v_sub_f32_e32 v12, v15, v12
	v_add_f32_e32 v3, v9, v3
	v_fma_f32 v9, v10, v7, -v11
	v_subrev_co_ci_u32_e64 v2, null, 0, v2, vcc_lo
	v_fmac_f32_e32 v9, v10, v3
	v_ldexp_f32 v3, v6, 1
	v_cvt_f32_i32_e32 v2, v2
	v_fmac_f32_e32 v9, v12, v7
	v_add_f32_e32 v6, v11, v9
	v_add_f32_e32 v7, v3, v6
	v_sub_f32_e32 v10, v6, v11
	v_mul_f32_e32 v11, 0x3f317218, v2
	v_sub_f32_e32 v3, v7, v3
	v_sub_f32_e32 v9, v9, v10
	v_fma_f32 v10, 0x3f317218, v2, -v11
	v_sub_f32_e32 v3, v6, v3
	v_add_f32_e32 v6, v8, v9
	v_fmamk_f32 v2, v2, 0xb102e308, v10
	v_add_f32_e32 v3, v6, v3
	v_add_f32_e32 v6, v11, v2
	;; [unrolled: 1-line block ×3, first 2 shown]
	v_sub_f32_e32 v11, v6, v11
	v_add_f32_e32 v9, v6, v8
	v_sub_f32_e32 v7, v8, v7
	v_sub_f32_e32 v2, v2, v11
	;; [unrolled: 1-line block ×6, first 2 shown]
	v_add_f32_e32 v8, v2, v3
	v_sub_f32_e32 v6, v6, v12
	v_add_f32_e32 v6, v7, v6
	v_sub_f32_e32 v7, v8, v2
	;; [unrolled: 2-line block ×3, first 2 shown]
	v_sub_f32_e32 v3, v3, v7
	v_add_f32_e32 v10, v9, v6
	v_sub_f32_e32 v2, v2, v8
	v_sub_f32_e32 v7, v10, v9
	v_add_f32_e32 v2, v3, v2
	v_sub_f32_e32 v3, v6, v7
	v_add_f32_e32 v2, v2, v3
	v_add_f32_e32 v3, v10, v2
	v_sub_f32_e32 v6, v3, v10
	v_mul_f32_e32 v7, v4, v3
	v_sub_f32_e32 v2, v2, v6
	v_fma_f32 v3, v4, v3, -v7
	v_cmp_class_f32_e64 vcc_lo, v7, 0x204
	v_fmac_f32_e32 v3, v4, v2
	v_add_f32_e32 v2, v7, v3
	v_cndmask_b32_e32 v6, v2, v7, vcc_lo
	v_sub_f32_e32 v2, v2, v7
	v_cmp_eq_f32_e32 vcc_lo, 0x42b17218, v6
	v_sub_f32_e32 v2, v3, v2
	v_cndmask_b32_e64 v8, 0, 0x37000000, vcc_lo
	v_cmp_neq_f32_e64 vcc_lo, 0x7f800000, |v6|
	v_sub_f32_e32 v9, v6, v8
	v_cndmask_b32_e32 v2, 0, v2, vcc_lo
	v_trunc_f32_e32 v6, v4
	v_mul_f32_e32 v10, 0x3fb8aa3b, v9
	v_cmp_ngt_f32_e32 vcc_lo, 0xc2ce8ed0, v9
	v_add_f32_e32 v2, v8, v2
	v_fma_f32 v11, 0x3fb8aa3b, v9, -v10
	v_rndne_f32_e32 v12, v10
	v_fmamk_f32 v11, v9, 0x32a5705f, v11
	v_sub_f32_e32 v10, v10, v12
	v_cvt_i32_f32_e32 v7, v12
	v_add_f32_e32 v10, v10, v11
	v_exp_f32_e32 v10, v10
	v_ldexp_f32 v3, v10, v7
	v_mul_f32_e32 v7, 0.5, v4
	v_cndmask_b32_e32 v3, 0, v3, vcc_lo
	v_cmp_nlt_f32_e32 vcc_lo, 0x42b17218, v9
	v_trunc_f32_e32 v10, v7
	v_cndmask_b32_e32 v3, 0x7f800000, v3, vcc_lo
	v_cmp_eq_f32_e32 vcc_lo, v6, v4
	v_cmp_neq_f32_e64 s6, v10, v7
	v_fma_f32 v2, v3, v2, v3
	v_cmp_class_f32_e64 s7, v3, 0x204
	s_and_b32 s6, vcc_lo, s6
	v_cndmask_b32_e64 v6, 1.0, v5, s6
	v_cndmask_b32_e64 v2, v2, v3, s7
	v_cmp_gt_f32_e64 s7, 0, v4
	v_bfi_b32 v2, 0x7fffffff, v2, v6
	s_xor_b32 s7, s7, s9
	v_cndmask_b32_e64 v6, 0, v5, s6
	v_cndmask_b32_e64 v3, 0x7f800000, 0, s7
	v_cmp_class_f32_e64 s6, v5, 0x204
	v_cndmask_b32_e32 v4, 0x7fc00000, v2, vcc_lo
	v_cmp_gt_f32_e32 vcc_lo, 0, v5
	v_bfi_b32 v3, 0x7fffffff, v3, v6
	v_cndmask_b32_e32 v2, v2, v4, vcc_lo
	s_or_b32 vcc_lo, s9, s6
	v_cndmask_b32_e32 v2, v2, v3, vcc_lo
	v_cmp_o_f32_e32 vcc_lo, v5, v5
	v_cndmask_b32_e32 v24, 0x7fc00000, v2, vcc_lo
.LBB68_4:
	v_lshl_add_u32 v2, s8, 1, v1
	s_load_dwordx4 s[48:51], s[4:5], 0x70
	s_ashr_i32 s41, s40, 31
	s_ashr_i32 s6, s10, 31
	v_lshl_add_u32 v27, v1, 7, 0x1200
	v_mul_hi_u32 v3, s28, v2
	v_mov_b32_e32 v26, 0
	v_add_nc_u32_e32 v3, v2, v3
	v_lshrrev_b32_e32 v3, s29, v3
	s_waitcnt lgkmcnt(0)
	s_mul_i32 s7, s33, s50
	s_mul_i32 s9, s40, s49
	v_mul_lo_u32 v3, v3, s30
	s_ashr_i32 s10, s7, 31
	s_add_u32 s7, s12, s7
	s_addc_u32 s10, s13, s10
	s_ashr_i32 s11, s9, 31
	s_add_u32 s7, s7, s9
	s_addc_u32 s9, s10, s11
	s_ashr_i32 s49, s48, 31
	v_sub_nc_u32_e32 v25, v2, v3
	s_lshr_b64 s[10:11], s[48:49], 2
	v_mad_u64_u32 v[3:4], null, s10, v25, 0
	s_lshr_b32 s10, s49, 2
	s_cmp_eq_u64 s[22:23], 0
	v_mad_u64_u32 v[4:5], null, s10, v25, v[4:5]
	v_lshlrev_b32_e32 v5, 3, v0
	v_lshlrev_b64 v[3:4], 2, v[3:4]
	v_add_co_u32 v3, vcc_lo, s7, v3
	v_add_co_ci_u32_e64 v4, null, s9, v4, vcc_lo
	v_add_co_u32 v3, vcc_lo, v3, v5
	v_add_co_ci_u32_e64 v4, null, 0, v4, vcc_lo
	v_lshl_add_u32 v5, v0, 2, v27
	global_load_dwordx2 v[3:4], v[3:4], off
	s_waitcnt vmcnt(0)
	v_fma_mixlo_f16 v4, s36, v4, 0
	v_fma_mixlo_f16 v3, s36, v3, 0
	v_lshlrev_b32_e32 v4, 16, v4
	v_or_b32_sdwa v3, v4, v3 dst_sel:DWORD dst_unused:UNUSED_PAD src0_sel:DWORD src1_sel:WORD_0
	ds_write_b32 v5, v3
	s_waitcnt lgkmcnt(0)
	s_barrier
	buffer_gl0_inv
	s_cbranch_scc1 .LBB68_6
; %bb.5:
	s_load_dword s7, s[4:5], 0xd0
	s_mov_b32 s9, 0
	s_waitcnt lgkmcnt(0)
	s_mul_i32 s7, s7, s33
	s_add_i32 s8, s7, s8
	s_lshl_b64 s[8:9], s[8:9], 2
	s_add_u32 s8, s22, s8
	s_addc_u32 s9, s23, s9
	s_load_dword s44, s[8:9], 0x0
.LBB68_6:
	s_clause 0x2
	s_load_dwordx2 s[12:13], s[4:5], 0x8c
	s_load_dwordx4 s[8:11], s[4:5], 0x98
	s_load_dwordx2 s[22:23], s[4:5], 0xa8
	s_ashr_i32 s7, s33, 31
	s_ashr_i32 s18, s47, 1
	s_mul_i32 s28, s37, s35
	v_lshrrev_b32_e32 v29, 3, v0
	v_lshlrev_b32_e32 v22, 2, v0
	v_mul_u32_u24_e32 v28, 0x90, v0
	v_mbcnt_lo_u32_b32 v21, -1, 0
	s_waitcnt lgkmcnt(0)
	s_ashr_i32 s19, s12, 2
	s_ashr_i32 s12, s10, 2
	s_mul_hi_u32 s10, s8, s33
	s_mul_i32 s29, s8, s7
	s_mul_i32 s9, s9, s33
	s_add_i32 s10, s10, s29
	s_mul_i32 s8, s8, s33
	s_add_i32 s10, s10, s9
	s_add_u32 s8, s14, s8
	s_addc_u32 s9, s15, s10
	s_sub_i32 s10, s45, s28
	s_xor_b32 s6, s41, s6
	s_add_i32 s14, s37, 1
	s_sub_i32 s15, s10, s35
	s_cmp_ge_u32 s10, s35
	s_mul_i32 s7, s22, s7
	s_cselect_b32 s14, s14, s37
	s_cselect_b32 s10, s15, s10
	s_add_i32 s15, s14, 1
	s_cmp_ge_u32 s10, s35
	s_cselect_b32 s10, s15, s14
	s_mul_hi_u32 s14, s22, s33
	s_xor_b32 s10, s10, s6
	s_mul_i32 s15, s23, s33
	s_sub_i32 s6, s10, s6
	s_mul_i32 s10, s6, s13
	s_mul_i32 s13, s22, s33
	s_ashr_i32 s22, s10, 31
	s_add_u32 s10, s8, s10
	s_addc_u32 s22, s9, s22
	s_add_i32 s7, s14, s7
	s_mul_i32 s6, s6, s11
	s_add_i32 s7, s7, s15
	s_add_u32 s8, s16, s13
	s_addc_u32 s7, s17, s7
	s_ashr_i32 s9, s6, 31
	s_add_u32 s13, s8, s6
	s_addc_u32 s14, s7, s9
	s_lshl_b32 s15, s34, 5
	s_sub_i32 s8, s44, 32
	s_cmp_ge_i32 s15, s8
	s_cbranch_scc1 .LBB68_12
; %bb.7:
	v_lshl_add_u32 v3, v1, 2, v29
	s_lshl_b32 s6, s19, 3
	s_cmp_lg_u64 s[42:43], 0
	v_and_b32_e32 v12, 28, v22
	s_cselect_b32 s9, -1, 0
	v_mul_lo_u32 v6, s19, v3
	v_mul_lo_u32 v13, s12, v3
	s_lshl_b32 s7, s12, 3
	v_mad_u64_u32 v[4:5], null, v25, s18, v[0:1]
	v_lshlrev_b32_e32 v5, 2, v12
	v_lshlrev_b32_e32 v37, 2, v12
	v_mov_b32_e32 v23, 0
	v_add_nc_u32_e32 v8, s6, v6
	v_add_nc_u32_e32 v15, s7, v13
	v_ashrrev_i32_e32 v7, 31, v6
	v_ashrrev_i32_e32 v14, 31, v13
	v_mad_u32_u24 v31, 0x90, v3, v5
	v_add_nc_u32_e32 v10, s6, v8
	v_add_nc_u32_e32 v17, s7, v15
	v_ashrrev_i32_e32 v9, 31, v8
	v_ashrrev_i32_e32 v16, 31, v15
	v_lshl_or_b32 v32, v3, 7, v5
	v_add_nc_u32_e32 v19, s6, v10
	v_add_nc_u32_e32 v38, s7, v17
	v_ashrrev_i32_e32 v11, 31, v10
	v_ashrrev_i32_e32 v18, 31, v17
	v_lshlrev_b64 v[5:6], 2, v[6:7]
	v_ashrrev_i32_e32 v20, 31, v19
	v_ashrrev_i32_e32 v39, 31, v38
	v_lshlrev_b64 v[7:8], 2, v[8:9]
	v_lshlrev_b64 v[9:10], 2, v[10:11]
	;; [unrolled: 1-line block ×7, first 2 shown]
	v_lshl_add_u32 v30, v1, 6, 0x1300
	v_add_nc_u32_e32 v33, 0xd80, v31
	v_add_nc_u32_e32 v34, 0x400, v32
	v_add_nc_u32_e32 v35, 0x800, v32
	v_add_nc_u32_e32 v36, 0xc00, v32
	v_mov_b32_e32 v41, 0xfeffffff
	v_mbcnt_lo_u32_b32 v38, -1, 0
	v_mov_b32_e32 v39, 0x10001
	v_mov_b32_e32 v40, 0
	s_add_u32 s6, s4, 0xd0
	s_addc_u32 s7, s5, 0
.LBB68_8:                               ; =>This Inner Loop Header: Depth=1
	s_mul_hi_i32 s17, s15, s19
	s_mul_i32 s16, s15, s19
	s_lshl_b64 s[16:17], s[16:17], 2
	s_add_u32 s11, s10, s16
	s_addc_u32 s16, s22, s17
	v_add_co_u32 v3, vcc_lo, s11, v5
	v_add_co_ci_u32_e64 v26, null, s16, v6, vcc_lo
	v_add_co_u32 v44, vcc_lo, s11, v7
	v_add_co_ci_u32_e64 v45, null, s16, v8, vcc_lo
	v_add_co_u32 v42, vcc_lo, v3, v37
	v_add_co_ci_u32_e64 v43, null, 0, v26, vcc_lo
	v_add_co_u32 v46, vcc_lo, v44, v37
	v_add_co_ci_u32_e64 v47, null, 0, v45, vcc_lo
	v_add_co_u32 v3, vcc_lo, s11, v9
	v_add_co_ci_u32_e64 v26, null, s16, v10, vcc_lo
	v_add_co_u32 v44, vcc_lo, s11, v11
	v_add_co_ci_u32_e64 v45, null, s16, v12, vcc_lo
	v_add_co_u32 v50, vcc_lo, v3, v37
	v_add_co_ci_u32_e64 v51, null, 0, v26, vcc_lo
	v_add_co_u32 v54, vcc_lo, v44, v37
	v_add_co_ci_u32_e64 v55, null, 0, v45, vcc_lo
	s_clause 0x3
	global_load_dwordx4 v[42:45], v[42:43], off
	global_load_dwordx4 v[46:49], v[46:47], off
	;; [unrolled: 1-line block ×4, first 2 shown]
	v_add_nc_u32_e32 v3, 0x480, v31
	v_add_nc_u32_e32 v26, 0x900, v31
	s_andn2_b32 vcc_lo, exec_lo, s9
	s_waitcnt vmcnt(3)
	ds_write_b128 v31, v[42:45]
	s_waitcnt vmcnt(2)
	ds_write_b128 v3, v[46:49]
	;; [unrolled: 2-line block ×4, first 2 shown]
	s_waitcnt lgkmcnt(0)
	s_barrier
	buffer_gl0_inv
	ds_read_b128 v[42:45], v28
	ds_read_b128 v[46:49], v27
	v_mov_b32_e32 v3, 0
	v_mov_b32_e32 v26, 0
	s_waitcnt lgkmcnt(0)
	;;#ASMSTART
	v_dot2_f32_f16 v3, v42, v46, v3
	;;#ASMEND
	;;#ASMSTART
	v_dot2_f32_f16 v3, v43, v47, v3
	;;#ASMEND
	;;#ASMSTART
	v_dot2_f32_f16 v3, v44, v48, v3
	;;#ASMEND
	;;#ASMSTART
	v_dot2_f32_f16 v3, v45, v49, v3
	;;#ASMEND
	ds_read_b128 v[42:45], v28 offset:16
	ds_read_b128 v[46:49], v27 offset:16
	s_waitcnt lgkmcnt(0)
	;;#ASMSTART
	v_dot2_f32_f16 v3, v42, v46, v3
	;;#ASMEND
	;;#ASMSTART
	v_dot2_f32_f16 v3, v43, v47, v3
	;;#ASMEND
	;;#ASMSTART
	v_dot2_f32_f16 v3, v44, v48, v3
	;;#ASMEND
	;;#ASMSTART
	v_dot2_f32_f16 v3, v45, v49, v3
	;;#ASMEND
	ds_read_b128 v[42:45], v28 offset:32
	ds_read_b128 v[46:49], v27 offset:32
	;; [unrolled: 15-line block ×7, first 2 shown]
	s_waitcnt lgkmcnt(0)
	;;#ASMSTART
	v_dot2_f32_f16 v3, v42, v46, v3
	;;#ASMEND
	;;#ASMSTART
	v_dot2_f32_f16 v3, v43, v47, v3
	;;#ASMEND
	;; [unrolled: 3-line block ×4, first 2 shown]
	s_cbranch_vccnz .LBB68_10
; %bb.9:                                ;   in Loop: Header=BB68_8 Depth=1
	v_add_nc_u32_e32 v42, s15, v4
	v_ashrrev_i32_e32 v43, 31, v42
	v_lshlrev_b64 v[42:43], 1, v[42:43]
	v_add_co_u32 v42, vcc_lo, s42, v42
	v_add_co_ci_u32_e64 v43, null, s43, v43, vcc_lo
	global_load_ushort v26, v[42:43], off
	s_waitcnt vmcnt(0)
	v_cvt_f32_f16_e32 v26, v26
	v_mul_f32_e32 v26, v24, v26
.LBB68_10:                              ;   in Loop: Header=BB68_8 Depth=1
	s_mul_hi_i32 s17, s15, s12
	s_mul_i32 s16, s15, s12
	s_lshl_b64 s[16:17], s[16:17], 2
	s_barrier
	s_add_u32 s11, s13, s16
	s_addc_u32 s16, s14, s17
	v_add_co_u32 v42, vcc_lo, s11, v13
	v_add_co_ci_u32_e64 v43, null, s16, v14, vcc_lo
	v_add_co_u32 v44, vcc_lo, s11, v15
	v_add_co_ci_u32_e64 v45, null, s16, v16, vcc_lo
	;; [unrolled: 2-line block ×8, first 2 shown]
	buffer_gl0_inv
	s_clause 0x3
	global_load_dwordx4 v[42:45], v[42:43], off
	global_load_dwordx4 v[46:49], v[46:47], off
	;; [unrolled: 1-line block ×4, first 2 shown]
	v_xor_b32_e32 v58, 16, v38
	v_add_f32_e32 v26, v3, v26
	v_max_f32_e32 v3, v41, v41
	v_cmp_gt_i32_e32 vcc_lo, 32, v58
	v_add_f32_e32 v59, 0x40051340, v26
	v_cndmask_b32_e32 v58, v38, v58, vcc_lo
	v_max_f32_e32 v3, v3, v59
	v_xor_b32_e32 v59, 8, v38
	v_lshlrev_b32_e32 v58, 2, v58
	v_cmp_gt_i32_e32 vcc_lo, 32, v59
	ds_bpermute_b32 v58, v58, v3
	v_cndmask_b32_e32 v59, v38, v59, vcc_lo
	v_lshlrev_b32_e32 v59, 2, v59
	s_waitcnt lgkmcnt(0)
	v_max_f32_e32 v58, v58, v58
	v_max_f32_e32 v3, v3, v58
	ds_bpermute_b32 v58, v59, v3
	v_xor_b32_e32 v59, 4, v38
	v_cmp_gt_i32_e32 vcc_lo, 32, v59
	v_cndmask_b32_e32 v59, v38, v59, vcc_lo
	v_lshlrev_b32_e32 v59, 2, v59
	s_waitcnt lgkmcnt(0)
	v_max_f32_e32 v58, v58, v58
	v_max_f32_e32 v3, v3, v58
	ds_bpermute_b32 v58, v59, v3
	v_xor_b32_e32 v59, 2, v38
	v_cmp_gt_i32_e32 vcc_lo, 32, v59
	;; [unrolled: 8-line block ×3, first 2 shown]
	v_cndmask_b32_e32 v59, v38, v59, vcc_lo
	v_lshlrev_b32_e32 v59, 2, v59
	s_waitcnt lgkmcnt(0)
	v_max_f32_e32 v58, v58, v58
	v_max_f32_e32 v3, v3, v58
	ds_bpermute_b32 v58, v59, v3
	s_waitcnt lgkmcnt(0)
	v_max_f32_e32 v58, v58, v58
	v_max_f32_e32 v3, v3, v58
	v_sub_f32_e32 v26, v26, v3
	v_mul_f32_e32 v58, 0x3fb8aa3b, v26
	v_cmp_ngt_f32_e32 vcc_lo, 0xc2ce8ed0, v26
	v_fma_f32 v59, 0x3fb8aa3b, v26, -v58
	v_rndne_f32_e32 v60, v58
	v_fmac_f32_e32 v59, 0x32a5705f, v26
	v_sub_f32_e32 v58, v58, v60
	v_add_f32_e32 v58, v58, v59
	v_sub_f32_e32 v59, v41, v3
	v_cvt_i32_f32_e32 v41, v60
	v_exp_f32_e32 v58, v58
	v_mul_f32_e32 v60, 0x3fb8aa3b, v59
	v_rndne_f32_e32 v61, v60
	v_ldexp_f32 v41, v58, v41
	v_fma_f32 v58, 0x3fb8aa3b, v59, -v60
	v_sub_f32_e32 v60, v60, v61
	v_cvt_i32_f32_e32 v61, v61
	v_cndmask_b32_e32 v41, 0, v41, vcc_lo
	v_fmac_f32_e32 v58, 0x32a5705f, v59
	v_cmp_nlt_f32_e32 vcc_lo, 0x42b17218, v26
	v_add_f32_e32 v58, v60, v58
	v_cndmask_b32_e32 v26, 0x7f800000, v41, vcc_lo
	v_lshl_add_u32 v41, v0, 1, v30
	v_cmp_ngt_f32_e32 vcc_lo, 0xc2ce8ed0, v59
	v_exp_f32_e32 v58, v58
	v_cvt_f16_f32_e32 v60, v26
	ds_write_b16 v41, v60
	s_waitcnt vmcnt(3)
	ds_write_b128 v32, v[42:45]
	s_waitcnt vmcnt(2)
	ds_write_b128 v34, v[46:49]
	;; [unrolled: 2-line block ×4, first 2 shown]
	s_waitcnt lgkmcnt(0)
	s_barrier
	buffer_gl0_inv
	ds_read_b128 v[41:44], v30
	v_ldexp_f32 v45, v58, v61
	ds_read2_b32 v[49:50], v22 offset1:32
	v_cndmask_b32_e32 v45, 0, v45, vcc_lo
	v_cmp_nlt_f32_e32 vcc_lo, 0x42b17218, v59
	v_cndmask_b32_e32 v55, 0x7f800000, v45, vcc_lo
	ds_read_b128 v[45:48], v30 offset:16
	ds_read2_b32 v[51:52], v22 offset0:64 offset1:96
	v_cvt_f16_f32_e32 v53, v55
	v_fmac_f32_e32 v26, v40, v55
	s_waitcnt lgkmcnt(3)
	v_mul_u32_u24_sdwa v54, v41, v39 dst_sel:DWORD dst_unused:UNUSED_PAD src0_sel:WORD_0 src1_sel:DWORD
	v_mul_u32_u24_sdwa v41, v41, v39 dst_sel:DWORD dst_unused:UNUSED_PAD src0_sel:WORD_1 src1_sel:DWORD
	v_mul_u32_u24_sdwa v56, v53, v39 dst_sel:DWORD dst_unused:UNUSED_PAD src0_sel:WORD_0 src1_sel:DWORD
	s_waitcnt lgkmcnt(2)
	v_pk_mul_f16 v49, v49, v54
	ds_read2_b32 v[53:54], v22 offset0:128 offset1:160
	v_pk_fma_f16 v23, v23, v56, v49
	v_mul_u32_u24_sdwa v56, v42, v39 dst_sel:DWORD dst_unused:UNUSED_PAD src0_sel:WORD_0 src1_sel:DWORD
	s_waitcnt lgkmcnt(2)
	v_mul_u32_u24_sdwa v57, v48, v39 dst_sel:DWORD dst_unused:UNUSED_PAD src0_sel:WORD_1 src1_sel:DWORD
	v_pk_fma_f16 v23, v50, v41, v23
	ds_read2_b32 v[49:50], v22 offset0:192 offset1:224
	v_mul_u32_u24_sdwa v41, v42, v39 dst_sel:DWORD dst_unused:UNUSED_PAD src0_sel:WORD_1 src1_sel:DWORD
	s_waitcnt lgkmcnt(2)
	v_pk_fma_f16 v23, v51, v56, v23
	v_add_nc_u32_e32 v56, 0x400, v22
	v_mul_u32_u24_sdwa v51, v43, v39 dst_sel:DWORD dst_unused:UNUSED_PAD src0_sel:WORD_0 src1_sel:DWORD
	v_mul_u32_u24_sdwa v43, v43, v39 dst_sel:DWORD dst_unused:UNUSED_PAD src0_sel:WORD_1 src1_sel:DWORD
	v_pk_fma_f16 v23, v52, v41, v23
	ds_read2_b32 v[41:42], v56 offset1:32
	s_waitcnt lgkmcnt(2)
	v_pk_fma_f16 v23, v53, v51, v23
	v_mul_u32_u24_sdwa v53, v44, v39 dst_sel:DWORD dst_unused:UNUSED_PAD src0_sel:WORD_0 src1_sel:DWORD
	ds_read2_b32 v[51:52], v56 offset0:64 offset1:96
	v_pk_fma_f16 v23, v54, v43, v23
	v_mul_u32_u24_sdwa v43, v44, v39 dst_sel:DWORD dst_unused:UNUSED_PAD src0_sel:WORD_1 src1_sel:DWORD
	v_mul_u32_u24_sdwa v44, v45, v39 dst_sel:DWORD dst_unused:UNUSED_PAD src0_sel:WORD_0 src1_sel:DWORD
	s_waitcnt lgkmcnt(2)
	v_pk_fma_f16 v23, v49, v53, v23
	ds_read2_b32 v[53:54], v56 offset0:192 offset1:224
	v_pk_fma_f16 v23, v50, v43, v23
	ds_read2_b32 v[49:50], v56 offset0:128 offset1:160
	v_mul_u32_u24_sdwa v43, v45, v39 dst_sel:DWORD dst_unused:UNUSED_PAD src0_sel:WORD_1 src1_sel:DWORD
	v_mul_u32_u24_sdwa v45, v46, v39 dst_sel:DWORD dst_unused:UNUSED_PAD src0_sel:WORD_1 src1_sel:DWORD
	v_add_nc_u32_e32 v56, 0x800, v22
	s_waitcnt lgkmcnt(3)
	v_pk_fma_f16 v23, v41, v44, v23
	v_mul_u32_u24_sdwa v41, v46, v39 dst_sel:DWORD dst_unused:UNUSED_PAD src0_sel:WORD_0 src1_sel:DWORD
	v_mul_u32_u24_sdwa v46, v47, v39 dst_sel:DWORD dst_unused:UNUSED_PAD src0_sel:WORD_0 src1_sel:DWORD
	v_pk_fma_f16 v23, v42, v43, v23
	s_waitcnt lgkmcnt(2)
	v_pk_fma_f16 v23, v51, v41, v23
	ds_read_b128 v[41:44], v30 offset:32
	v_pk_fma_f16 v23, v52, v45, v23
	ds_read2_b32 v[51:52], v56 offset1:32
	v_mul_u32_u24_sdwa v45, v47, v39 dst_sel:DWORD dst_unused:UNUSED_PAD src0_sel:WORD_1 src1_sel:DWORD
	s_waitcnt lgkmcnt(2)
	v_pk_fma_f16 v23, v49, v46, v23
	v_mul_u32_u24_sdwa v46, v48, v39 dst_sel:DWORD dst_unused:UNUSED_PAD src0_sel:WORD_0 src1_sel:DWORD
	v_pk_fma_f16 v23, v50, v45, v23
	ds_read2_b32 v[49:50], v56 offset0:64 offset1:96
	v_pk_fma_f16 v23, v53, v46, v23
	ds_read_b128 v[45:48], v30 offset:48
	s_waitcnt lgkmcnt(3)
	v_mul_u32_u24_sdwa v58, v41, v39 dst_sel:DWORD dst_unused:UNUSED_PAD src0_sel:WORD_0 src1_sel:DWORD
	v_mul_u32_u24_sdwa v41, v41, v39 dst_sel:DWORD dst_unused:UNUSED_PAD src0_sel:WORD_1 src1_sel:DWORD
	v_pk_fma_f16 v23, v54, v57, v23
	ds_read2_b32 v[53:54], v56 offset0:128 offset1:160
	v_mul_u32_u24_sdwa v57, v42, v39 dst_sel:DWORD dst_unused:UNUSED_PAD src0_sel:WORD_0 src1_sel:DWORD
	s_waitcnt lgkmcnt(3)
	v_pk_fma_f16 v23, v51, v58, v23
	v_pk_fma_f16 v23, v52, v41, v23
	ds_read2_b32 v[51:52], v56 offset0:192 offset1:224
	v_mul_u32_u24_sdwa v41, v42, v39 dst_sel:DWORD dst_unused:UNUSED_PAD src0_sel:WORD_1 src1_sel:DWORD
	v_add_nc_u32_e32 v56, 0xc00, v22
	s_waitcnt lgkmcnt(3)
	v_pk_fma_f16 v23, v49, v57, v23
	v_mul_u32_u24_sdwa v49, v43, v39 dst_sel:DWORD dst_unused:UNUSED_PAD src0_sel:WORD_0 src1_sel:DWORD
	v_mul_u32_u24_sdwa v43, v43, v39 dst_sel:DWORD dst_unused:UNUSED_PAD src0_sel:WORD_1 src1_sel:DWORD
	v_pk_fma_f16 v23, v50, v41, v23
	ds_read2_b32 v[41:42], v56 offset1:32
	s_waitcnt lgkmcnt(2)
	v_pk_fma_f16 v23, v53, v49, v23
	v_mul_u32_u24_sdwa v53, v44, v39 dst_sel:DWORD dst_unused:UNUSED_PAD src0_sel:WORD_0 src1_sel:DWORD
	ds_read2_b32 v[49:50], v56 offset0:64 offset1:96
	v_pk_fma_f16 v23, v54, v43, v23
	v_mul_u32_u24_sdwa v43, v44, v39 dst_sel:DWORD dst_unused:UNUSED_PAD src0_sel:WORD_1 src1_sel:DWORD
	s_waitcnt lgkmcnt(2)
	v_pk_fma_f16 v23, v51, v53, v23
	v_mul_u32_u24_sdwa v51, v45, v39 dst_sel:DWORD dst_unused:UNUSED_PAD src0_sel:WORD_0 src1_sel:DWORD
	v_mul_u32_u24_sdwa v45, v45, v39 dst_sel:DWORD dst_unused:UNUSED_PAD src0_sel:WORD_1 src1_sel:DWORD
	v_pk_fma_f16 v23, v52, v43, v23
	ds_read2_b32 v[43:44], v56 offset0:128 offset1:160
	s_waitcnt lgkmcnt(2)
	v_pk_fma_f16 v23, v41, v51, v23
	v_mul_u32_u24_sdwa v51, v46, v39 dst_sel:DWORD dst_unused:UNUSED_PAD src0_sel:WORD_0 src1_sel:DWORD
	v_pk_fma_f16 v23, v42, v45, v23
	ds_read2_b32 v[41:42], v56 offset0:192 offset1:224
	v_mul_u32_u24_sdwa v45, v46, v39 dst_sel:DWORD dst_unused:UNUSED_PAD src0_sel:WORD_1 src1_sel:DWORD
	s_waitcnt lgkmcnt(0)
	s_barrier
	v_pk_fma_f16 v23, v49, v51, v23
	buffer_gl0_inv
	s_load_dword s11, s[6:7], 0x4
	v_mul_u32_u24_sdwa v46, v47, v39 dst_sel:DWORD dst_unused:UNUSED_PAD src0_sel:WORD_0 src1_sel:DWORD
	v_pk_fma_f16 v23, v50, v45, v23
	v_mul_u32_u24_sdwa v45, v47, v39 dst_sel:DWORD dst_unused:UNUSED_PAD src0_sel:WORD_1 src1_sel:DWORD
	v_pk_fma_f16 v23, v43, v46, v23
	v_mul_u32_u24_sdwa v43, v48, v39 dst_sel:DWORD dst_unused:UNUSED_PAD src0_sel:WORD_0 src1_sel:DWORD
	v_pk_fma_f16 v23, v44, v45, v23
	v_mul_u32_u24_sdwa v44, v48, v39 dst_sel:DWORD dst_unused:UNUSED_PAD src0_sel:WORD_1 src1_sel:DWORD
	v_pk_fma_f16 v23, v41, v43, v23
	s_waitcnt lgkmcnt(0)
	s_lshl_b32 s11, s11, 5
	s_add_i32 s15, s11, s15
	v_pk_fma_f16 v23, v42, v44, v23
	s_cmp_lt_i32 s15, s8
	s_cbranch_scc0 .LBB68_13
; %bb.11:                               ;   in Loop: Header=BB68_8 Depth=1
	v_mov_b32_e32 v41, v3
	v_mov_b32_e32 v40, v26
	s_branch .LBB68_8
.LBB68_12:
	v_mov_b32_e32 v3, 0xfeffffff
	v_mov_b32_e32 v23, 0
.LBB68_13:
	v_lshlrev_b32_e32 v5, 1, v0
	s_cmp_gt_i32 s44, s15
	s_cbranch_scc1 .LBB68_16
; %bb.14:
	v_mbcnt_lo_u32_b32 v6, -1, 0
	v_mov_b32_e32 v4, 32
	v_xor_b32_e32 v9, 16, v6
	v_xor_b32_e32 v7, 8, v6
	;; [unrolled: 1-line block ×5, first 2 shown]
	s_cbranch_execz .LBB68_17
; %bb.15:
	v_mov_b32_e32 v21, v6
	s_branch .LBB68_22
.LBB68_16:
                                        ; implicit-def: $vgpr6
                                        ; implicit-def: $vgpr4
                                        ; implicit-def: $vgpr9
                                        ; implicit-def: $vgpr7
                                        ; implicit-def: $vgpr8
                                        ; implicit-def: $vgpr10
                                        ; implicit-def: $vgpr11
.LBB68_17:
	v_lshl_add_u32 v6, v1, 2, v29
	s_mul_hi_i32 s7, s15, s19
	s_mul_i32 s6, s15, s19
	v_and_b32_e32 v4, 28, v22
	s_lshl_b64 s[6:7], s[6:7], 2
	v_mul_lo_u32 v12, s19, v6
	s_mov_b64 s[8:9], src_private_base
	s_sub_i32 s16, s44, s15
	s_add_u32 s8, s10, s6
	s_addc_u32 s10, s22, s7
	v_lshlrev_b32_e32 v4, 2, v4
	s_lshl_b32 s11, s19, 3
	v_ashrrev_i32_e32 v13, 31, v12
	v_mad_u32_u24 v17, 0x90, v6, v4
	v_lshlrev_b64 v[7:8], 2, v[12:13]
	v_add_nc_u32_e32 v13, s11, v12
	v_add_nc_u32_e32 v12, 8, v6
	v_ashrrev_i32_e32 v14, 31, v13
	v_add_co_u32 v7, vcc_lo, s8, v7
	v_add_co_ci_u32_e64 v8, null, s10, v8, vcc_lo
	v_lshlrev_b64 v[14:15], 2, v[13:14]
	v_add_co_u32 v10, vcc_lo, v7, v4
	v_add_co_ci_u32_e64 v8, null, 0, v8, vcc_lo
	v_cmp_gt_i32_e32 vcc_lo, s16, v6
	v_mov_b32_e32 v7, 0
	buffer_store_dword v7, off, s[0:3], 0
	buffer_store_dword v7, off, s[0:3], 0 offset:4
	buffer_store_dword v7, off, s[0:3], 0 offset:8
	;; [unrolled: 1-line block ×3, first 2 shown]
	v_cndmask_b32_e32 v9, s9, v8, vcc_lo
	v_cndmask_b32_e32 v8, 0, v10, vcc_lo
	v_add_co_u32 v14, s6, s8, v14
	v_add_co_ci_u32_e64 v15, null, s10, v15, s6
	flat_load_dwordx4 v[8:11], v[8:9]
	v_add_co_u32 v14, s6, v14, v4
	v_add_co_ci_u32_e64 v15, null, 0, v15, s6
	v_cmp_gt_i32_e64 s6, s16, v12
	buffer_store_dword v7, off, s[0:3], 0
	buffer_store_dword v7, off, s[0:3], 0 offset:4
	buffer_store_dword v7, off, s[0:3], 0 offset:8
	;; [unrolled: 1-line block ×3, first 2 shown]
	v_cndmask_b32_e64 v15, s9, v15, s6
	v_cndmask_b32_e64 v14, 0, v14, s6
	s_waitcnt vmcnt(0) lgkmcnt(0)
	ds_write_b128 v17, v[8:11]
	flat_load_dwordx4 v[8:11], v[14:15]
	v_add_nc_u32_e32 v14, s11, v13
	v_add_nc_u32_e32 v13, 16, v6
	buffer_store_dword v7, off, s[0:3], 0
	buffer_store_dword v7, off, s[0:3], 0 offset:4
	buffer_store_dword v7, off, s[0:3], 0 offset:8
	;; [unrolled: 1-line block ×3, first 2 shown]
	v_ashrrev_i32_e32 v15, 31, v14
	v_lshlrev_b64 v[15:16], 2, v[14:15]
	v_add_nc_u32_e32 v14, s11, v14
	v_add_co_u32 v15, s7, s8, v15
	v_add_co_ci_u32_e64 v16, null, s10, v16, s7
	v_add_co_u32 v15, s7, v15, v4
	v_add_co_ci_u32_e64 v16, null, 0, v16, s7
	v_cmp_gt_i32_e64 s7, s16, v13
	v_cndmask_b32_e64 v16, s9, v16, s7
	v_cndmask_b32_e64 v15, 0, v15, s7
	s_waitcnt vmcnt(0) lgkmcnt(0)
	ds_write_b128 v17, v[8:11] offset:1152
	flat_load_dwordx4 v[8:11], v[15:16]
	v_ashrrev_i32_e32 v15, 31, v14
	buffer_store_dword v7, off, s[0:3], 0
	buffer_store_dword v7, off, s[0:3], 0 offset:4
	buffer_store_dword v7, off, s[0:3], 0 offset:8
	;; [unrolled: 1-line block ×3, first 2 shown]
	v_lshlrev_b64 v[14:15], 2, v[14:15]
	v_add_co_u32 v16, s8, s8, v14
	v_add_co_ci_u32_e64 v15, null, s10, v15, s8
	v_add_nc_u32_e32 v14, 24, v6
	v_add_co_u32 v18, s8, v16, v4
	v_add_co_ci_u32_e64 v15, null, 0, v15, s8
	v_cmp_gt_i32_e64 s8, s16, v14
	s_mov_b32 s10, exec_lo
	v_cndmask_b32_e64 v16, s9, v15, s8
	v_cndmask_b32_e64 v15, 0, v18, s8
	s_waitcnt vmcnt(0) lgkmcnt(0)
	ds_write_b128 v17, v[8:11] offset:2304
	flat_load_dwordx4 v[8:11], v[15:16]
	v_mov_b32_e32 v16, 0
	s_waitcnt vmcnt(0) lgkmcnt(0)
	ds_write_b128 v17, v[8:11] offset:3456
	s_waitcnt lgkmcnt(0)
	s_waitcnt_vscnt null, 0x0
	s_barrier
	buffer_gl0_inv
	ds_read_b128 v[8:11], v28
	ds_read_b128 v[17:20], v27
	s_waitcnt lgkmcnt(0)
	;;#ASMSTART
	v_dot2_f32_f16 v16, v8, v17, v16
	;;#ASMEND
	;;#ASMSTART
	v_dot2_f32_f16 v16, v9, v18, v16
	;;#ASMEND
	;;#ASMSTART
	v_dot2_f32_f16 v16, v10, v19, v16
	;;#ASMEND
	;;#ASMSTART
	v_dot2_f32_f16 v16, v11, v20, v16
	;;#ASMEND
	ds_read_b128 v[8:11], v28 offset:16
	ds_read_b128 v[17:20], v27 offset:16
	s_waitcnt lgkmcnt(0)
	;;#ASMSTART
	v_dot2_f32_f16 v16, v8, v17, v16
	;;#ASMEND
	;;#ASMSTART
	v_dot2_f32_f16 v16, v9, v18, v16
	;;#ASMEND
	;;#ASMSTART
	v_dot2_f32_f16 v16, v10, v19, v16
	;;#ASMEND
	;;#ASMSTART
	v_dot2_f32_f16 v16, v11, v20, v16
	;;#ASMEND
	ds_read_b128 v[8:11], v28 offset:32
	ds_read_b128 v[17:20], v27 offset:32
	;; [unrolled: 15-line block ×7, first 2 shown]
	v_mov_b32_e32 v8, v3
	s_waitcnt lgkmcnt(0)
	;;#ASMSTART
	v_dot2_f32_f16 v16, v17, v27, v16
	;;#ASMEND
	;;#ASMSTART
	v_dot2_f32_f16 v16, v18, v28, v16
	;;#ASMEND
	;; [unrolled: 3-line block ×4, first 2 shown]
	v_cmpx_gt_i32_e64 s16, v0
	s_cbranch_execz .LBB68_21
; %bb.18:
	s_cmp_eq_u64 s[42:43], 0
	s_cbranch_scc1 .LBB68_20
; %bb.19:
	v_mul_lo_u32 v7, v25, s18
	v_add3_u32 v7, v7, v0, s15
	v_ashrrev_i32_e32 v8, 31, v7
	v_lshlrev_b64 v[7:8], 1, v[7:8]
	v_add_co_u32 v7, s9, s42, v7
	v_add_co_ci_u32_e64 v8, null, s43, v8, s9
	global_load_ushort v7, v[7:8], off
	s_waitcnt vmcnt(0)
	v_cvt_f32_f16_e32 v7, v7
	v_mul_f32_e32 v7, v24, v7
.LBB68_20:
	v_add_f32_e32 v16, v16, v7
	v_max_f32_e32 v8, v3, v3
	v_add_f32_e32 v7, 0x40051340, v16
	v_max_f32_e32 v8, v8, v7
.LBB68_21:
	s_or_b32 exec_lo, exec_lo, s10
	v_xor_b32_e32 v9, 16, v21
	v_mul_lo_u32 v24, s12, v6
	s_mul_hi_i32 s19, s15, s12
	s_mul_i32 s18, s15, s12
	v_lshlrev_b32_e32 v31, 6, v1
	v_cmp_gt_i32_e64 s9, 32, v9
	s_lshl_b64 s[18:19], s[18:19], 2
	s_mov_b64 s[10:11], src_private_base
	s_add_u32 s10, s13, s18
	v_ashrrev_i32_e32 v25, 31, v24
	v_cndmask_b32_e64 v7, v21, v9, s9
	s_addc_u32 s13, s14, s19
	v_mov_b32_e32 v20, 0
	s_barrier
	v_lshlrev_b32_e32 v7, 2, v7
	buffer_gl0_inv
	buffer_store_dword v20, off, s[0:3], 0
	buffer_store_dword v20, off, s[0:3], 0 offset:4
	buffer_store_dword v20, off, s[0:3], 0 offset:8
	;; [unrolled: 1-line block ×3, first 2 shown]
	v_lshl_or_b32 v6, v6, 7, v4
	ds_bpermute_b32 v10, v7, v8
	v_xor_b32_e32 v7, 8, v21
	v_max_f32_e32 v8, v8, v8
	v_lshl_or_b32 v12, v12, 7, v4
	v_cmp_gt_i32_e64 s9, 32, v7
	v_cndmask_b32_e64 v11, v21, v7, s9
	v_lshlrev_b32_e32 v11, 2, v11
	s_waitcnt lgkmcnt(0)
	v_max_f32_e32 v10, v10, v10
	v_max_f32_e32 v10, v8, v10
	v_xor_b32_e32 v8, 4, v21
	ds_bpermute_b32 v11, v11, v10
	v_cmp_gt_i32_e64 s9, 32, v8
	v_cndmask_b32_e64 v15, v21, v8, s9
	v_lshlrev_b32_e32 v15, 2, v15
	s_waitcnt lgkmcnt(0)
	v_max_f32_e32 v11, v11, v11
	v_max_f32_e32 v11, v10, v11
	v_xor_b32_e32 v10, 2, v21
	ds_bpermute_b32 v15, v15, v11
	;; [unrolled: 8-line block ×3, first 2 shown]
	v_cmp_gt_i32_e64 s9, 32, v11
	v_cndmask_b32_e64 v18, v21, v11, s9
	v_lshlrev_b32_e32 v18, 2, v18
	s_waitcnt lgkmcnt(0)
	v_max_f32_e32 v17, v17, v17
	v_max_f32_e32 v15, v15, v17
	ds_bpermute_b32 v17, v18, v15
	s_waitcnt lgkmcnt(0)
	v_max_f32_e32 v17, v17, v17
	v_max_f32_e32 v15, v15, v17
	v_sub_f32_e32 v18, v16, v15
	v_mul_f32_e32 v16, 0x3fb8aa3b, v18
	v_cmp_ngt_f32_e64 s9, 0xc2ce8ed0, v18
	v_fma_f32 v17, 0x3fb8aa3b, v18, -v16
	v_rndne_f32_e32 v19, v16
	v_fmac_f32_e32 v17, 0x32a5705f, v18
	v_sub_f32_e32 v16, v16, v19
	v_add_f32_e32 v16, v16, v17
	v_cvt_i32_f32_e32 v17, v19
	v_exp_f32_e32 v16, v16
	v_ldexp_f32 v1, v16, v17
	v_lshlrev_b64 v[16:17], 2, v[24:25]
	v_cndmask_b32_e64 v1, 0, v1, s9
	v_add_co_u32 v16, s9, s10, v16
	v_add_co_ci_u32_e64 v17, null, s13, v17, s9
	v_cmp_nlt_f32_e64 s9, 0x42b17218, v18
	v_add3_u32 v18, 0x1300, v31, v5
	v_cndmask_b32_e64 v1, 0x7f800000, v1, s9
	v_add_co_u32 v16, s9, v16, v4
	v_add_co_ci_u32_e64 v17, null, 0, v17, s9
	v_cmp_gt_u32_e64 s9, s16, v0
	v_cndmask_b32_e32 v16, 0, v16, vcc_lo
	v_cndmask_b32_e32 v17, s11, v17, vcc_lo
	v_cndmask_b32_e64 v1, 0, v1, s9
	s_lshl_b32 s9, s12, 3
	v_add_nc_u32_e32 v24, s9, v24
	v_cvt_f16_f32_e32 v19, v1
	v_ashrrev_i32_e32 v25, 31, v24
	ds_write_b16 v18, v19
	flat_load_dwordx4 v[16:19], v[16:17]
	buffer_store_dword v20, off, s[0:3], 0
	buffer_store_dword v20, off, s[0:3], 0 offset:4
	buffer_store_dword v20, off, s[0:3], 0 offset:8
	buffer_store_dword v20, off, s[0:3], 0 offset:12
	v_lshlrev_b64 v[27:28], 2, v[24:25]
	v_add_nc_u32_e32 v24, s9, v24
	v_add_co_u32 v25, vcc_lo, s10, v27
	v_add_co_ci_u32_e64 v27, null, s13, v28, vcc_lo
	v_add_co_u32 v25, vcc_lo, v25, v4
	v_add_co_ci_u32_e64 v27, null, 0, v27, vcc_lo
	v_cndmask_b32_e64 v28, s11, v27, s6
	v_cndmask_b32_e64 v27, 0, v25, s6
	v_ashrrev_i32_e32 v25, 31, v24
	s_waitcnt vmcnt(0) lgkmcnt(0)
	ds_write_b128 v6, v[16:19]
	flat_load_dwordx4 v[16:19], v[27:28]
	v_lshlrev_b64 v[27:28], 2, v[24:25]
	buffer_store_dword v20, off, s[0:3], 0
	buffer_store_dword v20, off, s[0:3], 0 offset:4
	buffer_store_dword v20, off, s[0:3], 0 offset:8
	;; [unrolled: 1-line block ×3, first 2 shown]
	v_add_nc_u32_e32 v24, s9, v24
	v_add_co_u32 v6, vcc_lo, s10, v27
	v_add_co_ci_u32_e64 v25, null, s13, v28, vcc_lo
	v_add_co_u32 v6, vcc_lo, v6, v4
	v_add_co_ci_u32_e64 v25, null, 0, v25, vcc_lo
	v_cndmask_b32_e64 v27, 0, v6, s7
	v_cndmask_b32_e64 v28, s11, v25, s7
	v_ashrrev_i32_e32 v25, 31, v24
	v_lshlrev_b64 v[24:25], 2, v[24:25]
	v_add_co_u32 v6, vcc_lo, s10, v24
	v_lshl_or_b32 v24, v13, 7, v4
	s_waitcnt vmcnt(0) lgkmcnt(0)
	ds_write_b128 v12, v[16:19]
	flat_load_dwordx4 v[16:19], v[27:28]
	v_add_co_ci_u32_e64 v12, null, s13, v25, vcc_lo
	v_add_co_u32 v6, vcc_lo, v6, v4
	buffer_store_dword v20, off, s[0:3], 0
	buffer_store_dword v20, off, s[0:3], 0 offset:4
	buffer_store_dword v20, off, s[0:3], 0 offset:8
	;; [unrolled: 1-line block ×3, first 2 shown]
	v_add_co_ci_u32_e64 v12, null, 0, v12, vcc_lo
	v_lshl_or_b32 v4, v14, 7, v4
	v_mov_b32_e32 v14, 0x10001
	v_cndmask_b32_e64 v13, s11, v12, s8
	v_cndmask_b32_e64 v12, 0, v6, s8
	v_sub_f32_e32 v6, v3, v15
	v_mul_f32_e32 v3, 0x3fb8aa3b, v6
	v_cmp_ngt_f32_e32 vcc_lo, 0xc2ce8ed0, v6
	s_waitcnt vmcnt(0) lgkmcnt(0)
	ds_write_b128 v24, v[16:19]
	flat_load_dwordx4 v[16:19], v[12:13]
	v_fma_f32 v12, 0x3fb8aa3b, v6, -v3
	v_rndne_f32_e32 v13, v3
	v_fmac_f32_e32 v12, 0x32a5705f, v6
	v_sub_f32_e32 v3, v3, v13
	v_add_f32_e32 v3, v3, v12
	v_cvt_i32_f32_e32 v12, v13
	v_exp_f32_e32 v3, v3
	v_ldexp_f32 v12, v3, v12
	v_cndmask_b32_e32 v12, 0, v12, vcc_lo
	v_cmp_nlt_f32_e32 vcc_lo, 0x42b17218, v6
	v_cndmask_b32_e32 v6, 0x7f800000, v12, vcc_lo
	v_cvt_f16_f32_e32 v20, v6
	v_fmac_f32_e32 v1, v26, v6
	v_mul_u32_u24_sdwa v20, v20, v14 dst_sel:DWORD dst_unused:UNUSED_PAD src0_sel:WORD_0 src1_sel:DWORD
	v_mov_b32_e32 v26, v1
	s_waitcnt vmcnt(0) lgkmcnt(0)
	ds_write_b128 v4, v[16:19]
	s_waitcnt lgkmcnt(0)
	s_waitcnt_vscnt null, 0x0
	s_barrier
	buffer_gl0_inv
	ds_read_b128 v[16:19], v31 offset:4864
	ds_read2_b32 v[3:4], v22 offset1:32
	ds_read_b128 v[27:30], v31 offset:4880
	ds_read2_b32 v[12:13], v22 offset0:64 offset1:96
	s_waitcnt lgkmcnt(3)
	v_mul_u32_u24_sdwa v24, v16, v14 dst_sel:DWORD dst_unused:UNUSED_PAD src0_sel:WORD_0 src1_sel:DWORD
	v_mul_u32_u24_sdwa v16, v16, v14 dst_sel:DWORD dst_unused:UNUSED_PAD src0_sel:WORD_1 src1_sel:DWORD
	s_waitcnt lgkmcnt(1)
	v_mul_u32_u24_sdwa v32, v30, v14 dst_sel:DWORD dst_unused:UNUSED_PAD src0_sel:WORD_1 src1_sel:DWORD
	v_pk_mul_f16 v3, v3, v24
	ds_read2_b32 v[24:25], v22 offset0:128 offset1:160
	v_pk_fma_f16 v3, v23, v20, v3
	v_mul_u32_u24_sdwa v20, v17, v14 dst_sel:DWORD dst_unused:UNUSED_PAD src0_sel:WORD_0 src1_sel:DWORD
	v_mul_u32_u24_sdwa v17, v17, v14 dst_sel:DWORD dst_unused:UNUSED_PAD src0_sel:WORD_1 src1_sel:DWORD
	v_pk_fma_f16 v16, v4, v16, v3
	ds_read2_b32 v[3:4], v22 offset0:192 offset1:224
	s_waitcnt lgkmcnt(2)
	v_pk_fma_f16 v12, v12, v20, v16
	v_add_nc_u32_e32 v16, 0x400, v22
	v_mul_u32_u24_sdwa v20, v18, v14 dst_sel:DWORD dst_unused:UNUSED_PAD src0_sel:WORD_0 src1_sel:DWORD
	v_mul_u32_u24_sdwa v18, v18, v14 dst_sel:DWORD dst_unused:UNUSED_PAD src0_sel:WORD_1 src1_sel:DWORD
	v_pk_fma_f16 v17, v13, v17, v12
	ds_read2_b32 v[12:13], v16 offset1:32
	s_waitcnt lgkmcnt(2)
	v_pk_fma_f16 v17, v24, v20, v17
	v_mul_u32_u24_sdwa v20, v19, v14 dst_sel:DWORD dst_unused:UNUSED_PAD src0_sel:WORD_0 src1_sel:DWORD
	ds_read2_b32 v[23:24], v16 offset0:64 offset1:96
	v_pk_fma_f16 v17, v25, v18, v17
	v_mul_u32_u24_sdwa v18, v19, v14 dst_sel:DWORD dst_unused:UNUSED_PAD src0_sel:WORD_1 src1_sel:DWORD
	v_mul_u32_u24_sdwa v19, v27, v14 dst_sel:DWORD dst_unused:UNUSED_PAD src0_sel:WORD_1 src1_sel:DWORD
	v_add_nc_u32_e32 v25, 0x800, v22
	s_waitcnt lgkmcnt(2)
	v_pk_fma_f16 v3, v3, v20, v17
	v_mul_u32_u24_sdwa v17, v27, v14 dst_sel:DWORD dst_unused:UNUSED_PAD src0_sel:WORD_0 src1_sel:DWORD
	v_mul_u32_u24_sdwa v20, v28, v14 dst_sel:DWORD dst_unused:UNUSED_PAD src0_sel:WORD_1 src1_sel:DWORD
	v_mul_u32_u24_sdwa v27, v29, v14 dst_sel:DWORD dst_unused:UNUSED_PAD src0_sel:WORD_0 src1_sel:DWORD
	v_pk_fma_f16 v18, v4, v18, v3
	ds_read2_b32 v[3:4], v16 offset0:128 offset1:160
	s_waitcnt lgkmcnt(2)
	v_pk_fma_f16 v12, v12, v17, v18
	v_mul_u32_u24_sdwa v17, v28, v14 dst_sel:DWORD dst_unused:UNUSED_PAD src0_sel:WORD_0 src1_sel:DWORD
	v_mul_u32_u24_sdwa v28, v29, v14 dst_sel:DWORD dst_unused:UNUSED_PAD src0_sel:WORD_1 src1_sel:DWORD
	v_pk_fma_f16 v18, v13, v19, v12
	ds_read2_b32 v[12:13], v16 offset0:192 offset1:224
	s_waitcnt lgkmcnt(2)
	v_pk_fma_f16 v23, v23, v17, v18
	ds_read_b128 v[16:19], v31 offset:4896
	v_pk_fma_f16 v20, v24, v20, v23
	ds_read2_b32 v[23:24], v25 offset1:32
	s_waitcnt lgkmcnt(3)
	v_pk_fma_f16 v3, v3, v27, v20
	v_mul_u32_u24_sdwa v20, v30, v14 dst_sel:DWORD dst_unused:UNUSED_PAD src0_sel:WORD_0 src1_sel:DWORD
	v_pk_fma_f16 v27, v4, v28, v3
	ds_read2_b32 v[3:4], v25 offset0:64 offset1:96
	s_waitcnt lgkmcnt(3)
	v_pk_fma_f16 v12, v12, v20, v27
	ds_read_b128 v[27:30], v31 offset:4912
	s_waitcnt lgkmcnt(3)
	v_mul_u32_u24_sdwa v20, v16, v14 dst_sel:DWORD dst_unused:UNUSED_PAD src0_sel:WORD_0 src1_sel:DWORD
	v_mul_u32_u24_sdwa v16, v16, v14 dst_sel:DWORD dst_unused:UNUSED_PAD src0_sel:WORD_1 src1_sel:DWORD
	v_pk_fma_f16 v31, v13, v32, v12
	ds_read2_b32 v[12:13], v25 offset0:128 offset1:160
	s_waitcnt lgkmcnt(3)
	v_pk_fma_f16 v20, v23, v20, v31
	v_mul_u32_u24_sdwa v31, v17, v14 dst_sel:DWORD dst_unused:UNUSED_PAD src0_sel:WORD_0 src1_sel:DWORD
	v_mul_u32_u24_sdwa v17, v17, v14 dst_sel:DWORD dst_unused:UNUSED_PAD src0_sel:WORD_1 src1_sel:DWORD
	v_pk_fma_f16 v16, v24, v16, v20
	ds_read2_b32 v[23:24], v25 offset0:192 offset1:224
	v_add_nc_u32_e32 v20, 0xc00, v22
	s_waitcnt lgkmcnt(3)
	v_pk_fma_f16 v3, v3, v31, v16
	v_mul_u32_u24_sdwa v16, v18, v14 dst_sel:DWORD dst_unused:UNUSED_PAD src0_sel:WORD_0 src1_sel:DWORD
	v_mul_u32_u24_sdwa v18, v18, v14 dst_sel:DWORD dst_unused:UNUSED_PAD src0_sel:WORD_1 src1_sel:DWORD
	s_waitcnt lgkmcnt(2)
	v_mul_u32_u24_sdwa v22, v27, v14 dst_sel:DWORD dst_unused:UNUSED_PAD src0_sel:WORD_1 src1_sel:DWORD
	v_pk_fma_f16 v17, v4, v17, v3
	ds_read2_b32 v[3:4], v20 offset1:32
	s_waitcnt lgkmcnt(2)
	v_pk_fma_f16 v12, v12, v16, v17
	v_mul_u32_u24_sdwa v16, v19, v14 dst_sel:DWORD dst_unused:UNUSED_PAD src0_sel:WORD_0 src1_sel:DWORD
	v_pk_fma_f16 v17, v13, v18, v12
	ds_read2_b32 v[12:13], v20 offset0:64 offset1:96
	v_mul_u32_u24_sdwa v18, v19, v14 dst_sel:DWORD dst_unused:UNUSED_PAD src0_sel:WORD_1 src1_sel:DWORD
	v_mul_u32_u24_sdwa v19, v27, v14 dst_sel:DWORD dst_unused:UNUSED_PAD src0_sel:WORD_0 src1_sel:DWORD
	s_waitcnt lgkmcnt(2)
	v_pk_fma_f16 v16, v23, v16, v17
	v_mul_u32_u24_sdwa v23, v28, v14 dst_sel:DWORD dst_unused:UNUSED_PAD src0_sel:WORD_0 src1_sel:DWORD
	v_pk_fma_f16 v18, v24, v18, v16
	ds_read2_b32 v[16:17], v20 offset0:128 offset1:160
	s_waitcnt lgkmcnt(2)
	v_pk_fma_f16 v3, v3, v19, v18
	ds_read2_b32 v[18:19], v20 offset0:192 offset1:224
	s_waitcnt lgkmcnt(0)
	s_barrier
	buffer_gl0_inv
	v_pk_fma_f16 v3, v4, v22, v3
	v_mul_u32_u24_sdwa v4, v28, v14 dst_sel:DWORD dst_unused:UNUSED_PAD src0_sel:WORD_1 src1_sel:DWORD
	v_pk_fma_f16 v3, v12, v23, v3
	v_mul_u32_u24_sdwa v12, v29, v14 dst_sel:DWORD dst_unused:UNUSED_PAD src0_sel:WORD_0 src1_sel:DWORD
	v_pk_fma_f16 v3, v13, v4, v3
	v_mul_u32_u24_sdwa v4, v29, v14 dst_sel:DWORD dst_unused:UNUSED_PAD src0_sel:WORD_1 src1_sel:DWORD
	v_mul_u32_u24_sdwa v13, v30, v14 dst_sel:DWORD dst_unused:UNUSED_PAD src0_sel:WORD_1 src1_sel:DWORD
	v_pk_fma_f16 v3, v16, v12, v3
	v_mul_u32_u24_sdwa v12, v30, v14 dst_sel:DWORD dst_unused:UNUSED_PAD src0_sel:WORD_0 src1_sel:DWORD
	v_pk_fma_f16 v3, v17, v4, v3
	v_mov_b32_e32 v4, 32
	v_pk_fma_f16 v12, v18, v12, v3
	v_mov_b32_e32 v3, v15
	v_pk_fma_f16 v23, v19, v13, v12
.LBB68_22:
	v_cmp_lt_i32_e32 vcc_lo, v9, v4
	s_cmp_eq_u64 s[20:21], 0
	s_cselect_b32 s6, -1, 0
	s_cmp_lg_u32 s34, 0
	v_cndmask_b32_e32 v1, v21, v9, vcc_lo
	v_cmp_lt_i32_e32 vcc_lo, v7, v4
	s_cselect_b32 s7, -1, 0
	s_or_b32 s6, s7, s6
	v_lshlrev_b32_e32 v1, 2, v1
	v_cndmask_b32_e32 v6, v21, v7, vcc_lo
	v_cmp_lt_i32_e32 vcc_lo, v8, v4
	ds_bpermute_b32 v1, v1, v26
	v_lshlrev_b32_e32 v6, 2, v6
	v_cndmask_b32_e32 v7, v21, v8, vcc_lo
	v_cmp_lt_i32_e32 vcc_lo, v10, v4
	v_lshlrev_b32_e32 v7, 2, v7
	s_waitcnt lgkmcnt(0)
	v_add_f32_e32 v1, v26, v1
	ds_bpermute_b32 v6, v6, v1
	s_waitcnt lgkmcnt(0)
	v_add_f32_e32 v1, v1, v6
	ds_bpermute_b32 v6, v7, v1
	v_cndmask_b32_e32 v7, v21, v10, vcc_lo
	v_cmp_lt_i32_e32 vcc_lo, v11, v4
	v_lshlrev_b32_e32 v7, 2, v7
	v_cndmask_b32_e32 v4, v21, v11, vcc_lo
	s_and_b32 vcc_lo, exec_lo, s6
	v_lshlrev_b32_e32 v4, 2, v4
	s_waitcnt lgkmcnt(0)
	v_add_f32_e32 v1, v1, v6
	ds_bpermute_b32 v6, v7, v1
	s_waitcnt lgkmcnt(0)
	v_add_f32_e32 v1, v1, v6
	ds_bpermute_b32 v4, v4, v1
	s_waitcnt lgkmcnt(0)
	v_add_f32_e32 v4, v1, v4
	s_cbranch_vccnz .LBB68_24
; %bb.23:
	s_lshl_b64 s[6:7], s[40:41], 2
	v_mov_b32_e32 v1, 0
	s_add_u32 s6, s20, s6
	s_addc_u32 s7, s21, s7
	v_max_f32_e32 v6, v3, v3
	global_load_dword v1, v1, s[6:7]
	s_waitcnt vmcnt(0)
	v_max_f32_e32 v7, v1, v1
	v_max_f32_e32 v6, v6, v7
	v_sub_f32_e32 v3, v3, v6
	v_sub_f32_e32 v1, v1, v6
	v_mul_f32_e32 v7, 0x3fb8aa3b, v3
	v_mul_f32_e32 v8, 0x3fb8aa3b, v1
	v_cmp_ngt_f32_e32 vcc_lo, 0xc2ce8ed0, v3
	v_fma_f32 v9, 0x3fb8aa3b, v3, -v7
	v_rndne_f32_e32 v10, v7
	v_fma_f32 v11, 0x3fb8aa3b, v1, -v8
	v_rndne_f32_e32 v12, v8
	v_fmac_f32_e32 v9, 0x32a5705f, v3
	v_sub_f32_e32 v7, v7, v10
	v_fmac_f32_e32 v11, 0x32a5705f, v1
	v_sub_f32_e32 v8, v8, v12
	v_add_f32_e32 v7, v7, v9
	v_cvt_i32_f32_e32 v9, v10
	v_add_f32_e32 v8, v8, v11
	v_cvt_i32_f32_e32 v10, v12
	v_exp_f32_e32 v7, v7
	v_exp_f32_e32 v8, v8
	v_ldexp_f32 v7, v7, v9
	v_ldexp_f32 v8, v8, v10
	v_cndmask_b32_e32 v7, 0, v7, vcc_lo
	v_cmp_ngt_f32_e32 vcc_lo, 0xc2ce8ed0, v1
	v_cndmask_b32_e32 v8, 0, v8, vcc_lo
	v_cmp_nlt_f32_e32 vcc_lo, 0x42b17218, v3
	v_cndmask_b32_e32 v3, 0x7f800000, v7, vcc_lo
	v_cmp_nlt_f32_e32 vcc_lo, 0x42b17218, v1
	v_mov_b32_e32 v7, 0x10001
	v_cndmask_b32_e32 v1, 0x7f800000, v8, vcc_lo
	v_cvt_f16_f32_e32 v8, v3
	v_fmac_f32_e32 v1, v4, v3
	v_mul_u32_u24_sdwa v3, v8, v7 dst_sel:DWORD dst_unused:UNUSED_PAD src0_sel:WORD_0 src1_sel:DWORD
	v_mov_b32_e32 v4, v1
	v_pk_mul_f16 v23, v23, v3
	v_mov_b32_e32 v3, v6
.LBB68_24:
	s_mov_b32 s6, exec_lo
	v_cmpx_gt_i32_e64 s30, v2
	s_cbranch_execz .LBB68_27
; %bb.25:
	v_div_scale_f32 v6, null, v4, v4, 1.0
	s_load_dword s4, s[4:5], 0xd4
	v_div_scale_f32 v8, vcc_lo, 1.0, v4, 1.0
	v_rcp_f32_e32 v7, v6
	v_fma_f32 v1, -v6, v7, 1.0
	v_fmac_f32_e32 v7, v1, v7
	v_mad_u64_u32 v[1:2], null, s33, s30, v[2:3]
	s_waitcnt lgkmcnt(0)
	s_cmp_lg_u32 s4, 1
	s_cselect_b32 s5, -1, 0
	v_mul_f32_e32 v9, v8, v7
	v_mad_u64_u32 v[1:2], null, v1, s31, s[40:41]
	v_fma_f32 v10, -v6, v9, v8
	v_fmac_f32_e32 v9, v10, v7
	v_mad_u64_u32 v[1:2], null, s4, v1, s[34:35]
	v_fma_f32 v6, -v6, v9, v8
	v_cvt_f32_f16_sdwa v8, v23 dst_sel:DWORD dst_unused:UNUSED_PAD src0_sel:WORD_1
	v_lshl_add_u32 v5, v1, 6, v5
	v_div_fmas_f32 v2, v6, v7, v9
	v_mov_b32_e32 v6, 0
	v_cvt_f32_f16_e32 v7, v23
	v_cmp_eq_u32_e32 vcc_lo, 0, v0
	v_div_fixup_f32 v2, v2, v4, 1.0
	v_lshlrev_b64 v[5:6], 2, v[5:6]
	v_cndmask_b32_e64 v2, v2, 1.0, s5
	v_add_co_u32 v5, s4, s24, v5
	v_add_co_ci_u32_e64 v6, null, s25, v6, s4
	v_mul_f32_e32 v7, v2, v7
	v_mul_f32_e32 v8, v2, v8
	s_and_b32 s4, vcc_lo, s5
	global_store_dwordx2 v[5:6], v[7:8], off
	s_and_b32 exec_lo, exec_lo, s4
	s_cbranch_execz .LBB68_27
; %bb.26:
	v_ashrrev_i32_e32 v2, 31, v1
	v_lshlrev_b64 v[0:1], 3, v[1:2]
	v_add_co_u32 v0, vcc_lo, s26, v0
	v_add_co_ci_u32_e64 v1, null, s27, v1, vcc_lo
	global_store_dwordx2 v[0:1], v[3:4], off
.LBB68_27:
	s_endpgm
	.section	.rodata,"a",@progbits
	.p2align	6, 0x0
	.amdhsa_kernel _ZL15flash_attn_tileILi64ELi64ELi2ELi1ELb0EEvPKcS1_S1_S1_S1_PKiPfP15HIP_vector_typeIfLj2EEffffjfiS5_IjLj3EEiiiiiiiiiiiliiliiiiil
		.amdhsa_group_segment_fixed_size 4992
		.amdhsa_private_segment_fixed_size 32
		.amdhsa_kernarg_size 464
		.amdhsa_user_sgpr_count 8
		.amdhsa_user_sgpr_private_segment_buffer 1
		.amdhsa_user_sgpr_dispatch_ptr 0
		.amdhsa_user_sgpr_queue_ptr 0
		.amdhsa_user_sgpr_kernarg_segment_ptr 1
		.amdhsa_user_sgpr_dispatch_id 0
		.amdhsa_user_sgpr_flat_scratch_init 1
		.amdhsa_user_sgpr_private_segment_size 0
		.amdhsa_wavefront_size32 1
		.amdhsa_uses_dynamic_stack 0
		.amdhsa_system_sgpr_private_segment_wavefront_offset 1
		.amdhsa_system_sgpr_workgroup_id_x 1
		.amdhsa_system_sgpr_workgroup_id_y 1
		.amdhsa_system_sgpr_workgroup_id_z 1
		.amdhsa_system_sgpr_workgroup_info 0
		.amdhsa_system_vgpr_workitem_id 1
		.amdhsa_next_free_vgpr 62
		.amdhsa_next_free_sgpr 52
		.amdhsa_reserve_vcc 1
		.amdhsa_reserve_flat_scratch 1
		.amdhsa_float_round_mode_32 0
		.amdhsa_float_round_mode_16_64 0
		.amdhsa_float_denorm_mode_32 3
		.amdhsa_float_denorm_mode_16_64 3
		.amdhsa_dx10_clamp 1
		.amdhsa_ieee_mode 1
		.amdhsa_fp16_overflow 0
		.amdhsa_workgroup_processor_mode 1
		.amdhsa_memory_ordered 1
		.amdhsa_forward_progress 1
		.amdhsa_shared_vgpr_count 0
		.amdhsa_exception_fp_ieee_invalid_op 0
		.amdhsa_exception_fp_denorm_src 0
		.amdhsa_exception_fp_ieee_div_zero 0
		.amdhsa_exception_fp_ieee_overflow 0
		.amdhsa_exception_fp_ieee_underflow 0
		.amdhsa_exception_fp_ieee_inexact 0
		.amdhsa_exception_int_div_zero 0
	.end_amdhsa_kernel
	.section	.text._ZL15flash_attn_tileILi64ELi64ELi2ELi1ELb0EEvPKcS1_S1_S1_S1_PKiPfP15HIP_vector_typeIfLj2EEffffjfiS5_IjLj3EEiiiiiiiiiiiliiliiiiil,"axG",@progbits,_ZL15flash_attn_tileILi64ELi64ELi2ELi1ELb0EEvPKcS1_S1_S1_S1_PKiPfP15HIP_vector_typeIfLj2EEffffjfiS5_IjLj3EEiiiiiiiiiiiliiliiiiil,comdat
.Lfunc_end68:
	.size	_ZL15flash_attn_tileILi64ELi64ELi2ELi1ELb0EEvPKcS1_S1_S1_S1_PKiPfP15HIP_vector_typeIfLj2EEffffjfiS5_IjLj3EEiiiiiiiiiiiliiliiiiil, .Lfunc_end68-_ZL15flash_attn_tileILi64ELi64ELi2ELi1ELb0EEvPKcS1_S1_S1_S1_PKiPfP15HIP_vector_typeIfLj2EEffffjfiS5_IjLj3EEiiiiiiiiiiiliiliiiiil
                                        ; -- End function
	.set _ZL15flash_attn_tileILi64ELi64ELi2ELi1ELb0EEvPKcS1_S1_S1_S1_PKiPfP15HIP_vector_typeIfLj2EEffffjfiS5_IjLj3EEiiiiiiiiiiiliiliiiiil.num_vgpr, 62
	.set _ZL15flash_attn_tileILi64ELi64ELi2ELi1ELb0EEvPKcS1_S1_S1_S1_PKiPfP15HIP_vector_typeIfLj2EEffffjfiS5_IjLj3EEiiiiiiiiiiiliiliiiiil.num_agpr, 0
	.set _ZL15flash_attn_tileILi64ELi64ELi2ELi1ELb0EEvPKcS1_S1_S1_S1_PKiPfP15HIP_vector_typeIfLj2EEffffjfiS5_IjLj3EEiiiiiiiiiiiliiliiiiil.numbered_sgpr, 52
	.set _ZL15flash_attn_tileILi64ELi64ELi2ELi1ELb0EEvPKcS1_S1_S1_S1_PKiPfP15HIP_vector_typeIfLj2EEffffjfiS5_IjLj3EEiiiiiiiiiiiliiliiiiil.num_named_barrier, 0
	.set _ZL15flash_attn_tileILi64ELi64ELi2ELi1ELb0EEvPKcS1_S1_S1_S1_PKiPfP15HIP_vector_typeIfLj2EEffffjfiS5_IjLj3EEiiiiiiiiiiiliiliiiiil.private_seg_size, 32
	.set _ZL15flash_attn_tileILi64ELi64ELi2ELi1ELb0EEvPKcS1_S1_S1_S1_PKiPfP15HIP_vector_typeIfLj2EEffffjfiS5_IjLj3EEiiiiiiiiiiiliiliiiiil.uses_vcc, 1
	.set _ZL15flash_attn_tileILi64ELi64ELi2ELi1ELb0EEvPKcS1_S1_S1_S1_PKiPfP15HIP_vector_typeIfLj2EEffffjfiS5_IjLj3EEiiiiiiiiiiiliiliiiiil.uses_flat_scratch, 1
	.set _ZL15flash_attn_tileILi64ELi64ELi2ELi1ELb0EEvPKcS1_S1_S1_S1_PKiPfP15HIP_vector_typeIfLj2EEffffjfiS5_IjLj3EEiiiiiiiiiiiliiliiiiil.has_dyn_sized_stack, 0
	.set _ZL15flash_attn_tileILi64ELi64ELi2ELi1ELb0EEvPKcS1_S1_S1_S1_PKiPfP15HIP_vector_typeIfLj2EEffffjfiS5_IjLj3EEiiiiiiiiiiiliiliiiiil.has_recursion, 0
	.set _ZL15flash_attn_tileILi64ELi64ELi2ELi1ELb0EEvPKcS1_S1_S1_S1_PKiPfP15HIP_vector_typeIfLj2EEffffjfiS5_IjLj3EEiiiiiiiiiiiliiliiiiil.has_indirect_call, 0
	.section	.AMDGPU.csdata,"",@progbits
; Kernel info:
; codeLenInByte = 8968
; TotalNumSgprs: 54
; NumVgprs: 62
; ScratchSize: 32
; MemoryBound: 0
; FloatMode: 240
; IeeeMode: 1
; LDSByteSize: 4992 bytes/workgroup (compile time only)
; SGPRBlocks: 0
; VGPRBlocks: 7
; NumSGPRsForWavesPerEU: 54
; NumVGPRsForWavesPerEU: 62
; Occupancy: 13
; WaveLimiterHint : 1
; COMPUTE_PGM_RSRC2:SCRATCH_EN: 1
; COMPUTE_PGM_RSRC2:USER_SGPR: 8
; COMPUTE_PGM_RSRC2:TRAP_HANDLER: 0
; COMPUTE_PGM_RSRC2:TGID_X_EN: 1
; COMPUTE_PGM_RSRC2:TGID_Y_EN: 1
; COMPUTE_PGM_RSRC2:TGID_Z_EN: 1
; COMPUTE_PGM_RSRC2:TIDIG_COMP_CNT: 1
	.section	.text._ZL33flash_attn_stream_k_fixup_uniformILi64ELi2ELi1EEvPfPK15HIP_vector_typeIfLj2EEiiiiiiS1_IjLj3EES5_S5_,"axG",@progbits,_ZL33flash_attn_stream_k_fixup_uniformILi64ELi2ELi1EEvPfPK15HIP_vector_typeIfLj2EEiiiiiiS1_IjLj3EES5_S5_,comdat
	.globl	_ZL33flash_attn_stream_k_fixup_uniformILi64ELi2ELi1EEvPfPK15HIP_vector_typeIfLj2EEiiiiiiS1_IjLj3EES5_S5_ ; -- Begin function _ZL33flash_attn_stream_k_fixup_uniformILi64ELi2ELi1EEvPfPK15HIP_vector_typeIfLj2EEiiiiiiS1_IjLj3EES5_S5_
	.p2align	8
	.type	_ZL33flash_attn_stream_k_fixup_uniformILi64ELi2ELi1EEvPfPK15HIP_vector_typeIfLj2EEiiiiiiS1_IjLj3EES5_S5_,@function
_ZL33flash_attn_stream_k_fixup_uniformILi64ELi2ELi1EEvPfPK15HIP_vector_typeIfLj2EEiiiiiiS1_IjLj3EES5_S5_: ; @_ZL33flash_attn_stream_k_fixup_uniformILi64ELi2ELi1EEvPfPK15HIP_vector_typeIfLj2EEiiiiiiS1_IjLj3EES5_S5_
; %bb.0:
	s_clause 0x2
	s_load_dwordx8 s[12:19], s[4:5], 0x1c
	s_load_dwordx4 s[20:23], s[4:5], 0x3c
	s_load_dwordx2 s[10:11], s[4:5], 0x10
	s_waitcnt lgkmcnt(0)
	s_mul_hi_u32 s0, s15, s6
	s_add_i32 s0, s6, s0
	s_lshr_b32 s0, s0, s16
	s_mul_i32 s1, s0, s17
	s_sub_i32 s2, s6, s1
	s_mul_hi_u32 s1, s2, s18
	s_add_i32 s1, s2, s1
	s_lshr_b32 s1, s1, s19
	s_mul_i32 s3, s1, s20
	s_sub_i32 s2, s2, s3
	;; [unrolled: 5-line block ×3, first 2 shown]
	s_lshl_b32 s2, s15, 1
	s_add_i32 s2, s2, s7
	s_cmp_lt_i32 s2, s10
	s_cselect_b32 s2, -1, 0
	s_add_i32 s3, s9, s8
	s_cmp_lt_i32 s3, s13
	s_cselect_b32 s3, -1, 0
	s_and_b32 s2, s2, s3
	s_andn2_b32 vcc_lo, exec_lo, s2
	s_cbranch_vccnz .LBB69_6
; %bb.1:
	s_mul_i32 s0, s0, s10
	s_mul_i32 s10, s1, s13
	s_add_i32 s0, s0, s7
	s_mul_i32 s0, s0, s11
	s_add_i32 s13, s0, s8
	s_load_dwordx4 s[0:3], s[4:5], 0x0
	s_add_i32 s4, s13, s10
	s_mul_i32 s5, s11, s15
	s_add_i32 s4, s4, s9
	s_lshl_b32 s5, s5, 7
	s_lshl_b32 s4, s4, 6
	s_add_i32 s8, s7, s8
	s_add_i32 s5, s5, s4
	s_mul_i32 s4, s14, s6
	v_or_b32_e32 v1, s5, v0
	s_add_i32 s9, s4, s14
	v_ashrrev_i32_e32 v2, 31, v1
	v_lshlrev_b64 v[1:2], 2, v[1:2]
	s_waitcnt lgkmcnt(0)
	v_add_co_u32 v1, vcc_lo, s0, v1
	v_add_co_ci_u32_e64 v2, null, s1, v2, vcc_lo
	s_lshl_b32 s0, s9, 1
	s_add_i32 s0, s8, s0
	global_load_dword v5, v[1:2], off
	s_add_i32 s0, s0, -2
	s_ashr_i32 s1, s0, 31
	s_lshl_b64 s[0:1], s[0:1], 3
	s_add_u32 s0, s2, s0
	s_addc_u32 s1, s3, s1
	s_add_i32 s5, s9, -2
	s_load_dword s10, s[0:1], 0x4
	s_cmp_lt_i32 s5, s4
	s_cbranch_scc1 .LBB69_4
; %bb.2:
	s_lshl_b32 s16, s12, 3
	s_load_dword s11, s[0:1], 0x0
	s_ashr_i32 s17, s16, 31
	s_waitcnt lgkmcnt(0)
	v_mov_b32_e32 v6, s10
	s_lshl_b64 s[0:1], s[16:17], 2
	s_add_u32 s5, s2, s0
	s_addc_u32 s7, s3, s1
	s_add_i32 s6, s6, 1
	s_lshl_b32 s1, s8, 6
	s_mul_i32 s0, s14, s6
	s_lshl_b32 s6, s0, 7
	s_lshl_b32 s0, s0, 1
	s_add_i32 s1, s1, s6
	s_add_i32 s0, s8, s0
	v_or_b32_e32 v0, s1, v0
	s_lshl_b32 s1, s12, 1
	s_add_i32 s6, s9, -1
	s_add_i32 s0, s0, s1
	v_add_nc_u32_e32 v3, 0xffffff00, v0
	v_mov_b32_e32 v0, s11
	s_add_i32 s0, s0, -4
.LBB69_3:                               ; =>This Inner Loop Header: Depth=1
	v_ashrrev_i32_e32 v4, 31, v3
	s_ashr_i32 s1, s0, 31
	s_lshl_b64 s[8:9], s[0:1], 3
	s_add_u32 s8, s2, s8
	v_lshlrev_b64 v[7:8], 2, v[3:4]
	s_addc_u32 s9, s3, s9
	v_add_nc_u32_e32 v3, 0xffffff80, v3
	s_add_i32 s6, s6, -1
	s_add_i32 s0, s0, -2
	s_cmp_le_i32 s6, s4
	v_add_co_u32 v7, vcc_lo, s5, v7
	v_add_co_ci_u32_e64 v8, null, s7, v8, vcc_lo
	s_load_dwordx2 s[8:9], s[8:9], 0x0
	global_load_dword v4, v[7:8], off
	v_max_f32_e32 v7, v0, v0
	s_waitcnt lgkmcnt(0)
	v_max_f32_e64 v8, s8, s8
	v_max_f32_e32 v7, v7, v8
	v_sub_f32_e32 v8, s8, v7
	v_sub_f32_e32 v0, v0, v7
	v_mul_f32_e32 v9, 0x3fb8aa3b, v8
	v_mul_f32_e32 v12, 0x3fb8aa3b, v0
	v_cmp_ngt_f32_e32 vcc_lo, 0xc2ce8ed0, v8
	v_fma_f32 v10, 0x3fb8aa3b, v8, -v9
	v_rndne_f32_e32 v11, v9
	v_fma_f32 v13, 0x3fb8aa3b, v0, -v12
	v_rndne_f32_e32 v14, v12
	v_fmac_f32_e32 v10, 0x32a5705f, v8
	v_sub_f32_e32 v9, v9, v11
	v_fmac_f32_e32 v13, 0x32a5705f, v0
	v_cvt_i32_f32_e32 v11, v11
	v_add_f32_e32 v9, v9, v10
	v_sub_f32_e32 v10, v12, v14
	v_exp_f32_e32 v9, v9
	v_add_f32_e32 v10, v10, v13
	v_exp_f32_e32 v10, v10
	v_ldexp_f32 v9, v9, v11
	v_cvt_i32_f32_e32 v11, v14
	v_cndmask_b32_e32 v9, 0, v9, vcc_lo
	v_cmp_nlt_f32_e32 vcc_lo, 0x42b17218, v8
	v_ldexp_f32 v10, v10, v11
	v_mov_b32_e32 v11, v6
	v_cndmask_b32_e32 v9, 0x7f800000, v9, vcc_lo
	v_cmp_ngt_f32_e32 vcc_lo, 0xc2ce8ed0, v0
	v_cndmask_b32_e32 v10, 0, v10, vcc_lo
	v_cmp_le_f32_e32 vcc_lo, 0xc1a00000, v8
	v_cndmask_b32_e32 v8, 0, v9, vcc_lo
	v_cmp_nlt_f32_e32 vcc_lo, 0x42b17218, v0
	s_waitcnt vmcnt(1)
	v_mov_b32_e32 v9, v5
	v_cndmask_b32_e32 v5, 0x7f800000, v10, vcc_lo
	v_mul_f32_e32 v10, s9, v8
	v_cmp_le_f32_e32 vcc_lo, 0xc1a00000, v0
	v_mov_b32_e32 v0, v7
	v_mov_b32_e32 v6, v10
	v_cndmask_b32_e32 v12, 0, v5, vcc_lo
	v_fmac_f32_e32 v6, v11, v12
	s_waitcnt vmcnt(0)
	v_mul_f32_e32 v5, v4, v8
	v_fmac_f32_e32 v5, v9, v12
	s_cbranch_scc0 .LBB69_3
	s_branch .LBB69_5
.LBB69_4:
	s_waitcnt lgkmcnt(0)
	v_mov_b32_e32 v6, s10
.LBB69_5:
	s_waitcnt vmcnt(0)
	v_div_scale_f32 v0, null, v6, v6, v5
	v_rcp_f32_e32 v3, v0
	v_fma_f32 v4, -v0, v3, 1.0
	v_fmac_f32_e32 v3, v4, v3
	v_div_scale_f32 v4, vcc_lo, v5, v6, v5
	v_mul_f32_e32 v7, v4, v3
	v_fma_f32 v8, -v0, v7, v4
	v_fmac_f32_e32 v7, v8, v3
	v_fma_f32 v0, -v0, v7, v4
	v_div_fmas_f32 v0, v0, v3, v7
	v_div_fixup_f32 v0, v0, v6, v5
	global_store_dword v[1:2], v0, off
.LBB69_6:
	s_endpgm
	.section	.rodata,"a",@progbits
	.p2align	6, 0x0
	.amdhsa_kernel _ZL33flash_attn_stream_k_fixup_uniformILi64ELi2ELi1EEvPfPK15HIP_vector_typeIfLj2EEiiiiiiS1_IjLj3EES5_S5_
		.amdhsa_group_segment_fixed_size 0
		.amdhsa_private_segment_fixed_size 0
		.amdhsa_kernarg_size 76
		.amdhsa_user_sgpr_count 6
		.amdhsa_user_sgpr_private_segment_buffer 1
		.amdhsa_user_sgpr_dispatch_ptr 0
		.amdhsa_user_sgpr_queue_ptr 0
		.amdhsa_user_sgpr_kernarg_segment_ptr 1
		.amdhsa_user_sgpr_dispatch_id 0
		.amdhsa_user_sgpr_flat_scratch_init 0
		.amdhsa_user_sgpr_private_segment_size 0
		.amdhsa_wavefront_size32 1
		.amdhsa_uses_dynamic_stack 0
		.amdhsa_system_sgpr_private_segment_wavefront_offset 0
		.amdhsa_system_sgpr_workgroup_id_x 1
		.amdhsa_system_sgpr_workgroup_id_y 1
		.amdhsa_system_sgpr_workgroup_id_z 1
		.amdhsa_system_sgpr_workgroup_info 0
		.amdhsa_system_vgpr_workitem_id 0
		.amdhsa_next_free_vgpr 15
		.amdhsa_next_free_sgpr 24
		.amdhsa_reserve_vcc 1
		.amdhsa_reserve_flat_scratch 0
		.amdhsa_float_round_mode_32 0
		.amdhsa_float_round_mode_16_64 0
		.amdhsa_float_denorm_mode_32 3
		.amdhsa_float_denorm_mode_16_64 3
		.amdhsa_dx10_clamp 1
		.amdhsa_ieee_mode 1
		.amdhsa_fp16_overflow 0
		.amdhsa_workgroup_processor_mode 1
		.amdhsa_memory_ordered 1
		.amdhsa_forward_progress 1
		.amdhsa_shared_vgpr_count 0
		.amdhsa_exception_fp_ieee_invalid_op 0
		.amdhsa_exception_fp_denorm_src 0
		.amdhsa_exception_fp_ieee_div_zero 0
		.amdhsa_exception_fp_ieee_overflow 0
		.amdhsa_exception_fp_ieee_underflow 0
		.amdhsa_exception_fp_ieee_inexact 0
		.amdhsa_exception_int_div_zero 0
	.end_amdhsa_kernel
	.section	.text._ZL33flash_attn_stream_k_fixup_uniformILi64ELi2ELi1EEvPfPK15HIP_vector_typeIfLj2EEiiiiiiS1_IjLj3EES5_S5_,"axG",@progbits,_ZL33flash_attn_stream_k_fixup_uniformILi64ELi2ELi1EEvPfPK15HIP_vector_typeIfLj2EEiiiiiiS1_IjLj3EES5_S5_,comdat
.Lfunc_end69:
	.size	_ZL33flash_attn_stream_k_fixup_uniformILi64ELi2ELi1EEvPfPK15HIP_vector_typeIfLj2EEiiiiiiS1_IjLj3EES5_S5_, .Lfunc_end69-_ZL33flash_attn_stream_k_fixup_uniformILi64ELi2ELi1EEvPfPK15HIP_vector_typeIfLj2EEiiiiiiS1_IjLj3EES5_S5_
                                        ; -- End function
	.set _ZL33flash_attn_stream_k_fixup_uniformILi64ELi2ELi1EEvPfPK15HIP_vector_typeIfLj2EEiiiiiiS1_IjLj3EES5_S5_.num_vgpr, 15
	.set _ZL33flash_attn_stream_k_fixup_uniformILi64ELi2ELi1EEvPfPK15HIP_vector_typeIfLj2EEiiiiiiS1_IjLj3EES5_S5_.num_agpr, 0
	.set _ZL33flash_attn_stream_k_fixup_uniformILi64ELi2ELi1EEvPfPK15HIP_vector_typeIfLj2EEiiiiiiS1_IjLj3EES5_S5_.numbered_sgpr, 24
	.set _ZL33flash_attn_stream_k_fixup_uniformILi64ELi2ELi1EEvPfPK15HIP_vector_typeIfLj2EEiiiiiiS1_IjLj3EES5_S5_.num_named_barrier, 0
	.set _ZL33flash_attn_stream_k_fixup_uniformILi64ELi2ELi1EEvPfPK15HIP_vector_typeIfLj2EEiiiiiiS1_IjLj3EES5_S5_.private_seg_size, 0
	.set _ZL33flash_attn_stream_k_fixup_uniformILi64ELi2ELi1EEvPfPK15HIP_vector_typeIfLj2EEiiiiiiS1_IjLj3EES5_S5_.uses_vcc, 1
	.set _ZL33flash_attn_stream_k_fixup_uniformILi64ELi2ELi1EEvPfPK15HIP_vector_typeIfLj2EEiiiiiiS1_IjLj3EES5_S5_.uses_flat_scratch, 0
	.set _ZL33flash_attn_stream_k_fixup_uniformILi64ELi2ELi1EEvPfPK15HIP_vector_typeIfLj2EEiiiiiiS1_IjLj3EES5_S5_.has_dyn_sized_stack, 0
	.set _ZL33flash_attn_stream_k_fixup_uniformILi64ELi2ELi1EEvPfPK15HIP_vector_typeIfLj2EEiiiiiiS1_IjLj3EES5_S5_.has_recursion, 0
	.set _ZL33flash_attn_stream_k_fixup_uniformILi64ELi2ELi1EEvPfPK15HIP_vector_typeIfLj2EEiiiiiiS1_IjLj3EES5_S5_.has_indirect_call, 0
	.section	.AMDGPU.csdata,"",@progbits
; Kernel info:
; codeLenInByte = 828
; TotalNumSgprs: 26
; NumVgprs: 15
; ScratchSize: 0
; MemoryBound: 0
; FloatMode: 240
; IeeeMode: 1
; LDSByteSize: 0 bytes/workgroup (compile time only)
; SGPRBlocks: 0
; VGPRBlocks: 1
; NumSGPRsForWavesPerEU: 26
; NumVGPRsForWavesPerEU: 15
; Occupancy: 16
; WaveLimiterHint : 0
; COMPUTE_PGM_RSRC2:SCRATCH_EN: 0
; COMPUTE_PGM_RSRC2:USER_SGPR: 6
; COMPUTE_PGM_RSRC2:TRAP_HANDLER: 0
; COMPUTE_PGM_RSRC2:TGID_X_EN: 1
; COMPUTE_PGM_RSRC2:TGID_Y_EN: 1
; COMPUTE_PGM_RSRC2:TGID_Z_EN: 1
; COMPUTE_PGM_RSRC2:TIDIG_COMP_CNT: 0
	.section	.text._ZL33flash_attn_stream_k_fixup_generalILi64ELi2ELi1EEvPfPK15HIP_vector_typeIfLj2EEiiiiS1_IjLj3EES5_S5_S5_,"axG",@progbits,_ZL33flash_attn_stream_k_fixup_generalILi64ELi2ELi1EEvPfPK15HIP_vector_typeIfLj2EEiiiiS1_IjLj3EES5_S5_S5_,comdat
	.globl	_ZL33flash_attn_stream_k_fixup_generalILi64ELi2ELi1EEvPfPK15HIP_vector_typeIfLj2EEiiiiS1_IjLj3EES5_S5_S5_ ; -- Begin function _ZL33flash_attn_stream_k_fixup_generalILi64ELi2ELi1EEvPfPK15HIP_vector_typeIfLj2EEiiiiS1_IjLj3EES5_S5_S5_
	.p2align	8
	.type	_ZL33flash_attn_stream_k_fixup_generalILi64ELi2ELi1EEvPfPK15HIP_vector_typeIfLj2EEiiiiS1_IjLj3EES5_S5_S5_,@function
_ZL33flash_attn_stream_k_fixup_generalILi64ELi2ELi1EEvPfPK15HIP_vector_typeIfLj2EEiiiiS1_IjLj3EES5_S5_S5_: ; @_ZL33flash_attn_stream_k_fixup_generalILi64ELi2ELi1EEvPfPK15HIP_vector_typeIfLj2EEiiiiS1_IjLj3EES5_S5_S5_
; %bb.0:
	s_clause 0x1
	s_load_dwordx4 s[0:3], s[4:5], 0x10
	s_load_dword s9, s[4:5], 0x50
	s_mov_b32 s16, 0
	s_waitcnt lgkmcnt(0)
	s_mul_hi_i32 s17, s3, s6
	s_mul_i32 s18, s3, s6
	s_cmp_lg_u64 s[16:17], 0
	s_cbranch_scc0 .LBB70_21
; %bb.1:
	s_add_u32 s10, s9, 0
	s_addc_u32 s11, 0, 0
	s_xor_b64 s[10:11], s[10:11], 0
	v_cvt_f32_u32_e32 v1, s10
	v_cvt_f32_u32_e32 v2, s11
	s_sub_u32 s14, 0, s10
	s_subb_u32 s15, 0, s11
	v_fmamk_f32 v1, v2, 0x4f800000, v1
	v_rcp_f32_e32 v1, v1
	v_mul_f32_e32 v1, 0x5f7ffffc, v1
	v_mul_f32_e32 v2, 0x2f800000, v1
	v_trunc_f32_e32 v2, v2
	v_fmamk_f32 v1, v2, 0xcf800000, v1
	v_cvt_u32_f32_e32 v2, v2
	v_cvt_u32_f32_e32 v1, v1
	v_readfirstlane_b32 s12, v2
	v_readfirstlane_b32 s13, v1
	s_mul_i32 s19, s14, s12
	s_mul_hi_u32 s21, s14, s13
	s_mul_i32 s20, s15, s13
	s_add_i32 s19, s21, s19
	s_mul_i32 s22, s14, s13
	s_add_i32 s19, s19, s20
	s_mul_hi_u32 s21, s13, s22
	s_mul_i32 s24, s13, s19
	s_mul_hi_u32 s23, s12, s22
	s_mul_i32 s20, s12, s22
	s_mul_hi_u32 s22, s13, s19
	s_add_u32 s21, s21, s24
	s_addc_u32 s22, 0, s22
	s_mul_hi_u32 s25, s12, s19
	s_add_u32 s20, s21, s20
	s_mul_i32 s19, s12, s19
	s_addc_u32 s20, s22, s23
	s_addc_u32 s21, s25, 0
	s_add_u32 s19, s20, s19
	s_addc_u32 s20, 0, s21
	s_add_u32 s13, s13, s19
	s_cselect_b32 s19, -1, 0
	s_mul_hi_u32 s21, s14, s13
	s_cmp_lg_u32 s19, 0
	s_mul_i32 s19, s14, s13
	s_addc_u32 s12, s12, s20
	s_mul_i32 s15, s15, s13
	s_mul_i32 s14, s14, s12
	s_mul_hi_u32 s20, s13, s19
	s_add_i32 s14, s21, s14
	s_mul_hi_u32 s21, s12, s19
	s_add_i32 s14, s14, s15
	s_mul_i32 s15, s12, s19
	s_mul_i32 s23, s13, s14
	s_mul_hi_u32 s22, s13, s14
	s_add_u32 s20, s20, s23
	s_addc_u32 s22, 0, s22
	s_mul_hi_u32 s19, s12, s14
	s_add_u32 s15, s20, s15
	s_mul_i32 s14, s12, s14
	s_addc_u32 s15, s22, s21
	s_addc_u32 s19, s19, 0
	s_add_u32 s14, s15, s14
	s_addc_u32 s15, 0, s19
	s_add_u32 s19, s13, s14
	s_cselect_b32 s13, -1, 0
	s_cmp_lg_u32 s13, 0
	s_addc_u32 s20, s12, s15
	s_ashr_i32 s12, s17, 31
	s_add_u32 s14, s18, s12
	s_mov_b32 s13, s12
	s_addc_u32 s15, s17, s12
	s_xor_b64 s[14:15], s[14:15], s[12:13]
	s_mul_i32 s21, s14, s20
	s_mul_hi_u32 s22, s14, s19
	s_mul_hi_u32 s17, s14, s20
	;; [unrolled: 1-line block ×3, first 2 shown]
	s_mul_i32 s19, s15, s19
	s_add_u32 s21, s22, s21
	s_addc_u32 s17, 0, s17
	s_mul_hi_u32 s23, s15, s20
	s_add_u32 s19, s21, s19
	s_mul_i32 s20, s15, s20
	s_addc_u32 s17, s17, s24
	s_addc_u32 s19, s23, 0
	s_add_u32 s17, s17, s20
	s_addc_u32 s19, 0, s19
	s_mul_hi_u32 s20, s10, s17
	s_mul_i32 s21, s10, s19
	s_mul_i32 s22, s11, s17
	s_add_i32 s20, s20, s21
	s_mul_i32 s21, s10, s17
	s_add_i32 s20, s20, s22
	s_sub_i32 s22, s15, s20
	s_sub_u32 s14, s14, s21
	s_cselect_b32 s21, -1, 0
	s_cmp_lg_u32 s21, 0
	s_subb_u32 s22, s22, s11
	s_sub_u32 s23, s14, s10
	s_cselect_b32 s24, -1, 0
	s_cmp_lg_u32 s24, 0
	s_subb_u32 s22, s22, 0
	s_cmp_ge_u32 s22, s11
	s_cselect_b32 s24, -1, 0
	s_cmp_ge_u32 s23, s10
	s_cselect_b32 s23, -1, 0
	s_cmp_eq_u32 s22, s11
	s_cselect_b32 s22, s23, s24
	s_add_u32 s23, s17, 1
	s_addc_u32 s24, s19, 0
	s_add_u32 s25, s17, 2
	s_addc_u32 s26, s19, 0
	s_cmp_lg_u32 s22, 0
	s_cselect_b32 s22, s25, s23
	s_cselect_b32 s23, s26, s24
	s_cmp_lg_u32 s21, 0
	s_subb_u32 s15, s15, s20
	s_cmp_ge_u32 s15, s11
	s_cselect_b32 s20, -1, 0
	s_cmp_ge_u32 s14, s10
	s_cselect_b32 s10, -1, 0
	s_cmp_eq_u32 s15, s11
	s_cselect_b32 s10, s10, s20
	s_cmp_lg_u32 s10, 0
	s_cselect_b32 s11, s23, s19
	s_cselect_b32 s10, s22, s17
	s_xor_b64 s[12:13], s[12:13], 0
	s_xor_b64 s[10:11], s[10:11], s[12:13]
	s_sub_u32 s10, s10, s12
	s_load_dwordx4 s[12:15], s[4:5], 0x44
	s_andn2_b32 vcc_lo, exec_lo, s16
	s_cbranch_vccnz .LBB70_3
.LBB70_2:
	v_cvt_f32_u32_e32 v1, s9
	s_sub_i32 s11, 0, s9
	v_rcp_iflag_f32_e32 v1, v1
	v_mul_f32_e32 v1, 0x4f7ffffe, v1
	v_cvt_u32_f32_e32 v1, v1
	v_readfirstlane_b32 s10, v1
	s_mul_i32 s11, s11, s10
	s_mul_hi_u32 s11, s10, s11
	s_add_i32 s10, s10, s11
	s_mul_hi_u32 s10, s18, s10
	s_mul_i32 s11, s10, s9
	s_waitcnt lgkmcnt(0)
	s_add_i32 s15, s10, 1
	s_sub_i32 s11, s18, s11
	s_sub_i32 s16, s11, s9
	s_cmp_ge_u32 s11, s9
	s_cselect_b32 s10, s15, s10
	s_cselect_b32 s11, s16, s11
	s_add_i32 s15, s10, 1
	s_cmp_ge_u32 s11, s9
	s_cselect_b32 s10, s15, s10
.LBB70_3:
	s_add_i32 s11, s6, 1
	s_mov_b32 s16, 0
	s_mul_hi_i32 s17, s3, s11
	s_mul_i32 s11, s3, s11
	s_cmp_lg_u64 s[16:17], 0
	s_cbranch_scc0 .LBB70_22
; %bb.4:
	s_add_u32 s18, s9, 0
	s_addc_u32 s19, 0, 0
	s_xor_b64 s[18:19], s[18:19], 0
	v_cvt_f32_u32_e32 v1, s18
	v_cvt_f32_u32_e32 v2, s19
	s_sub_u32 s21, 0, s18
	s_subb_u32 s22, 0, s19
	v_fmamk_f32 v1, v2, 0x4f800000, v1
	v_rcp_f32_e32 v1, v1
	v_mul_f32_e32 v1, 0x5f7ffffc, v1
	v_mul_f32_e32 v2, 0x2f800000, v1
	v_trunc_f32_e32 v2, v2
	v_fmamk_f32 v1, v2, 0xcf800000, v1
	v_cvt_u32_f32_e32 v2, v2
	v_cvt_u32_f32_e32 v1, v1
	s_waitcnt lgkmcnt(0)
	v_readfirstlane_b32 s15, v2
	v_readfirstlane_b32 s20, v1
	s_mul_i32 s23, s21, s15
	s_mul_hi_u32 s25, s21, s20
	s_mul_i32 s24, s22, s20
	s_add_i32 s23, s25, s23
	s_mul_i32 s26, s21, s20
	s_add_i32 s23, s23, s24
	s_mul_hi_u32 s25, s20, s26
	s_mul_i32 s28, s20, s23
	s_mul_hi_u32 s27, s15, s26
	s_mul_i32 s24, s15, s26
	s_mul_hi_u32 s26, s20, s23
	s_add_u32 s25, s25, s28
	s_addc_u32 s26, 0, s26
	s_mul_hi_u32 s29, s15, s23
	s_add_u32 s24, s25, s24
	s_mul_i32 s23, s15, s23
	s_addc_u32 s24, s26, s27
	s_addc_u32 s25, s29, 0
	s_add_u32 s23, s24, s23
	s_addc_u32 s24, 0, s25
	s_add_u32 s20, s20, s23
	s_cselect_b32 s23, -1, 0
	s_mul_hi_u32 s25, s21, s20
	s_cmp_lg_u32 s23, 0
	s_mul_i32 s23, s21, s20
	s_addc_u32 s15, s15, s24
	s_mul_i32 s22, s22, s20
	s_mul_i32 s21, s21, s15
	s_mul_hi_u32 s24, s20, s23
	s_add_i32 s21, s25, s21
	s_mul_hi_u32 s25, s15, s23
	s_add_i32 s21, s21, s22
	s_mul_i32 s22, s15, s23
	s_mul_i32 s27, s20, s21
	s_mul_hi_u32 s26, s20, s21
	s_add_u32 s24, s24, s27
	s_addc_u32 s26, 0, s26
	s_mul_hi_u32 s23, s15, s21
	s_add_u32 s22, s24, s22
	s_mul_i32 s21, s15, s21
	s_addc_u32 s22, s26, s25
	s_addc_u32 s23, s23, 0
	s_add_u32 s21, s22, s21
	s_addc_u32 s22, 0, s23
	s_add_u32 s24, s20, s21
	s_cselect_b32 s20, -1, 0
	s_cmp_lg_u32 s20, 0
	s_addc_u32 s15, s15, s22
	s_ashr_i32 s20, s17, 31
	s_add_u32 s22, s11, s20
	s_mov_b32 s21, s20
	s_addc_u32 s23, s17, s20
	s_xor_b64 s[22:23], s[22:23], s[20:21]
	s_mul_i32 s25, s22, s15
	s_mul_hi_u32 s26, s22, s24
	s_mul_hi_u32 s17, s22, s15
	;; [unrolled: 1-line block ×3, first 2 shown]
	s_mul_i32 s24, s23, s24
	s_add_u32 s25, s26, s25
	s_addc_u32 s17, 0, s17
	s_mul_hi_u32 s27, s23, s15
	s_add_u32 s24, s25, s24
	s_mul_i32 s15, s23, s15
	s_addc_u32 s17, s17, s28
	s_addc_u32 s24, s27, 0
	s_add_u32 s15, s17, s15
	s_addc_u32 s17, 0, s24
	s_mul_hi_u32 s24, s18, s15
	s_mul_i32 s25, s18, s17
	s_mul_i32 s26, s19, s15
	s_add_i32 s24, s24, s25
	s_mul_i32 s25, s18, s15
	s_add_i32 s24, s24, s26
	s_sub_i32 s26, s23, s24
	s_sub_u32 s22, s22, s25
	s_cselect_b32 s25, -1, 0
	s_cmp_lg_u32 s25, 0
	s_subb_u32 s26, s26, s19
	s_sub_u32 s27, s22, s18
	s_cselect_b32 s28, -1, 0
	s_cmp_lg_u32 s28, 0
	s_subb_u32 s26, s26, 0
	s_cmp_ge_u32 s26, s19
	s_cselect_b32 s28, -1, 0
	s_cmp_ge_u32 s27, s18
	s_cselect_b32 s27, -1, 0
	s_cmp_eq_u32 s26, s19
	s_cselect_b32 s26, s27, s28
	s_add_u32 s27, s15, 1
	s_addc_u32 s28, s17, 0
	s_add_u32 s29, s15, 2
	s_addc_u32 s30, s17, 0
	s_cmp_lg_u32 s26, 0
	s_cselect_b32 s26, s29, s27
	s_cselect_b32 s27, s30, s28
	s_cmp_lg_u32 s25, 0
	s_subb_u32 s23, s23, s24
	s_cmp_ge_u32 s23, s19
	s_cselect_b32 s24, -1, 0
	s_cmp_ge_u32 s22, s18
	s_cselect_b32 s18, -1, 0
	s_cmp_eq_u32 s23, s19
	s_cselect_b32 s18, s18, s24
	s_cmp_lg_u32 s18, 0
	s_cselect_b32 s19, s27, s17
	s_cselect_b32 s18, s26, s15
	s_xor_b64 s[20:21], s[20:21], 0
	s_xor_b64 s[18:19], s[18:19], s[20:21]
	s_sub_u32 s18, s18, s20
	s_andn2_b32 vcc_lo, exec_lo, s16
	s_cbranch_vccnz .LBB70_6
.LBB70_5:
	v_cvt_f32_u32_e32 v1, s9
	s_sub_i32 s16, 0, s9
	v_rcp_iflag_f32_e32 v1, v1
	v_mul_f32_e32 v1, 0x4f7ffffe, v1
	v_cvt_u32_f32_e32 v1, v1
	s_waitcnt lgkmcnt(0)
	v_readfirstlane_b32 s15, v1
	s_mul_i32 s16, s16, s15
	s_mul_hi_u32 s16, s15, s16
	s_add_i32 s15, s15, s16
	s_mul_hi_u32 s15, s11, s15
	s_mul_i32 s16, s15, s9
	s_sub_i32 s11, s11, s16
	s_add_i32 s16, s15, 1
	s_sub_i32 s17, s11, s9
	s_cmp_ge_u32 s11, s9
	s_cselect_b32 s15, s16, s15
	s_cselect_b32 s11, s17, s11
	s_add_i32 s16, s15, 1
	s_cmp_ge_u32 s11, s9
	s_cselect_b32 s18, s16, s15
.LBB70_6:
	s_cmp_eq_u32 s10, s18
	s_waitcnt lgkmcnt(0)
	s_mul_hi_u32 s11, s10, s12
	s_cselect_b32 s15, -1, 0
	s_add_i32 s11, s11, s10
	s_lshr_b32 s11, s11, s13
	s_mul_i32 s16, s11, s14
	s_cmp_eq_u32 s16, s10
	s_mul_hi_u32 s16, s18, s12
	s_cselect_b32 s17, -1, 0
	s_add_i32 s16, s16, s18
	s_lshr_b32 s16, s16, s13
	s_cmp_eq_u32 s11, s16
	s_mul_i32 s16, s16, s14
	s_cselect_b32 s19, -1, 0
	s_cmp_lg_u32 s16, s18
	s_cselect_b32 s16, -1, 0
	s_or_b32 s15, s15, s17
	s_and_b32 s16, s19, s16
	s_or_b32 s15, s15, s16
	s_and_b32 vcc_lo, exec_lo, s15
	s_cbranch_vccnz .LBB70_24
; %bb.7:
	s_load_dwordx8 s[20:27], s[4:5], 0x20
	s_waitcnt lgkmcnt(0)
	s_mul_hi_u32 s15, s10, s20
	s_add_i32 s15, s15, s10
	s_lshr_b32 s20, s15, s21
	s_load_dword s15, s[4:5], 0x40
	s_mul_i32 s16, s20, s22
	s_sub_i32 s16, s10, s16
	s_mul_hi_u32 s17, s16, s23
	s_add_i32 s17, s16, s17
	s_lshr_b32 s22, s17, s24
	s_mul_i32 s17, s22, s25
	s_sub_i32 s16, s16, s17
	s_mul_hi_u32 s17, s16, s26
	s_add_i32 s17, s16, s17
	s_lshr_b32 s23, s17, s27
	s_waitcnt lgkmcnt(0)
	s_mul_i32 s15, s23, s15
	s_sub_i32 s15, s16, s15
	s_mul_hi_u32 s16, s15, s12
	s_add_i32 s15, s15, s16
	s_lshr_b32 s24, s15, s13
	s_lshl_b32 s15, s24, 1
	s_add_i32 s15, s15, s7
	s_cmp_lt_i32 s15, s0
	s_cselect_b32 s15, -1, 0
	s_add_i32 s16, s23, s8
	s_cmp_lt_i32 s16, s2
	s_cselect_b32 s16, -1, 0
	s_and_b32 s15, s15, s16
	s_andn2_b32 vcc_lo, exec_lo, s15
	s_cbranch_vccnz .LBB70_24
; %bb.8:
	s_load_dwordx4 s[16:19], s[4:5], 0x0
	s_mov_b32 s4, 0
	s_lshl_b32 s26, s9, 3
	s_mov_b32 s27, s4
	s_add_i32 s15, s7, s8
	s_lshl_b64 s[26:27], s[26:27], 2
	s_mul_i32 s0, s20, s0
	s_mul_i32 s22, s22, s2
	v_cvt_f32_u32_e32 v4, s9
	v_rcp_iflag_f32_e32 v4, v4
	s_waitcnt lgkmcnt(0)
	s_add_u32 s20, s18, s26
	s_addc_u32 s21, s19, s27
	s_add_i32 s0, s0, s7
	v_mul_f32_e32 v4, 0x4f7ffffe, v4
	s_mul_i32 s0, s0, s1
	s_mul_i32 s1, s1, s24
	s_add_i32 s0, s0, s8
	s_lshl_b32 s1, s1, 7
	s_add_i32 s0, s0, s22
	v_cvt_u32_f32_e32 v4, v4
	s_add_i32 s0, s0, s23
	s_lshl_b32 s0, s0, 6
	s_add_i32 s1, s1, s0
	s_lshl_b32 s0, s6, 1
	v_or_b32_e32 v1, s1, v0
	s_add_i32 s0, s0, s15
	v_lshl_or_b32 v0, s15, 6, v0
	s_ashr_i32 s1, s0, 31
	v_ashrrev_i32_e32 v2, 31, v1
	s_lshl_b64 s[0:1], s[0:1], 3
	s_add_u32 s0, s18, s0
	s_addc_u32 s1, s19, s1
	v_lshlrev_b64 v[1:2], 2, v[1:2]
	s_load_dwordx2 s[0:1], s[0:1], 0x0
	s_add_i32 s8, s6, -1
	s_sub_i32 s2, 0, s9
	v_add_co_u32 v1, vcc_lo, s16, v1
	v_add_co_ci_u32_e64 v2, null, s17, v2, vcc_lo
	global_load_dword v3, v[1:2], off
	s_waitcnt lgkmcnt(0)
	v_mov_b32_e32 v5, s1
	v_mov_b32_e32 v6, s0
.LBB70_9:                               ; =>This Inner Loop Header: Depth=1
	s_mul_hi_i32 s5, s8, s3
	s_mul_i32 s6, s8, s3
	s_cmp_lg_u64 s[4:5], 0
	s_mov_b32 s7, -1
                                        ; implicit-def: $sgpr0_sgpr1
	s_cbranch_scc0 .LBB70_11
; %bb.10:                               ;   in Loop: Header=BB70_9 Depth=1
	s_add_u32 s0, s9, 0
	s_addc_u32 s1, 0, 0
	s_xor_b64 s[0:1], s[0:1], 0
	v_cvt_f32_u32_e32 v7, s0
	v_cvt_f32_u32_e32 v8, s1
	s_sub_u32 s17, 0, s0
	s_subb_u32 s22, 0, s1
	v_fmac_f32_e32 v7, 0x4f800000, v8
	v_rcp_f32_e32 v7, v7
	v_mul_f32_e32 v7, 0x5f7ffffc, v7
	v_mul_f32_e32 v8, 0x2f800000, v7
	v_trunc_f32_e32 v8, v8
	v_fmac_f32_e32 v7, 0xcf800000, v8
	v_cvt_u32_f32_e32 v8, v8
	v_cvt_u32_f32_e32 v7, v7
	v_readfirstlane_b32 s7, v8
	v_readfirstlane_b32 s16, v7
	s_mul_i32 s23, s17, s7
	s_mul_hi_u32 s25, s17, s16
	s_mul_i32 s24, s22, s16
	s_add_i32 s23, s25, s23
	s_mul_i32 s26, s17, s16
	s_add_i32 s23, s23, s24
	s_mul_hi_u32 s25, s16, s26
	s_mul_i32 s28, s16, s23
	s_mul_hi_u32 s27, s7, s26
	s_mul_i32 s24, s7, s26
	s_mul_hi_u32 s26, s16, s23
	s_add_u32 s25, s25, s28
	s_addc_u32 s26, 0, s26
	s_mul_hi_u32 s29, s7, s23
	s_add_u32 s24, s25, s24
	s_mul_i32 s23, s7, s23
	s_addc_u32 s24, s26, s27
	s_addc_u32 s25, s29, 0
	s_add_u32 s23, s24, s23
	s_addc_u32 s24, 0, s25
	s_add_u32 s16, s16, s23
	s_cselect_b32 s23, -1, 0
	s_mul_hi_u32 s25, s17, s16
	s_cmp_lg_u32 s23, 0
	s_mul_i32 s23, s17, s16
	s_addc_u32 s7, s7, s24
	s_mul_i32 s22, s22, s16
	s_mul_i32 s17, s17, s7
	s_mul_hi_u32 s24, s16, s23
	s_add_i32 s17, s25, s17
	s_mul_hi_u32 s25, s7, s23
	s_add_i32 s17, s17, s22
	s_mul_i32 s22, s7, s23
	s_mul_i32 s27, s16, s17
	s_mul_hi_u32 s26, s16, s17
	s_add_u32 s24, s24, s27
	s_addc_u32 s26, 0, s26
	s_mul_hi_u32 s23, s7, s17
	s_add_u32 s22, s24, s22
	s_mul_i32 s17, s7, s17
	s_addc_u32 s22, s26, s25
	s_addc_u32 s23, s23, 0
	s_add_u32 s17, s22, s17
	s_addc_u32 s22, 0, s23
	s_add_u32 s24, s16, s17
	s_cselect_b32 s16, -1, 0
	s_cmp_lg_u32 s16, 0
	s_addc_u32 s7, s7, s22
	s_ashr_i32 s16, s5, 31
	s_add_u32 s22, s6, s16
	s_mov_b32 s17, s16
	s_addc_u32 s23, s5, s16
	s_xor_b64 s[22:23], s[22:23], s[16:17]
	s_mul_i32 s25, s22, s7
	s_mul_hi_u32 s26, s22, s24
	s_mul_hi_u32 s5, s22, s7
	;; [unrolled: 1-line block ×3, first 2 shown]
	s_mul_i32 s24, s23, s24
	s_add_u32 s25, s26, s25
	s_addc_u32 s5, 0, s5
	s_mul_hi_u32 s27, s23, s7
	s_add_u32 s24, s25, s24
	s_mul_i32 s7, s23, s7
	s_addc_u32 s5, s5, s28
	s_addc_u32 s24, s27, 0
	s_add_u32 s5, s5, s7
	s_addc_u32 s7, 0, s24
	s_mul_hi_u32 s24, s0, s5
	s_mul_i32 s25, s0, s7
	s_mul_i32 s26, s1, s5
	s_add_i32 s24, s24, s25
	s_mul_i32 s25, s0, s5
	s_add_i32 s24, s24, s26
	s_sub_i32 s26, s23, s24
	s_sub_u32 s22, s22, s25
	s_cselect_b32 s25, -1, 0
	s_cmp_lg_u32 s25, 0
	s_subb_u32 s26, s26, s1
	s_sub_u32 s27, s22, s0
	s_cselect_b32 s28, -1, 0
	s_cmp_lg_u32 s28, 0
	s_subb_u32 s26, s26, 0
	s_cmp_ge_u32 s26, s1
	s_cselect_b32 s28, -1, 0
	s_cmp_ge_u32 s27, s0
	s_cselect_b32 s27, -1, 0
	s_cmp_eq_u32 s26, s1
	s_cselect_b32 s26, s27, s28
	s_add_u32 s27, s5, 1
	s_addc_u32 s28, s7, 0
	s_add_u32 s29, s5, 2
	s_addc_u32 s30, s7, 0
	s_cmp_lg_u32 s26, 0
	s_cselect_b32 s26, s29, s27
	s_cselect_b32 s27, s30, s28
	s_cmp_lg_u32 s25, 0
	s_subb_u32 s23, s23, s24
	s_cmp_ge_u32 s23, s1
	s_cselect_b32 s24, -1, 0
	s_cmp_ge_u32 s22, s0
	s_cselect_b32 s0, -1, 0
	s_cmp_eq_u32 s23, s1
	s_cselect_b32 s0, s0, s24
	s_cmp_lg_u32 s0, 0
	s_cselect_b32 s1, s27, s7
	s_cselect_b32 s0, s26, s5
	s_xor_b64 s[16:17], s[16:17], 0
	s_mov_b32 s7, 0
	s_xor_b64 s[0:1], s[0:1], s[16:17]
	s_sub_u32 s0, s0, s16
.LBB70_11:                              ;   in Loop: Header=BB70_9 Depth=1
	s_andn2_b32 vcc_lo, exec_lo, s7
	s_cbranch_vccnz .LBB70_13
; %bb.12:                               ;   in Loop: Header=BB70_9 Depth=1
	v_readfirstlane_b32 s0, v4
	s_mul_i32 s1, s2, s0
	s_mul_hi_u32 s1, s0, s1
	s_add_i32 s0, s0, s1
	s_mul_hi_u32 s0, s6, s0
	s_mul_i32 s1, s0, s9
	s_add_i32 s5, s0, 1
	s_sub_i32 s1, s6, s1
	s_sub_i32 s6, s1, s9
	s_cmp_ge_u32 s1, s9
	s_cselect_b32 s0, s5, s0
	s_cselect_b32 s1, s6, s1
	s_add_i32 s5, s0, 1
	s_cmp_ge_u32 s1, s9
	s_cselect_b32 s0, s5, s0
.LBB70_13:                              ;   in Loop: Header=BB70_9 Depth=1
	s_cmp_lg_u32 s10, s0
	s_mov_b32 s6, -1
                                        ; implicit-def: $sgpr5
                                        ; implicit-def: $vgpr8
                                        ; implicit-def: $vgpr7
                                        ; implicit-def: $vgpr9
                                        ; implicit-def: $sgpr1
                                        ; implicit-def: $sgpr16
	s_cbranch_scc0 .LBB70_18
; %bb.14:                               ;   in Loop: Header=BB70_9 Depth=1
	s_add_i32 s1, s8, s9
	s_mov_b32 s7, s4
	s_lshl_b32 s1, s1, 1
	s_mov_b32 s16, s10
	s_add_i32 s6, s1, s15
	s_mul_hi_u32 s1, s0, s12
	s_lshl_b64 s[6:7], s[6:7], 3
	s_add_u32 s6, s18, s6
	s_addc_u32 s7, s19, s7
	s_add_i32 s1, s1, s0
	s_lshr_b32 s1, s1, s13
	s_mul_i32 s5, s1, s14
	s_cmp_eq_u32 s5, s0
	s_cselect_b32 s5, -1, 0
	s_cmp_lt_u32 s1, s11
	s_cselect_b32 s1, -1, 0
	s_or_b32 s1, s1, s5
	s_mov_b32 s5, -1
	s_and_b32 vcc_lo, exec_lo, s1
	s_mov_b32 s1, s8
	s_cbranch_vccnz .LBB70_16
; %bb.15:                               ;   in Loop: Header=BB70_9 Depth=1
	s_add_i32 s1, s8, -1
	s_mov_b32 s5, 0
	s_mov_b32 s16, s0
.LBB70_16:                              ;   in Loop: Header=BB70_9 Depth=1
	v_lshl_add_u32 v7, s8, 7, v0
	s_load_dwordx2 s[6:7], s[6:7], 0x0
	v_ashrrev_i32_e32 v8, 31, v7
	v_lshlrev_b64 v[7:8], 2, v[7:8]
	v_add_co_u32 v7, vcc_lo, s20, v7
	v_add_co_ci_u32_e64 v8, null, s21, v8, vcc_lo
	s_waitcnt lgkmcnt(0)
	v_max_f32_e64 v9, s6, s6
	global_load_dword v8, v[7:8], off
	v_max_f32_e32 v7, v6, v6
	v_max_f32_e32 v7, v7, v9
	v_sub_f32_e32 v9, s6, v7
	v_sub_f32_e32 v10, v6, v7
	v_mul_f32_e32 v11, 0x3fb8aa3b, v9
	v_mul_f32_e32 v12, 0x3fb8aa3b, v10
	v_cmp_ngt_f32_e32 vcc_lo, 0xc2ce8ed0, v9
	v_fma_f32 v13, 0x3fb8aa3b, v9, -v11
	v_rndne_f32_e32 v14, v11
	v_fma_f32 v15, 0x3fb8aa3b, v10, -v12
	v_rndne_f32_e32 v16, v12
	v_fmac_f32_e32 v13, 0x32a5705f, v9
	v_sub_f32_e32 v11, v11, v14
	v_fmac_f32_e32 v15, 0x32a5705f, v10
	v_sub_f32_e32 v12, v12, v16
	v_add_f32_e32 v11, v11, v13
	v_cvt_i32_f32_e32 v13, v14
	v_add_f32_e32 v12, v12, v15
	v_cvt_i32_f32_e32 v14, v16
	v_exp_f32_e32 v11, v11
	v_exp_f32_e32 v12, v12
	v_ldexp_f32 v11, v11, v13
	v_ldexp_f32 v12, v12, v14
	v_cndmask_b32_e32 v11, 0, v11, vcc_lo
	v_cmp_ngt_f32_e32 vcc_lo, 0xc2ce8ed0, v10
	v_cndmask_b32_e32 v12, 0, v12, vcc_lo
	v_cmp_nlt_f32_e32 vcc_lo, 0x42b17218, v9
	v_cndmask_b32_e32 v11, 0x7f800000, v11, vcc_lo
	v_cmp_nlt_f32_e32 vcc_lo, 0x42b17218, v10
	v_cndmask_b32_e32 v12, 0x7f800000, v12, vcc_lo
	v_cmp_le_f32_e32 vcc_lo, 0xc1a00000, v9
	v_cndmask_b32_e32 v9, 0, v11, vcc_lo
	v_cmp_le_f32_e32 vcc_lo, 0xc1a00000, v10
	v_cndmask_b32_e32 v10, 0, v12, vcc_lo
	s_waitcnt vmcnt(0)
	v_mul_f32_e32 v8, v8, v9
	v_mul_f32_e32 v9, s7, v9
	v_fmac_f32_e32 v8, v3, v10
	v_fmac_f32_e32 v9, v5, v10
	s_cbranch_execz .LBB70_19
.LBB70_17:                              ;   in Loop: Header=BB70_9 Depth=1
	s_andn2_b32 vcc_lo, exec_lo, s5
	s_cbranch_vccnz .LBB70_20
	s_branch .LBB70_23
.LBB70_18:                              ;   in Loop: Header=BB70_9 Depth=1
	s_andn2_b32 vcc_lo, exec_lo, s6
	s_cbranch_vccnz .LBB70_17
.LBB70_19:                              ;   in Loop: Header=BB70_9 Depth=1
	v_mov_b32_e32 v9, v5
	v_mov_b32_e32 v7, v6
	s_waitcnt vmcnt(0)
	v_mov_b32_e32 v8, v3
	s_add_i32 s1, s8, -1
	s_mov_b32 s16, s10
	s_cbranch_execz .LBB70_23
.LBB70_20:                              ;   in Loop: Header=BB70_9 Depth=1
	v_mov_b32_e32 v5, v9
	v_mov_b32_e32 v6, v7
	s_waitcnt vmcnt(0)
	v_mov_b32_e32 v3, v8
	s_mov_b32 s10, s16
	s_mov_b32 s8, s1
	s_branch .LBB70_9
.LBB70_21:
                                        ; implicit-def: $sgpr10_sgpr11
	s_load_dwordx4 s[12:15], s[4:5], 0x44
	s_branch .LBB70_2
.LBB70_22:
                                        ; implicit-def: $sgpr18_sgpr19
	s_branch .LBB70_5
.LBB70_23:
	v_div_scale_f32 v0, null, v9, v9, v8
	s_waitcnt vmcnt(0)
	v_rcp_f32_e32 v3, v0
	v_fma_f32 v4, -v0, v3, 1.0
	v_fmac_f32_e32 v3, v4, v3
	v_div_scale_f32 v4, vcc_lo, v8, v9, v8
	v_mul_f32_e32 v5, v4, v3
	v_fma_f32 v6, -v0, v5, v4
	v_fmac_f32_e32 v5, v6, v3
	v_fma_f32 v0, -v0, v5, v4
	v_div_fmas_f32 v0, v0, v3, v5
	v_div_fixup_f32 v0, v0, v9, v8
	global_store_dword v[1:2], v0, off
.LBB70_24:
	s_endpgm
	.section	.rodata,"a",@progbits
	.p2align	6, 0x0
	.amdhsa_kernel _ZL33flash_attn_stream_k_fixup_generalILi64ELi2ELi1EEvPfPK15HIP_vector_typeIfLj2EEiiiiS1_IjLj3EES5_S5_S5_
		.amdhsa_group_segment_fixed_size 0
		.amdhsa_private_segment_fixed_size 0
		.amdhsa_kernarg_size 336
		.amdhsa_user_sgpr_count 6
		.amdhsa_user_sgpr_private_segment_buffer 1
		.amdhsa_user_sgpr_dispatch_ptr 0
		.amdhsa_user_sgpr_queue_ptr 0
		.amdhsa_user_sgpr_kernarg_segment_ptr 1
		.amdhsa_user_sgpr_dispatch_id 0
		.amdhsa_user_sgpr_flat_scratch_init 0
		.amdhsa_user_sgpr_private_segment_size 0
		.amdhsa_wavefront_size32 1
		.amdhsa_uses_dynamic_stack 0
		.amdhsa_system_sgpr_private_segment_wavefront_offset 0
		.amdhsa_system_sgpr_workgroup_id_x 1
		.amdhsa_system_sgpr_workgroup_id_y 1
		.amdhsa_system_sgpr_workgroup_id_z 1
		.amdhsa_system_sgpr_workgroup_info 0
		.amdhsa_system_vgpr_workitem_id 0
		.amdhsa_next_free_vgpr 17
		.amdhsa_next_free_sgpr 31
		.amdhsa_reserve_vcc 1
		.amdhsa_reserve_flat_scratch 0
		.amdhsa_float_round_mode_32 0
		.amdhsa_float_round_mode_16_64 0
		.amdhsa_float_denorm_mode_32 3
		.amdhsa_float_denorm_mode_16_64 3
		.amdhsa_dx10_clamp 1
		.amdhsa_ieee_mode 1
		.amdhsa_fp16_overflow 0
		.amdhsa_workgroup_processor_mode 1
		.amdhsa_memory_ordered 1
		.amdhsa_forward_progress 1
		.amdhsa_shared_vgpr_count 0
		.amdhsa_exception_fp_ieee_invalid_op 0
		.amdhsa_exception_fp_denorm_src 0
		.amdhsa_exception_fp_ieee_div_zero 0
		.amdhsa_exception_fp_ieee_overflow 0
		.amdhsa_exception_fp_ieee_underflow 0
		.amdhsa_exception_fp_ieee_inexact 0
		.amdhsa_exception_int_div_zero 0
	.end_amdhsa_kernel
	.section	.text._ZL33flash_attn_stream_k_fixup_generalILi64ELi2ELi1EEvPfPK15HIP_vector_typeIfLj2EEiiiiS1_IjLj3EES5_S5_S5_,"axG",@progbits,_ZL33flash_attn_stream_k_fixup_generalILi64ELi2ELi1EEvPfPK15HIP_vector_typeIfLj2EEiiiiS1_IjLj3EES5_S5_S5_,comdat
.Lfunc_end70:
	.size	_ZL33flash_attn_stream_k_fixup_generalILi64ELi2ELi1EEvPfPK15HIP_vector_typeIfLj2EEiiiiS1_IjLj3EES5_S5_S5_, .Lfunc_end70-_ZL33flash_attn_stream_k_fixup_generalILi64ELi2ELi1EEvPfPK15HIP_vector_typeIfLj2EEiiiiS1_IjLj3EES5_S5_S5_
                                        ; -- End function
	.set _ZL33flash_attn_stream_k_fixup_generalILi64ELi2ELi1EEvPfPK15HIP_vector_typeIfLj2EEiiiiS1_IjLj3EES5_S5_S5_.num_vgpr, 17
	.set _ZL33flash_attn_stream_k_fixup_generalILi64ELi2ELi1EEvPfPK15HIP_vector_typeIfLj2EEiiiiS1_IjLj3EES5_S5_S5_.num_agpr, 0
	.set _ZL33flash_attn_stream_k_fixup_generalILi64ELi2ELi1EEvPfPK15HIP_vector_typeIfLj2EEiiiiS1_IjLj3EES5_S5_S5_.numbered_sgpr, 31
	.set _ZL33flash_attn_stream_k_fixup_generalILi64ELi2ELi1EEvPfPK15HIP_vector_typeIfLj2EEiiiiS1_IjLj3EES5_S5_S5_.num_named_barrier, 0
	.set _ZL33flash_attn_stream_k_fixup_generalILi64ELi2ELi1EEvPfPK15HIP_vector_typeIfLj2EEiiiiS1_IjLj3EES5_S5_S5_.private_seg_size, 0
	.set _ZL33flash_attn_stream_k_fixup_generalILi64ELi2ELi1EEvPfPK15HIP_vector_typeIfLj2EEiiiiS1_IjLj3EES5_S5_S5_.uses_vcc, 1
	.set _ZL33flash_attn_stream_k_fixup_generalILi64ELi2ELi1EEvPfPK15HIP_vector_typeIfLj2EEiiiiS1_IjLj3EES5_S5_S5_.uses_flat_scratch, 0
	.set _ZL33flash_attn_stream_k_fixup_generalILi64ELi2ELi1EEvPfPK15HIP_vector_typeIfLj2EEiiiiS1_IjLj3EES5_S5_S5_.has_dyn_sized_stack, 0
	.set _ZL33flash_attn_stream_k_fixup_generalILi64ELi2ELi1EEvPfPK15HIP_vector_typeIfLj2EEiiiiS1_IjLj3EES5_S5_S5_.has_recursion, 0
	.set _ZL33flash_attn_stream_k_fixup_generalILi64ELi2ELi1EEvPfPK15HIP_vector_typeIfLj2EEiiiiS1_IjLj3EES5_S5_S5_.has_indirect_call, 0
	.section	.AMDGPU.csdata,"",@progbits
; Kernel info:
; codeLenInByte = 2936
; TotalNumSgprs: 33
; NumVgprs: 17
; ScratchSize: 0
; MemoryBound: 0
; FloatMode: 240
; IeeeMode: 1
; LDSByteSize: 0 bytes/workgroup (compile time only)
; SGPRBlocks: 0
; VGPRBlocks: 2
; NumSGPRsForWavesPerEU: 33
; NumVGPRsForWavesPerEU: 17
; Occupancy: 16
; WaveLimiterHint : 0
; COMPUTE_PGM_RSRC2:SCRATCH_EN: 0
; COMPUTE_PGM_RSRC2:USER_SGPR: 6
; COMPUTE_PGM_RSRC2:TRAP_HANDLER: 0
; COMPUTE_PGM_RSRC2:TGID_X_EN: 1
; COMPUTE_PGM_RSRC2:TGID_Y_EN: 1
; COMPUTE_PGM_RSRC2:TGID_Z_EN: 1
; COMPUTE_PGM_RSRC2:TIDIG_COMP_CNT: 0
	.text
	.p2align	2                               ; -- Begin function __ockl_printf_append_string_n
	.type	__ockl_printf_append_string_n,@function
__ockl_printf_append_string_n:          ; @__ockl_printf_append_string_n
; %bb.0:
	s_waitcnt vmcnt(0) expcnt(0) lgkmcnt(0)
	v_mov_b32_e32 v3, v0
	v_mbcnt_lo_u32_b32 v36, -1, 0
	s_getpc_b64 s[4:5]
	s_add_u32 s4, s4, __FUNCTION__._ZL15flash_attn_tileILi64ELi64ELi8ELi8ELb1EEvPKcS1_S1_S1_S1_PKiPfP15HIP_vector_typeIfLj2EEffffjfiS5_IjLj3EEiiiiiiiiiiiliiliiiiil@rel32@lo+4
	s_addc_u32 s5, s5, __FUNCTION__._ZL15flash_attn_tileILi64ELi64ELi8ELi8ELb1EEvPKcS1_S1_S1_S1_PKiPfP15HIP_vector_typeIfLj2EEffffjfiS5_IjLj3EEiiiiiiiiiiiliiliiiiil@rel32@hi+12
	s_cmp_lg_u64 s[4:5], 0
	s_cbranch_scc0 .LBB71_87
; %bb.1:
	s_load_dwordx2 s[6:7], s[8:9], 0x50
	v_and_b32_e32 v0, -3, v3
	s_getpc_b64 s[4:5]
	s_add_u32 s4, s4, __FUNCTION__._ZL15flash_attn_tileILi64ELi64ELi8ELi8ELb1EEvPKcS1_S1_S1_S1_PKiPfP15HIP_vector_typeIfLj2EEffffjfiS5_IjLj3EEiiiiiiiiiiiliiliiiiil@rel32@lo+4
	s_addc_u32 s5, s5, __FUNCTION__._ZL15flash_attn_tileILi64ELi64ELi8ELi8ELb1EEvPKcS1_S1_S1_S1_PKiPfP15HIP_vector_typeIfLj2EEffffjfiS5_IjLj3EEiiiiiiiiiiiliiliiiiil@rel32@hi+12
	v_mov_b32_e32 v7, v1
	v_mov_b32_e32 v31, s5
	v_and_b32_e32 v2, 2, v3
	v_mov_b32_e32 v11, 0
	v_mov_b32_e32 v30, s4
	;; [unrolled: 1-line block ×5, first 2 shown]
	s_mov_b32 s15, 0
	s_mov_b32 s14, 0
	s_branch .LBB71_3
.LBB71_2:                               ;   in Loop: Header=BB71_3 Depth=1
	s_or_b32 exec_lo, exec_lo, s12
	v_sub_co_u32 v4, vcc_lo, v4, v32
	v_sub_co_ci_u32_e64 v5, null, v5, v33, vcc_lo
	v_add_co_u32 v30, s4, v30, v32
	v_add_co_ci_u32_e64 v31, null, v31, v33, s4
	v_cmp_eq_u64_e32 vcc_lo, 0, v[4:5]
	s_or_b32 s14, vcc_lo, s14
	s_andn2_b32 exec_lo, exec_lo, s14
	s_cbranch_execz .LBB71_85
.LBB71_3:                               ; =>This Loop Header: Depth=1
                                        ;     Child Loop BB71_6 Depth 2
                                        ;     Child Loop BB71_14 Depth 2
	;; [unrolled: 1-line block ×11, first 2 shown]
	v_cmp_gt_u64_e32 vcc_lo, 56, v[4:5]
	s_mov_b32 s5, exec_lo
	v_cndmask_b32_e32 v33, 0, v5, vcc_lo
	v_cndmask_b32_e32 v32, 56, v4, vcc_lo
	v_add_co_u32 v16, vcc_lo, v30, 8
	v_add_co_ci_u32_e64 v17, null, 0, v31, vcc_lo
	v_cmpx_gt_u64_e32 8, v[4:5]
	s_xor_b32 s5, exec_lo, s5
	s_cbranch_execz .LBB71_9
; %bb.4:                                ;   in Loop: Header=BB71_3 Depth=1
	v_mov_b32_e32 v8, 0
	v_mov_b32_e32 v9, 0
	s_mov_b32 s12, exec_lo
	v_cmpx_ne_u64_e32 0, v[4:5]
	s_cbranch_execz .LBB71_8
; %bb.5:                                ;   in Loop: Header=BB71_3 Depth=1
	v_lshlrev_b64 v[14:15], 3, v[32:33]
	v_mov_b32_e32 v8, 0
	v_mov_b32_e32 v15, v30
	;; [unrolled: 1-line block ×4, first 2 shown]
	s_mov_b64 s[10:11], 0
	s_mov_b32 s13, 0
	.p2align	6
.LBB71_6:                               ;   Parent Loop BB71_3 Depth=1
                                        ; =>  This Inner Loop Header: Depth=2
	global_load_ubyte v0, v[15:16], off
	v_mov_b32_e32 v18, s15
	v_add_co_u32 v15, vcc_lo, v15, 1
	v_add_co_ci_u32_e64 v16, null, 0, v16, vcc_lo
	s_waitcnt vmcnt(0)
	v_and_b32_e32 v17, 0xffff, v0
	v_lshlrev_b64 v[17:18], s10, v[17:18]
	s_add_u32 s10, s10, 8
	s_addc_u32 s11, s11, 0
	v_cmp_eq_u32_e64 s4, s10, v14
	v_or_b32_e32 v9, v18, v9
	v_or_b32_e32 v8, v17, v8
	s_or_b32 s13, s4, s13
	s_andn2_b32 exec_lo, exec_lo, s13
	s_cbranch_execnz .LBB71_6
; %bb.7:                                ;   in Loop: Header=BB71_3 Depth=1
	s_or_b32 exec_lo, exec_lo, s13
.LBB71_8:                               ;   in Loop: Header=BB71_3 Depth=1
	s_or_b32 exec_lo, exec_lo, s12
	v_mov_b32_e32 v16, v30
	v_mov_b32_e32 v17, v31
.LBB71_9:                               ;   in Loop: Header=BB71_3 Depth=1
	s_or_saveexec_b32 s4, s5
	v_mov_b32_e32 v0, 0
	s_xor_b32 exec_lo, exec_lo, s4
	s_cbranch_execz .LBB71_11
; %bb.10:                               ;   in Loop: Header=BB71_3 Depth=1
	global_load_dwordx2 v[8:9], v[30:31], off
	v_add_nc_u32_e32 v0, -8, v32
.LBB71_11:                              ;   in Loop: Header=BB71_3 Depth=1
	s_or_b32 exec_lo, exec_lo, s4
	v_add_co_u32 v18, s4, v16, 8
	v_add_co_ci_u32_e64 v19, null, 0, v17, s4
                                        ; implicit-def: $vgpr14_vgpr15
	s_mov_b32 s4, exec_lo
	v_cmpx_gt_u32_e32 8, v0
	s_xor_b32 s12, exec_lo, s4
	s_cbranch_execz .LBB71_17
; %bb.12:                               ;   in Loop: Header=BB71_3 Depth=1
	v_mov_b32_e32 v14, 0
	v_mov_b32_e32 v15, 0
	s_mov_b32 s13, exec_lo
	v_cmpx_ne_u32_e32 0, v0
	s_cbranch_execz .LBB71_16
; %bb.13:                               ;   in Loop: Header=BB71_3 Depth=1
	v_mov_b32_e32 v14, 0
	v_mov_b32_e32 v15, 0
	s_mov_b64 s[4:5], 0
	s_mov_b32 s16, 0
	s_mov_b64 s[10:11], 0
	.p2align	6
.LBB71_14:                              ;   Parent Loop BB71_3 Depth=1
                                        ; =>  This Inner Loop Header: Depth=2
	v_add_co_u32 v18, vcc_lo, v16, s10
	v_add_co_ci_u32_e64 v19, null, s11, v17, vcc_lo
	s_add_u32 s10, s10, 1
	s_addc_u32 s11, s11, 0
	v_cmp_eq_u32_e32 vcc_lo, s10, v0
	global_load_ubyte v10, v[18:19], off
	v_mov_b32_e32 v19, s15
	s_waitcnt vmcnt(0)
	v_and_b32_e32 v18, 0xffff, v10
	v_lshlrev_b64 v[18:19], s4, v[18:19]
	s_add_u32 s4, s4, 8
	s_addc_u32 s5, s5, 0
	s_or_b32 s16, vcc_lo, s16
	v_or_b32_e32 v15, v19, v15
	v_or_b32_e32 v14, v18, v14
	s_andn2_b32 exec_lo, exec_lo, s16
	s_cbranch_execnz .LBB71_14
; %bb.15:                               ;   in Loop: Header=BB71_3 Depth=1
	s_or_b32 exec_lo, exec_lo, s16
.LBB71_16:                              ;   in Loop: Header=BB71_3 Depth=1
	s_or_b32 exec_lo, exec_lo, s13
	v_mov_b32_e32 v19, v17
	v_mov_b32_e32 v18, v16
                                        ; implicit-def: $vgpr0
.LBB71_17:                              ;   in Loop: Header=BB71_3 Depth=1
	s_or_saveexec_b32 s4, s12
	v_mov_b32_e32 v10, 0
	s_xor_b32 exec_lo, exec_lo, s4
	s_cbranch_execz .LBB71_19
; %bb.18:                               ;   in Loop: Header=BB71_3 Depth=1
	global_load_dwordx2 v[14:15], v[16:17], off
	v_add_nc_u32_e32 v10, -8, v0
.LBB71_19:                              ;   in Loop: Header=BB71_3 Depth=1
	s_or_b32 exec_lo, exec_lo, s4
	v_add_co_u32 v20, s4, v18, 8
	v_add_co_ci_u32_e64 v21, null, 0, v19, s4
	s_mov_b32 s4, exec_lo
	v_cmpx_gt_u32_e32 8, v10
	s_xor_b32 s12, exec_lo, s4
	s_cbranch_execz .LBB71_25
; %bb.20:                               ;   in Loop: Header=BB71_3 Depth=1
	v_mov_b32_e32 v16, 0
	v_mov_b32_e32 v17, 0
	s_mov_b32 s13, exec_lo
	v_cmpx_ne_u32_e32 0, v10
	s_cbranch_execz .LBB71_24
; %bb.21:                               ;   in Loop: Header=BB71_3 Depth=1
	v_mov_b32_e32 v16, 0
	v_mov_b32_e32 v17, 0
	s_mov_b64 s[4:5], 0
	s_mov_b32 s16, 0
	s_mov_b64 s[10:11], 0
	.p2align	6
.LBB71_22:                              ;   Parent Loop BB71_3 Depth=1
                                        ; =>  This Inner Loop Header: Depth=2
	v_add_co_u32 v20, vcc_lo, v18, s10
	v_add_co_ci_u32_e64 v21, null, s11, v19, vcc_lo
	s_add_u32 s10, s10, 1
	s_addc_u32 s11, s11, 0
	v_cmp_eq_u32_e32 vcc_lo, s10, v10
	global_load_ubyte v0, v[20:21], off
	v_mov_b32_e32 v21, s15
	s_waitcnt vmcnt(0)
	v_and_b32_e32 v20, 0xffff, v0
	v_lshlrev_b64 v[20:21], s4, v[20:21]
	s_add_u32 s4, s4, 8
	s_addc_u32 s5, s5, 0
	s_or_b32 s16, vcc_lo, s16
	v_or_b32_e32 v17, v21, v17
	v_or_b32_e32 v16, v20, v16
	s_andn2_b32 exec_lo, exec_lo, s16
	s_cbranch_execnz .LBB71_22
; %bb.23:                               ;   in Loop: Header=BB71_3 Depth=1
	s_or_b32 exec_lo, exec_lo, s16
.LBB71_24:                              ;   in Loop: Header=BB71_3 Depth=1
	s_or_b32 exec_lo, exec_lo, s13
	v_mov_b32_e32 v21, v19
	v_mov_b32_e32 v20, v18
                                        ; implicit-def: $vgpr10
.LBB71_25:                              ;   in Loop: Header=BB71_3 Depth=1
	s_or_saveexec_b32 s4, s12
	v_mov_b32_e32 v0, 0
	s_xor_b32 exec_lo, exec_lo, s4
	s_cbranch_execz .LBB71_27
; %bb.26:                               ;   in Loop: Header=BB71_3 Depth=1
	global_load_dwordx2 v[16:17], v[18:19], off
	v_add_nc_u32_e32 v0, -8, v10
.LBB71_27:                              ;   in Loop: Header=BB71_3 Depth=1
	s_or_b32 exec_lo, exec_lo, s4
	v_add_co_u32 v22, s4, v20, 8
	v_add_co_ci_u32_e64 v23, null, 0, v21, s4
                                        ; implicit-def: $vgpr18_vgpr19
	s_mov_b32 s4, exec_lo
	v_cmpx_gt_u32_e32 8, v0
	s_xor_b32 s12, exec_lo, s4
	s_cbranch_execz .LBB71_33
; %bb.28:                               ;   in Loop: Header=BB71_3 Depth=1
	v_mov_b32_e32 v18, 0
	v_mov_b32_e32 v19, 0
	s_mov_b32 s13, exec_lo
	v_cmpx_ne_u32_e32 0, v0
	s_cbranch_execz .LBB71_32
; %bb.29:                               ;   in Loop: Header=BB71_3 Depth=1
	v_mov_b32_e32 v18, 0
	v_mov_b32_e32 v19, 0
	s_mov_b64 s[4:5], 0
	s_mov_b32 s16, 0
	s_mov_b64 s[10:11], 0
	.p2align	6
.LBB71_30:                              ;   Parent Loop BB71_3 Depth=1
                                        ; =>  This Inner Loop Header: Depth=2
	v_add_co_u32 v22, vcc_lo, v20, s10
	v_add_co_ci_u32_e64 v23, null, s11, v21, vcc_lo
	s_add_u32 s10, s10, 1
	s_addc_u32 s11, s11, 0
	v_cmp_eq_u32_e32 vcc_lo, s10, v0
	global_load_ubyte v10, v[22:23], off
	v_mov_b32_e32 v23, s15
	s_waitcnt vmcnt(0)
	v_and_b32_e32 v22, 0xffff, v10
	v_lshlrev_b64 v[22:23], s4, v[22:23]
	s_add_u32 s4, s4, 8
	s_addc_u32 s5, s5, 0
	s_or_b32 s16, vcc_lo, s16
	v_or_b32_e32 v19, v23, v19
	v_or_b32_e32 v18, v22, v18
	s_andn2_b32 exec_lo, exec_lo, s16
	s_cbranch_execnz .LBB71_30
; %bb.31:                               ;   in Loop: Header=BB71_3 Depth=1
	s_or_b32 exec_lo, exec_lo, s16
.LBB71_32:                              ;   in Loop: Header=BB71_3 Depth=1
	s_or_b32 exec_lo, exec_lo, s13
	v_mov_b32_e32 v23, v21
	v_mov_b32_e32 v22, v20
                                        ; implicit-def: $vgpr0
.LBB71_33:                              ;   in Loop: Header=BB71_3 Depth=1
	s_or_saveexec_b32 s4, s12
	v_mov_b32_e32 v10, 0
	s_xor_b32 exec_lo, exec_lo, s4
	s_cbranch_execz .LBB71_35
; %bb.34:                               ;   in Loop: Header=BB71_3 Depth=1
	global_load_dwordx2 v[18:19], v[20:21], off
	v_add_nc_u32_e32 v10, -8, v0
.LBB71_35:                              ;   in Loop: Header=BB71_3 Depth=1
	s_or_b32 exec_lo, exec_lo, s4
	v_add_co_u32 v24, s4, v22, 8
	v_add_co_ci_u32_e64 v25, null, 0, v23, s4
	s_mov_b32 s4, exec_lo
	v_cmpx_gt_u32_e32 8, v10
	s_xor_b32 s12, exec_lo, s4
	s_cbranch_execz .LBB71_41
; %bb.36:                               ;   in Loop: Header=BB71_3 Depth=1
	v_mov_b32_e32 v20, 0
	v_mov_b32_e32 v21, 0
	s_mov_b32 s13, exec_lo
	v_cmpx_ne_u32_e32 0, v10
	s_cbranch_execz .LBB71_40
; %bb.37:                               ;   in Loop: Header=BB71_3 Depth=1
	v_mov_b32_e32 v20, 0
	v_mov_b32_e32 v21, 0
	s_mov_b64 s[4:5], 0
	s_mov_b32 s16, 0
	s_mov_b64 s[10:11], 0
	.p2align	6
.LBB71_38:                              ;   Parent Loop BB71_3 Depth=1
                                        ; =>  This Inner Loop Header: Depth=2
	v_add_co_u32 v24, vcc_lo, v22, s10
	v_add_co_ci_u32_e64 v25, null, s11, v23, vcc_lo
	s_add_u32 s10, s10, 1
	s_addc_u32 s11, s11, 0
	v_cmp_eq_u32_e32 vcc_lo, s10, v10
	global_load_ubyte v0, v[24:25], off
	v_mov_b32_e32 v25, s15
	s_waitcnt vmcnt(0)
	v_and_b32_e32 v24, 0xffff, v0
	v_lshlrev_b64 v[24:25], s4, v[24:25]
	s_add_u32 s4, s4, 8
	s_addc_u32 s5, s5, 0
	s_or_b32 s16, vcc_lo, s16
	v_or_b32_e32 v21, v25, v21
	v_or_b32_e32 v20, v24, v20
	s_andn2_b32 exec_lo, exec_lo, s16
	s_cbranch_execnz .LBB71_38
; %bb.39:                               ;   in Loop: Header=BB71_3 Depth=1
	s_or_b32 exec_lo, exec_lo, s16
.LBB71_40:                              ;   in Loop: Header=BB71_3 Depth=1
	s_or_b32 exec_lo, exec_lo, s13
	v_mov_b32_e32 v25, v23
	v_mov_b32_e32 v24, v22
                                        ; implicit-def: $vgpr10
.LBB71_41:                              ;   in Loop: Header=BB71_3 Depth=1
	s_or_saveexec_b32 s4, s12
	v_mov_b32_e32 v0, 0
	s_xor_b32 exec_lo, exec_lo, s4
	s_cbranch_execz .LBB71_43
; %bb.42:                               ;   in Loop: Header=BB71_3 Depth=1
	global_load_dwordx2 v[20:21], v[22:23], off
	v_add_nc_u32_e32 v0, -8, v10
.LBB71_43:                              ;   in Loop: Header=BB71_3 Depth=1
	s_or_b32 exec_lo, exec_lo, s4
	v_add_co_u32 v26, s4, v24, 8
	v_add_co_ci_u32_e64 v27, null, 0, v25, s4
                                        ; implicit-def: $vgpr22_vgpr23
	s_mov_b32 s4, exec_lo
	v_cmpx_gt_u32_e32 8, v0
	s_xor_b32 s12, exec_lo, s4
	s_cbranch_execz .LBB71_49
; %bb.44:                               ;   in Loop: Header=BB71_3 Depth=1
	v_mov_b32_e32 v22, 0
	v_mov_b32_e32 v23, 0
	s_mov_b32 s13, exec_lo
	v_cmpx_ne_u32_e32 0, v0
	s_cbranch_execz .LBB71_48
; %bb.45:                               ;   in Loop: Header=BB71_3 Depth=1
	v_mov_b32_e32 v22, 0
	v_mov_b32_e32 v23, 0
	s_mov_b64 s[4:5], 0
	s_mov_b32 s16, 0
	s_mov_b64 s[10:11], 0
	.p2align	6
.LBB71_46:                              ;   Parent Loop BB71_3 Depth=1
                                        ; =>  This Inner Loop Header: Depth=2
	v_add_co_u32 v26, vcc_lo, v24, s10
	v_add_co_ci_u32_e64 v27, null, s11, v25, vcc_lo
	s_add_u32 s10, s10, 1
	s_addc_u32 s11, s11, 0
	v_cmp_eq_u32_e32 vcc_lo, s10, v0
	global_load_ubyte v10, v[26:27], off
	v_mov_b32_e32 v27, s15
	s_waitcnt vmcnt(0)
	v_and_b32_e32 v26, 0xffff, v10
	v_lshlrev_b64 v[26:27], s4, v[26:27]
	s_add_u32 s4, s4, 8
	s_addc_u32 s5, s5, 0
	s_or_b32 s16, vcc_lo, s16
	v_or_b32_e32 v23, v27, v23
	v_or_b32_e32 v22, v26, v22
	s_andn2_b32 exec_lo, exec_lo, s16
	s_cbranch_execnz .LBB71_46
; %bb.47:                               ;   in Loop: Header=BB71_3 Depth=1
	s_or_b32 exec_lo, exec_lo, s16
.LBB71_48:                              ;   in Loop: Header=BB71_3 Depth=1
	s_or_b32 exec_lo, exec_lo, s13
	v_mov_b32_e32 v27, v25
	v_mov_b32_e32 v26, v24
                                        ; implicit-def: $vgpr0
.LBB71_49:                              ;   in Loop: Header=BB71_3 Depth=1
	s_or_saveexec_b32 s4, s12
	v_mov_b32_e32 v10, 0
	s_xor_b32 exec_lo, exec_lo, s4
	s_cbranch_execz .LBB71_51
; %bb.50:                               ;   in Loop: Header=BB71_3 Depth=1
	global_load_dwordx2 v[22:23], v[24:25], off
	v_add_nc_u32_e32 v10, -8, v0
.LBB71_51:                              ;   in Loop: Header=BB71_3 Depth=1
	s_or_b32 exec_lo, exec_lo, s4
	s_mov_b32 s4, exec_lo
	v_cmpx_gt_u32_e32 8, v10
	s_xor_b32 s10, exec_lo, s4
	s_cbranch_execz .LBB71_57
; %bb.52:                               ;   in Loop: Header=BB71_3 Depth=1
	v_mov_b32_e32 v24, 0
	v_mov_b32_e32 v25, 0
	s_mov_b32 s11, exec_lo
	v_cmpx_ne_u32_e32 0, v10
	s_cbranch_execz .LBB71_56
; %bb.53:                               ;   in Loop: Header=BB71_3 Depth=1
	v_mov_b32_e32 v24, 0
	v_mov_b32_e32 v25, 0
	s_mov_b64 s[4:5], 0
	s_mov_b32 s12, 0
	.p2align	6
.LBB71_54:                              ;   Parent Loop BB71_3 Depth=1
                                        ; =>  This Inner Loop Header: Depth=2
	global_load_ubyte v0, v[26:27], off
	v_mov_b32_e32 v29, s15
	v_add_nc_u32_e32 v10, -1, v10
	v_add_co_u32 v26, vcc_lo, v26, 1
	v_add_co_ci_u32_e64 v27, null, 0, v27, vcc_lo
	v_cmp_eq_u32_e32 vcc_lo, 0, v10
	s_waitcnt vmcnt(0)
	v_and_b32_e32 v28, 0xffff, v0
	v_lshlrev_b64 v[28:29], s4, v[28:29]
	s_add_u32 s4, s4, 8
	s_addc_u32 s5, s5, 0
	s_or_b32 s12, vcc_lo, s12
	v_or_b32_e32 v25, v29, v25
	v_or_b32_e32 v24, v28, v24
	s_andn2_b32 exec_lo, exec_lo, s12
	s_cbranch_execnz .LBB71_54
; %bb.55:                               ;   in Loop: Header=BB71_3 Depth=1
	s_or_b32 exec_lo, exec_lo, s12
.LBB71_56:                              ;   in Loop: Header=BB71_3 Depth=1
	s_or_b32 exec_lo, exec_lo, s11
                                        ; implicit-def: $vgpr26_vgpr27
.LBB71_57:                              ;   in Loop: Header=BB71_3 Depth=1
	s_andn2_saveexec_b32 s4, s10
	s_cbranch_execz .LBB71_59
; %bb.58:                               ;   in Loop: Header=BB71_3 Depth=1
	global_load_dwordx2 v[24:25], v[26:27], off
.LBB71_59:                              ;   in Loop: Header=BB71_3 Depth=1
	s_or_b32 exec_lo, exec_lo, s4
	v_readfirstlane_b32 s4, v36
	v_mov_b32_e32 v34, 0
	v_mov_b32_e32 v35, 0
	v_cmp_eq_u32_e64 s4, s4, v36
	s_and_saveexec_b32 s5, s4
	s_cbranch_execz .LBB71_65
; %bb.60:                               ;   in Loop: Header=BB71_3 Depth=1
	s_waitcnt lgkmcnt(0)
	global_load_dwordx2 v[28:29], v11, s[6:7] offset:24 glc dlc
	s_waitcnt vmcnt(0)
	buffer_gl1_inv
	buffer_gl0_inv
	s_clause 0x1
	global_load_dwordx2 v[26:27], v11, s[6:7] offset:40
	global_load_dwordx2 v[34:35], v11, s[6:7]
	s_mov_b32 s10, exec_lo
	s_waitcnt vmcnt(1)
	v_and_b32_e32 v0, v27, v29
	v_and_b32_e32 v10, v26, v28
	v_mul_lo_u32 v0, v0, 24
	v_mul_hi_u32 v26, v10, 24
	v_mul_lo_u32 v10, v10, 24
	v_add_nc_u32_e32 v0, v26, v0
	s_waitcnt vmcnt(0)
	v_add_co_u32 v26, vcc_lo, v34, v10
	v_add_co_ci_u32_e64 v27, null, v35, v0, vcc_lo
	global_load_dwordx2 v[26:27], v[26:27], off glc dlc
	s_waitcnt vmcnt(0)
	global_atomic_cmpswap_x2 v[34:35], v11, v[26:29], s[6:7] offset:24 glc
	s_waitcnt vmcnt(0)
	buffer_gl1_inv
	buffer_gl0_inv
	v_cmpx_ne_u64_e64 v[34:35], v[28:29]
	s_cbranch_execz .LBB71_64
; %bb.61:                               ;   in Loop: Header=BB71_3 Depth=1
	s_mov_b32 s11, 0
	.p2align	6
.LBB71_62:                              ;   Parent Loop BB71_3 Depth=1
                                        ; =>  This Inner Loop Header: Depth=2
	s_sleep 1
	s_clause 0x1
	global_load_dwordx2 v[26:27], v11, s[6:7] offset:40
	global_load_dwordx2 v[37:38], v11, s[6:7]
	v_mov_b32_e32 v28, v34
	v_mov_b32_e32 v29, v35
	s_waitcnt vmcnt(1)
	v_and_b32_e32 v0, v26, v28
	v_and_b32_e32 v10, v27, v29
	s_waitcnt vmcnt(0)
	v_mad_u64_u32 v[34:35], null, v0, 24, v[37:38]
	v_mov_b32_e32 v0, v35
	v_mad_u64_u32 v[26:27], null, v10, 24, v[0:1]
	v_mov_b32_e32 v35, v26
	global_load_dwordx2 v[26:27], v[34:35], off glc dlc
	s_waitcnt vmcnt(0)
	global_atomic_cmpswap_x2 v[34:35], v11, v[26:29], s[6:7] offset:24 glc
	s_waitcnt vmcnt(0)
	buffer_gl1_inv
	buffer_gl0_inv
	v_cmp_eq_u64_e32 vcc_lo, v[34:35], v[28:29]
	s_or_b32 s11, vcc_lo, s11
	s_andn2_b32 exec_lo, exec_lo, s11
	s_cbranch_execnz .LBB71_62
; %bb.63:                               ;   in Loop: Header=BB71_3 Depth=1
	s_or_b32 exec_lo, exec_lo, s11
.LBB71_64:                              ;   in Loop: Header=BB71_3 Depth=1
	s_or_b32 exec_lo, exec_lo, s10
.LBB71_65:                              ;   in Loop: Header=BB71_3 Depth=1
	s_or_b32 exec_lo, exec_lo, s5
	s_waitcnt lgkmcnt(0)
	s_clause 0x1
	global_load_dwordx2 v[37:38], v11, s[6:7] offset:40
	global_load_dwordx4 v[26:29], v11, s[6:7]
	v_readfirstlane_b32 s11, v35
	v_readfirstlane_b32 s10, v34
	s_mov_b32 s5, exec_lo
	s_waitcnt vmcnt(1)
	v_readfirstlane_b32 s12, v37
	v_readfirstlane_b32 s13, v38
	s_and_b64 s[12:13], s[12:13], s[10:11]
	s_mul_i32 s16, s13, 24
	s_mul_hi_u32 s17, s12, 24
	s_mul_i32 s18, s12, 24
	s_add_i32 s17, s17, s16
	s_waitcnt vmcnt(0)
	v_add_co_u32 v34, vcc_lo, v26, s18
	v_add_co_ci_u32_e64 v35, null, s17, v27, vcc_lo
	s_and_saveexec_b32 s16, s4
	s_cbranch_execz .LBB71_67
; %bb.66:                               ;   in Loop: Header=BB71_3 Depth=1
	v_mov_b32_e32 v10, s5
	global_store_dwordx4 v[34:35], v[10:13], off offset:8
.LBB71_67:                              ;   in Loop: Header=BB71_3 Depth=1
	s_or_b32 exec_lo, exec_lo, s16
	v_cmp_gt_u64_e32 vcc_lo, 57, v[4:5]
	s_lshl_b64 s[12:13], s[12:13], 12
	v_and_b32_e32 v6, 0xffffff1f, v6
	v_lshl_add_u32 v37, v32, 2, 28
	v_cndmask_b32_e32 v10, 0, v2, vcc_lo
	v_add_co_u32 v0, vcc_lo, v28, s12
	v_add_co_ci_u32_e64 v28, null, s13, v29, vcc_lo
	v_or_b32_e32 v6, v6, v10
	v_lshlrev_b32_e32 v29, 6, v36
	v_readfirstlane_b32 s12, v0
	v_readfirstlane_b32 s13, v28
	v_and_or_b32 v6, 0x1e0, v37, v6
	global_store_dwordx4 v29, v[14:17], s[12:13] offset:16
	global_store_dwordx4 v29, v[6:9], s[12:13]
	global_store_dwordx4 v29, v[18:21], s[12:13] offset:32
	global_store_dwordx4 v29, v[22:25], s[12:13] offset:48
	s_and_saveexec_b32 s5, s4
	s_cbranch_execz .LBB71_75
; %bb.68:                               ;   in Loop: Header=BB71_3 Depth=1
	s_clause 0x1
	global_load_dwordx2 v[18:19], v11, s[6:7] offset:32 glc dlc
	global_load_dwordx2 v[6:7], v11, s[6:7] offset:40
	v_mov_b32_e32 v16, s10
	v_mov_b32_e32 v17, s11
	s_waitcnt vmcnt(0)
	v_readfirstlane_b32 s12, v6
	v_readfirstlane_b32 s13, v7
	s_and_b64 s[12:13], s[12:13], s[10:11]
	s_mul_i32 s13, s13, 24
	s_mul_hi_u32 s16, s12, 24
	s_mul_i32 s12, s12, 24
	s_add_i32 s16, s16, s13
	v_add_co_u32 v14, vcc_lo, v26, s12
	v_add_co_ci_u32_e64 v15, null, s16, v27, vcc_lo
	s_mov_b32 s12, exec_lo
	global_store_dwordx2 v[14:15], v[18:19], off
	s_waitcnt_vscnt null, 0x0
	global_atomic_cmpswap_x2 v[8:9], v11, v[16:19], s[6:7] offset:32 glc
	s_waitcnt vmcnt(0)
	v_cmpx_ne_u64_e64 v[8:9], v[18:19]
	s_cbranch_execz .LBB71_71
; %bb.69:                               ;   in Loop: Header=BB71_3 Depth=1
	s_mov_b32 s13, 0
.LBB71_70:                              ;   Parent Loop BB71_3 Depth=1
                                        ; =>  This Inner Loop Header: Depth=2
	v_mov_b32_e32 v6, s10
	v_mov_b32_e32 v7, s11
	s_sleep 1
	global_store_dwordx2 v[14:15], v[8:9], off
	s_waitcnt_vscnt null, 0x0
	global_atomic_cmpswap_x2 v[6:7], v11, v[6:9], s[6:7] offset:32 glc
	s_waitcnt vmcnt(0)
	v_cmp_eq_u64_e32 vcc_lo, v[6:7], v[8:9]
	v_mov_b32_e32 v9, v7
	v_mov_b32_e32 v8, v6
	s_or_b32 s13, vcc_lo, s13
	s_andn2_b32 exec_lo, exec_lo, s13
	s_cbranch_execnz .LBB71_70
.LBB71_71:                              ;   in Loop: Header=BB71_3 Depth=1
	s_or_b32 exec_lo, exec_lo, s12
	global_load_dwordx2 v[6:7], v11, s[6:7] offset:16
	s_mov_b32 s13, exec_lo
	s_mov_b32 s12, exec_lo
	v_mbcnt_lo_u32_b32 v8, s13, 0
	v_cmpx_eq_u32_e32 0, v8
	s_cbranch_execz .LBB71_73
; %bb.72:                               ;   in Loop: Header=BB71_3 Depth=1
	s_bcnt1_i32_b32 s13, s13
	v_mov_b32_e32 v10, s13
	s_waitcnt vmcnt(0)
	global_atomic_add_x2 v[6:7], v[10:11], off offset:8
.LBB71_73:                              ;   in Loop: Header=BB71_3 Depth=1
	s_or_b32 exec_lo, exec_lo, s12
	s_waitcnt vmcnt(0)
	global_load_dwordx2 v[8:9], v[6:7], off offset:16
	s_waitcnt vmcnt(0)
	v_cmp_eq_u64_e32 vcc_lo, 0, v[8:9]
	s_cbranch_vccnz .LBB71_75
; %bb.74:                               ;   in Loop: Header=BB71_3 Depth=1
	global_load_dword v10, v[6:7], off offset:24
	s_waitcnt vmcnt(0)
	v_readfirstlane_b32 s12, v10
	s_waitcnt_vscnt null, 0x0
	global_store_dwordx2 v[8:9], v[10:11], off
	s_and_b32 m0, s12, 0x7fffff
	s_sendmsg sendmsg(MSG_INTERRUPT)
.LBB71_75:                              ;   in Loop: Header=BB71_3 Depth=1
	s_or_b32 exec_lo, exec_lo, s5
	v_add_co_u32 v6, vcc_lo, v0, v29
	v_add_co_ci_u32_e64 v7, null, 0, v28, vcc_lo
	s_branch .LBB71_79
	.p2align	6
.LBB71_76:                              ;   in Loop: Header=BB71_79 Depth=2
	s_or_b32 exec_lo, exec_lo, s5
	v_readfirstlane_b32 s5, v0
	s_cmp_eq_u32 s5, 0
	s_cbranch_scc1 .LBB71_78
; %bb.77:                               ;   in Loop: Header=BB71_79 Depth=2
	s_sleep 1
	s_cbranch_execnz .LBB71_79
	s_branch .LBB71_81
	.p2align	6
.LBB71_78:                              ;   in Loop: Header=BB71_3 Depth=1
	s_branch .LBB71_81
.LBB71_79:                              ;   Parent Loop BB71_3 Depth=1
                                        ; =>  This Inner Loop Header: Depth=2
	v_mov_b32_e32 v0, 1
	s_and_saveexec_b32 s5, s4
	s_cbranch_execz .LBB71_76
; %bb.80:                               ;   in Loop: Header=BB71_79 Depth=2
	global_load_dword v0, v[34:35], off offset:20 glc dlc
	s_waitcnt vmcnt(0)
	buffer_gl1_inv
	buffer_gl0_inv
	v_and_b32_e32 v0, 1, v0
	s_branch .LBB71_76
.LBB71_81:                              ;   in Loop: Header=BB71_3 Depth=1
	global_load_dwordx2 v[6:7], v[6:7], off
	s_and_saveexec_b32 s12, s4
	s_cbranch_execz .LBB71_2
; %bb.82:                               ;   in Loop: Header=BB71_3 Depth=1
	s_clause 0x2
	global_load_dwordx2 v[8:9], v11, s[6:7] offset:40
	global_load_dwordx2 v[18:19], v11, s[6:7] offset:24 glc dlc
	global_load_dwordx2 v[14:15], v11, s[6:7]
	s_waitcnt vmcnt(2)
	v_readfirstlane_b32 s16, v8
	v_readfirstlane_b32 s17, v9
	s_add_u32 s13, s16, 1
	s_addc_u32 s18, s17, 0
	s_add_u32 s4, s13, s10
	s_addc_u32 s5, s18, s11
	s_cmp_eq_u64 s[4:5], 0
	s_cselect_b32 s5, s18, s5
	s_cselect_b32 s4, s13, s4
	v_mov_b32_e32 v17, s5
	s_and_b64 s[10:11], s[4:5], s[16:17]
	v_mov_b32_e32 v16, s4
	s_mul_i32 s11, s11, 24
	s_mul_hi_u32 s13, s10, 24
	s_mul_i32 s10, s10, 24
	s_add_i32 s13, s13, s11
	s_waitcnt vmcnt(0)
	v_add_co_u32 v8, vcc_lo, v14, s10
	v_add_co_ci_u32_e64 v9, null, s13, v15, vcc_lo
	global_store_dwordx2 v[8:9], v[18:19], off
	s_waitcnt_vscnt null, 0x0
	global_atomic_cmpswap_x2 v[16:17], v11, v[16:19], s[6:7] offset:24 glc
	s_waitcnt vmcnt(0)
	v_cmp_ne_u64_e32 vcc_lo, v[16:17], v[18:19]
	s_and_b32 exec_lo, exec_lo, vcc_lo
	s_cbranch_execz .LBB71_2
; %bb.83:                               ;   in Loop: Header=BB71_3 Depth=1
	s_mov_b32 s10, 0
.LBB71_84:                              ;   Parent Loop BB71_3 Depth=1
                                        ; =>  This Inner Loop Header: Depth=2
	v_mov_b32_e32 v14, s4
	v_mov_b32_e32 v15, s5
	s_sleep 1
	global_store_dwordx2 v[8:9], v[16:17], off
	s_waitcnt_vscnt null, 0x0
	global_atomic_cmpswap_x2 v[14:15], v11, v[14:17], s[6:7] offset:24 glc
	s_waitcnt vmcnt(0)
	v_cmp_eq_u64_e32 vcc_lo, v[14:15], v[16:17]
	v_mov_b32_e32 v17, v15
	v_mov_b32_e32 v16, v14
	s_or_b32 s10, vcc_lo, s10
	s_andn2_b32 exec_lo, exec_lo, s10
	s_cbranch_execnz .LBB71_84
	s_branch .LBB71_2
.LBB71_85:
	s_or_b32 exec_lo, exec_lo, s14
.LBB71_86:
	s_waitcnt vmcnt(0)
	v_mov_b32_e32 v0, v6
	v_mov_b32_e32 v1, v7
	s_waitcnt lgkmcnt(0)
	s_setpc_b64 s[30:31]
.LBB71_87:
                                        ; implicit-def: $vgpr6_vgpr7
	s_cbranch_execz .LBB71_86
; %bb.88:
	s_load_dwordx2 s[6:7], s[8:9], 0x50
	v_readfirstlane_b32 s4, v36
	v_mov_b32_e32 v8, 0
	v_mov_b32_e32 v9, 0
	v_cmp_eq_u32_e64 s4, s4, v36
	s_and_saveexec_b32 s5, s4
	s_cbranch_execz .LBB71_94
; %bb.89:
	v_mov_b32_e32 v0, 0
	s_mov_b32 s8, exec_lo
	s_waitcnt lgkmcnt(0)
	global_load_dwordx2 v[6:7], v0, s[6:7] offset:24 glc dlc
	s_waitcnt vmcnt(0)
	buffer_gl1_inv
	buffer_gl0_inv
	s_clause 0x1
	global_load_dwordx2 v[4:5], v0, s[6:7] offset:40
	global_load_dwordx2 v[8:9], v0, s[6:7]
	s_waitcnt vmcnt(1)
	v_and_b32_e32 v2, v5, v7
	v_and_b32_e32 v4, v4, v6
	v_mul_lo_u32 v2, v2, 24
	v_mul_hi_u32 v5, v4, 24
	v_mul_lo_u32 v4, v4, 24
	v_add_nc_u32_e32 v2, v5, v2
	s_waitcnt vmcnt(0)
	v_add_co_u32 v4, vcc_lo, v8, v4
	v_add_co_ci_u32_e64 v5, null, v9, v2, vcc_lo
	global_load_dwordx2 v[4:5], v[4:5], off glc dlc
	s_waitcnt vmcnt(0)
	global_atomic_cmpswap_x2 v[8:9], v0, v[4:7], s[6:7] offset:24 glc
	s_waitcnt vmcnt(0)
	buffer_gl1_inv
	buffer_gl0_inv
	v_cmpx_ne_u64_e64 v[8:9], v[6:7]
	s_cbranch_execz .LBB71_93
; %bb.90:
	s_mov_b32 s9, 0
	.p2align	6
.LBB71_91:                              ; =>This Inner Loop Header: Depth=1
	s_sleep 1
	s_clause 0x1
	global_load_dwordx2 v[4:5], v0, s[6:7] offset:40
	global_load_dwordx2 v[10:11], v0, s[6:7]
	v_mov_b32_e32 v6, v8
	v_mov_b32_e32 v7, v9
	s_waitcnt vmcnt(1)
	v_and_b32_e32 v2, v4, v6
	v_and_b32_e32 v4, v5, v7
	s_waitcnt vmcnt(0)
	v_mad_u64_u32 v[8:9], null, v2, 24, v[10:11]
	v_mov_b32_e32 v2, v9
	v_mad_u64_u32 v[4:5], null, v4, 24, v[2:3]
	v_mov_b32_e32 v9, v4
	global_load_dwordx2 v[4:5], v[8:9], off glc dlc
	s_waitcnt vmcnt(0)
	global_atomic_cmpswap_x2 v[8:9], v0, v[4:7], s[6:7] offset:24 glc
	s_waitcnt vmcnt(0)
	buffer_gl1_inv
	buffer_gl0_inv
	v_cmp_eq_u64_e32 vcc_lo, v[8:9], v[6:7]
	s_or_b32 s9, vcc_lo, s9
	s_andn2_b32 exec_lo, exec_lo, s9
	s_cbranch_execnz .LBB71_91
; %bb.92:
	s_or_b32 exec_lo, exec_lo, s9
.LBB71_93:
	s_or_b32 exec_lo, exec_lo, s8
.LBB71_94:
	s_or_b32 exec_lo, exec_lo, s5
	v_mov_b32_e32 v2, 0
	v_readfirstlane_b32 s9, v9
	v_readfirstlane_b32 s8, v8
	s_mov_b32 s5, exec_lo
	s_waitcnt lgkmcnt(0)
	s_clause 0x1
	global_load_dwordx2 v[10:11], v2, s[6:7] offset:40
	global_load_dwordx4 v[4:7], v2, s[6:7]
	s_waitcnt vmcnt(1)
	v_readfirstlane_b32 s10, v10
	v_readfirstlane_b32 s11, v11
	s_and_b64 s[10:11], s[10:11], s[8:9]
	s_mul_i32 s12, s11, 24
	s_mul_hi_u32 s13, s10, 24
	s_mul_i32 s14, s10, 24
	s_add_i32 s13, s13, s12
	s_waitcnt vmcnt(0)
	v_add_co_u32 v8, vcc_lo, v4, s14
	v_add_co_ci_u32_e64 v9, null, s13, v5, vcc_lo
	s_and_saveexec_b32 s12, s4
	s_cbranch_execz .LBB71_96
; %bb.95:
	v_mov_b32_e32 v10, s5
	v_mov_b32_e32 v11, v2
	;; [unrolled: 1-line block ×4, first 2 shown]
	global_store_dwordx4 v[8:9], v[10:13], off offset:8
.LBB71_96:
	s_or_b32 exec_lo, exec_lo, s12
	s_lshl_b64 s[10:11], s[10:11], 12
	v_lshlrev_b32_e32 v14, 6, v36
	v_add_co_u32 v6, vcc_lo, v6, s10
	v_add_co_ci_u32_e64 v7, null, s11, v7, vcc_lo
	s_mov_b32 s12, 0
	v_readfirstlane_b32 s10, v6
	v_add_co_u32 v6, vcc_lo, v6, v14
	s_mov_b32 s13, s12
	s_mov_b32 s14, s12
	;; [unrolled: 1-line block ×3, first 2 shown]
	v_and_or_b32 v0, 0xffffff1f, v3, 32
	v_mov_b32_e32 v3, v2
	v_readfirstlane_b32 s11, v7
	v_mov_b32_e32 v10, s12
	v_add_co_ci_u32_e64 v7, null, 0, v7, vcc_lo
	v_mov_b32_e32 v11, s13
	v_mov_b32_e32 v12, s14
	;; [unrolled: 1-line block ×3, first 2 shown]
	global_store_dwordx4 v14, v[0:3], s[10:11]
	global_store_dwordx4 v14, v[10:13], s[10:11] offset:16
	global_store_dwordx4 v14, v[10:13], s[10:11] offset:32
	;; [unrolled: 1-line block ×3, first 2 shown]
	s_and_saveexec_b32 s5, s4
	s_cbranch_execz .LBB71_104
; %bb.97:
	v_mov_b32_e32 v10, 0
	v_mov_b32_e32 v11, s8
	;; [unrolled: 1-line block ×3, first 2 shown]
	s_mov_b32 s10, exec_lo
	s_clause 0x1
	global_load_dwordx2 v[13:14], v10, s[6:7] offset:32 glc dlc
	global_load_dwordx2 v[0:1], v10, s[6:7] offset:40
	s_waitcnt vmcnt(0)
	v_and_b32_e32 v1, s9, v1
	v_and_b32_e32 v0, s8, v0
	v_mul_lo_u32 v1, v1, 24
	v_mul_hi_u32 v2, v0, 24
	v_mul_lo_u32 v0, v0, 24
	v_add_nc_u32_e32 v1, v2, v1
	v_add_co_u32 v4, vcc_lo, v4, v0
	v_add_co_ci_u32_e64 v5, null, v5, v1, vcc_lo
	global_store_dwordx2 v[4:5], v[13:14], off
	s_waitcnt_vscnt null, 0x0
	global_atomic_cmpswap_x2 v[2:3], v10, v[11:14], s[6:7] offset:32 glc
	s_waitcnt vmcnt(0)
	v_cmpx_ne_u64_e64 v[2:3], v[13:14]
	s_cbranch_execz .LBB71_100
; %bb.98:
	s_mov_b32 s11, 0
.LBB71_99:                              ; =>This Inner Loop Header: Depth=1
	v_mov_b32_e32 v0, s8
	v_mov_b32_e32 v1, s9
	s_sleep 1
	global_store_dwordx2 v[4:5], v[2:3], off
	s_waitcnt_vscnt null, 0x0
	global_atomic_cmpswap_x2 v[0:1], v10, v[0:3], s[6:7] offset:32 glc
	s_waitcnt vmcnt(0)
	v_cmp_eq_u64_e32 vcc_lo, v[0:1], v[2:3]
	v_mov_b32_e32 v3, v1
	v_mov_b32_e32 v2, v0
	s_or_b32 s11, vcc_lo, s11
	s_andn2_b32 exec_lo, exec_lo, s11
	s_cbranch_execnz .LBB71_99
.LBB71_100:
	s_or_b32 exec_lo, exec_lo, s10
	v_mov_b32_e32 v3, 0
	s_mov_b32 s11, exec_lo
	s_mov_b32 s10, exec_lo
	v_mbcnt_lo_u32_b32 v2, s11, 0
	global_load_dwordx2 v[0:1], v3, s[6:7] offset:16
	v_cmpx_eq_u32_e32 0, v2
	s_cbranch_execz .LBB71_102
; %bb.101:
	s_bcnt1_i32_b32 s11, s11
	v_mov_b32_e32 v2, s11
	s_waitcnt vmcnt(0)
	global_atomic_add_x2 v[0:1], v[2:3], off offset:8
.LBB71_102:
	s_or_b32 exec_lo, exec_lo, s10
	s_waitcnt vmcnt(0)
	global_load_dwordx2 v[2:3], v[0:1], off offset:16
	s_waitcnt vmcnt(0)
	v_cmp_eq_u64_e32 vcc_lo, 0, v[2:3]
	s_cbranch_vccnz .LBB71_104
; %bb.103:
	global_load_dword v0, v[0:1], off offset:24
	v_mov_b32_e32 v1, 0
	s_waitcnt vmcnt(0)
	v_readfirstlane_b32 s10, v0
	s_waitcnt_vscnt null, 0x0
	global_store_dwordx2 v[2:3], v[0:1], off
	s_and_b32 m0, s10, 0x7fffff
	s_sendmsg sendmsg(MSG_INTERRUPT)
.LBB71_104:
	s_or_b32 exec_lo, exec_lo, s5
	s_branch .LBB71_108
	.p2align	6
.LBB71_105:                             ;   in Loop: Header=BB71_108 Depth=1
	s_or_b32 exec_lo, exec_lo, s5
	v_readfirstlane_b32 s5, v0
	s_cmp_eq_u32 s5, 0
	s_cbranch_scc1 .LBB71_107
; %bb.106:                              ;   in Loop: Header=BB71_108 Depth=1
	s_sleep 1
	s_cbranch_execnz .LBB71_108
	s_branch .LBB71_110
	.p2align	6
.LBB71_107:
	s_branch .LBB71_110
.LBB71_108:                             ; =>This Inner Loop Header: Depth=1
	v_mov_b32_e32 v0, 1
	s_and_saveexec_b32 s5, s4
	s_cbranch_execz .LBB71_105
; %bb.109:                              ;   in Loop: Header=BB71_108 Depth=1
	global_load_dword v0, v[8:9], off offset:20 glc dlc
	s_waitcnt vmcnt(0)
	buffer_gl1_inv
	buffer_gl0_inv
	v_and_b32_e32 v0, 1, v0
	s_branch .LBB71_105
.LBB71_110:
	global_load_dwordx2 v[6:7], v[6:7], off
	s_and_saveexec_b32 s10, s4
	s_cbranch_execz .LBB71_114
; %bb.111:
	v_mov_b32_e32 v8, 0
	s_clause 0x2
	global_load_dwordx2 v[0:1], v8, s[6:7] offset:40
	global_load_dwordx2 v[11:12], v8, s[6:7] offset:24 glc dlc
	global_load_dwordx2 v[2:3], v8, s[6:7]
	s_waitcnt vmcnt(2)
	v_readfirstlane_b32 s12, v0
	v_readfirstlane_b32 s13, v1
	s_add_u32 s11, s12, 1
	s_addc_u32 s14, s13, 0
	s_add_u32 s4, s11, s8
	s_addc_u32 s5, s14, s9
	s_cmp_eq_u64 s[4:5], 0
	s_cselect_b32 s5, s14, s5
	s_cselect_b32 s4, s11, s4
	v_mov_b32_e32 v10, s5
	s_and_b64 s[8:9], s[4:5], s[12:13]
	v_mov_b32_e32 v9, s4
	s_mul_i32 s9, s9, 24
	s_mul_hi_u32 s11, s8, 24
	s_mul_i32 s8, s8, 24
	s_add_i32 s11, s11, s9
	s_waitcnt vmcnt(0)
	v_add_co_u32 v4, vcc_lo, v2, s8
	v_add_co_ci_u32_e64 v5, null, s11, v3, vcc_lo
	global_store_dwordx2 v[4:5], v[11:12], off
	s_waitcnt_vscnt null, 0x0
	global_atomic_cmpswap_x2 v[2:3], v8, v[9:12], s[6:7] offset:24 glc
	s_waitcnt vmcnt(0)
	v_cmp_ne_u64_e32 vcc_lo, v[2:3], v[11:12]
	s_and_b32 exec_lo, exec_lo, vcc_lo
	s_cbranch_execz .LBB71_114
; %bb.112:
	s_mov_b32 s8, 0
.LBB71_113:                             ; =>This Inner Loop Header: Depth=1
	v_mov_b32_e32 v0, s4
	v_mov_b32_e32 v1, s5
	s_sleep 1
	global_store_dwordx2 v[4:5], v[2:3], off
	s_waitcnt_vscnt null, 0x0
	global_atomic_cmpswap_x2 v[0:1], v8, v[0:3], s[6:7] offset:24 glc
	s_waitcnt vmcnt(0)
	v_cmp_eq_u64_e32 vcc_lo, v[0:1], v[2:3]
	v_mov_b32_e32 v3, v1
	v_mov_b32_e32 v2, v0
	s_or_b32 s8, vcc_lo, s8
	s_andn2_b32 exec_lo, exec_lo, s8
	s_cbranch_execnz .LBB71_113
.LBB71_114:
	s_or_b32 exec_lo, exec_lo, s10
	s_waitcnt vmcnt(0)
	v_mov_b32_e32 v0, v6
	v_mov_b32_e32 v1, v7
	s_waitcnt lgkmcnt(0)
	s_setpc_b64 s[30:31]
.Lfunc_end71:
	.size	__ockl_printf_append_string_n, .Lfunc_end71-__ockl_printf_append_string_n
                                        ; -- End function
	.set .L__ockl_printf_append_string_n.num_vgpr, 39
	.set .L__ockl_printf_append_string_n.num_agpr, 0
	.set .L__ockl_printf_append_string_n.numbered_sgpr, 32
	.set .L__ockl_printf_append_string_n.num_named_barrier, 0
	.set .L__ockl_printf_append_string_n.private_seg_size, 0
	.set .L__ockl_printf_append_string_n.uses_vcc, 1
	.set .L__ockl_printf_append_string_n.uses_flat_scratch, 0
	.set .L__ockl_printf_append_string_n.has_dyn_sized_stack, 0
	.set .L__ockl_printf_append_string_n.has_recursion, 0
	.set .L__ockl_printf_append_string_n.has_indirect_call, 0
	.section	.AMDGPU.csdata,"",@progbits
; Function info:
; codeLenInByte = 4600
; TotalNumSgprs: 34
; NumVgprs: 39
; ScratchSize: 0
; MemoryBound: 0
	.text
	.p2align	2                               ; -- Begin function __ockl_printf_append_args
	.type	__ockl_printf_append_args,@function
__ockl_printf_append_args:              ; @__ockl_printf_append_args
; %bb.0:
	s_waitcnt vmcnt(0) expcnt(0) lgkmcnt(0)
	s_load_dwordx2 s[6:7], s[8:9], 0x50
	v_mbcnt_lo_u32_b32 v15, -1, 0
	v_mov_b32_e32 v11, 0
	v_mov_b32_e32 v12, 0
	v_readfirstlane_b32 s4, v15
	v_cmp_eq_u32_e64 s4, s4, v15
	s_and_saveexec_b32 s5, s4
	s_cbranch_execz .LBB72_6
; %bb.1:
	v_mov_b32_e32 v5, 0
	s_mov_b32 s8, exec_lo
	s_waitcnt lgkmcnt(0)
	global_load_dwordx2 v[8:9], v5, s[6:7] offset:24 glc dlc
	s_waitcnt vmcnt(0)
	buffer_gl1_inv
	buffer_gl0_inv
	s_clause 0x1
	global_load_dwordx2 v[6:7], v5, s[6:7] offset:40
	global_load_dwordx2 v[10:11], v5, s[6:7]
	s_waitcnt vmcnt(1)
	v_and_b32_e32 v7, v7, v9
	v_and_b32_e32 v6, v6, v8
	v_mul_lo_u32 v7, v7, 24
	v_mul_hi_u32 v12, v6, 24
	v_mul_lo_u32 v6, v6, 24
	v_add_nc_u32_e32 v7, v12, v7
	s_waitcnt vmcnt(0)
	v_add_co_u32 v6, vcc_lo, v10, v6
	v_add_co_ci_u32_e64 v7, null, v11, v7, vcc_lo
	global_load_dwordx2 v[6:7], v[6:7], off glc dlc
	s_waitcnt vmcnt(0)
	global_atomic_cmpswap_x2 v[11:12], v5, v[6:9], s[6:7] offset:24 glc
	s_waitcnt vmcnt(0)
	buffer_gl1_inv
	buffer_gl0_inv
	v_cmpx_ne_u64_e64 v[11:12], v[8:9]
	s_cbranch_execz .LBB72_5
; %bb.2:
	s_mov_b32 s9, 0
	.p2align	6
.LBB72_3:                               ; =>This Inner Loop Header: Depth=1
	s_sleep 1
	s_clause 0x1
	global_load_dwordx2 v[6:7], v5, s[6:7] offset:40
	global_load_dwordx2 v[13:14], v5, s[6:7]
	v_mov_b32_e32 v8, v11
	v_mov_b32_e32 v9, v12
	s_waitcnt vmcnt(1)
	v_and_b32_e32 v6, v6, v8
	v_and_b32_e32 v7, v7, v9
	s_waitcnt vmcnt(0)
	v_mad_u64_u32 v[10:11], null, v6, 24, v[13:14]
	v_mov_b32_e32 v6, v11
	v_mad_u64_u32 v[6:7], null, v7, 24, v[6:7]
	v_mov_b32_e32 v11, v6
	global_load_dwordx2 v[6:7], v[10:11], off glc dlc
	s_waitcnt vmcnt(0)
	global_atomic_cmpswap_x2 v[11:12], v5, v[6:9], s[6:7] offset:24 glc
	s_waitcnt vmcnt(0)
	buffer_gl1_inv
	buffer_gl0_inv
	v_cmp_eq_u64_e32 vcc_lo, v[11:12], v[8:9]
	s_or_b32 s9, vcc_lo, s9
	s_andn2_b32 exec_lo, exec_lo, s9
	s_cbranch_execnz .LBB72_3
; %bb.4:
	s_or_b32 exec_lo, exec_lo, s9
.LBB72_5:
	s_or_b32 exec_lo, exec_lo, s8
.LBB72_6:
	s_or_b32 exec_lo, exec_lo, s5
	v_mov_b32_e32 v10, 0
	v_readfirstlane_b32 s9, v12
	v_readfirstlane_b32 s8, v11
	s_mov_b32 s5, exec_lo
	s_waitcnt lgkmcnt(0)
	s_clause 0x1
	global_load_dwordx2 v[13:14], v10, s[6:7] offset:40
	global_load_dwordx4 v[5:8], v10, s[6:7]
	s_waitcnt vmcnt(1)
	v_readfirstlane_b32 s10, v13
	v_readfirstlane_b32 s11, v14
	s_and_b64 s[10:11], s[10:11], s[8:9]
	s_mul_i32 s12, s11, 24
	s_mul_hi_u32 s13, s10, 24
	s_mul_i32 s14, s10, 24
	s_add_i32 s13, s13, s12
	s_waitcnt vmcnt(0)
	v_add_co_u32 v13, vcc_lo, v5, s14
	v_add_co_ci_u32_e64 v14, null, s13, v6, vcc_lo
	s_and_saveexec_b32 s12, s4
	s_cbranch_execz .LBB72_8
; %bb.7:
	v_mov_b32_e32 v9, s5
	v_mov_b32_e32 v11, 2
	;; [unrolled: 1-line block ×3, first 2 shown]
	global_store_dwordx4 v[13:14], v[9:12], off offset:8
.LBB72_8:
	s_or_b32 exec_lo, exec_lo, s12
	v_or_b32_e32 v9, 2, v0
	v_cmp_eq_u32_e32 vcc_lo, 0, v4
	s_lshl_b64 s[10:11], s[10:11], 12
	s_mov_b32 s12, 0
	v_lshlrev_b32_e32 v11, 6, v15
	s_mov_b32 s13, s12
	v_cndmask_b32_e32 v0, v9, v0, vcc_lo
	v_add_co_u32 v4, vcc_lo, v7, s10
	v_add_co_ci_u32_e64 v7, null, s11, v8, vcc_lo
	s_mov_b32 s14, s12
	s_mov_b32 s15, s12
	v_and_or_b32 v0, 0xffffff1f, v0, 32
	v_readfirstlane_b32 s10, v4
	v_readfirstlane_b32 s11, v7
	v_mov_b32_e32 v7, s12
	v_mov_b32_e32 v8, s13
	;; [unrolled: 1-line block ×4, first 2 shown]
	global_store_dwordx4 v11, v[0:3], s[10:11]
	global_store_dwordx4 v11, v[7:10], s[10:11] offset:16
	global_store_dwordx4 v11, v[7:10], s[10:11] offset:32
	;; [unrolled: 1-line block ×3, first 2 shown]
	s_and_saveexec_b32 s5, s4
	s_cbranch_execz .LBB72_16
; %bb.9:
	v_mov_b32_e32 v7, 0
	v_mov_b32_e32 v8, s8
	;; [unrolled: 1-line block ×3, first 2 shown]
	s_mov_b32 s10, exec_lo
	s_clause 0x1
	global_load_dwordx2 v[10:11], v7, s[6:7] offset:32 glc dlc
	global_load_dwordx2 v[0:1], v7, s[6:7] offset:40
	s_waitcnt vmcnt(0)
	v_and_b32_e32 v1, s9, v1
	v_and_b32_e32 v0, s8, v0
	v_mul_lo_u32 v1, v1, 24
	v_mul_hi_u32 v2, v0, 24
	v_mul_lo_u32 v0, v0, 24
	v_add_nc_u32_e32 v1, v2, v1
	v_add_co_u32 v4, vcc_lo, v5, v0
	v_add_co_ci_u32_e64 v5, null, v6, v1, vcc_lo
	global_store_dwordx2 v[4:5], v[10:11], off
	s_waitcnt_vscnt null, 0x0
	global_atomic_cmpswap_x2 v[2:3], v7, v[8:11], s[6:7] offset:32 glc
	s_waitcnt vmcnt(0)
	v_cmpx_ne_u64_e64 v[2:3], v[10:11]
	s_cbranch_execz .LBB72_12
; %bb.10:
	s_mov_b32 s11, 0
.LBB72_11:                              ; =>This Inner Loop Header: Depth=1
	v_mov_b32_e32 v0, s8
	v_mov_b32_e32 v1, s9
	s_sleep 1
	global_store_dwordx2 v[4:5], v[2:3], off
	s_waitcnt_vscnt null, 0x0
	global_atomic_cmpswap_x2 v[0:1], v7, v[0:3], s[6:7] offset:32 glc
	s_waitcnt vmcnt(0)
	v_cmp_eq_u64_e32 vcc_lo, v[0:1], v[2:3]
	v_mov_b32_e32 v3, v1
	v_mov_b32_e32 v2, v0
	s_or_b32 s11, vcc_lo, s11
	s_andn2_b32 exec_lo, exec_lo, s11
	s_cbranch_execnz .LBB72_11
.LBB72_12:
	s_or_b32 exec_lo, exec_lo, s10
	v_mov_b32_e32 v3, 0
	s_mov_b32 s11, exec_lo
	s_mov_b32 s10, exec_lo
	v_mbcnt_lo_u32_b32 v2, s11, 0
	global_load_dwordx2 v[0:1], v3, s[6:7] offset:16
	v_cmpx_eq_u32_e32 0, v2
	s_cbranch_execz .LBB72_14
; %bb.13:
	s_bcnt1_i32_b32 s11, s11
	v_mov_b32_e32 v2, s11
	s_waitcnt vmcnt(0)
	global_atomic_add_x2 v[0:1], v[2:3], off offset:8
.LBB72_14:
	s_or_b32 exec_lo, exec_lo, s10
	s_waitcnt vmcnt(0)
	global_load_dwordx2 v[2:3], v[0:1], off offset:16
	s_waitcnt vmcnt(0)
	v_cmp_eq_u64_e32 vcc_lo, 0, v[2:3]
	s_cbranch_vccnz .LBB72_16
; %bb.15:
	global_load_dword v0, v[0:1], off offset:24
	v_mov_b32_e32 v1, 0
	s_waitcnt vmcnt(0)
	v_readfirstlane_b32 s10, v0
	s_waitcnt_vscnt null, 0x0
	global_store_dwordx2 v[2:3], v[0:1], off
	s_and_b32 m0, s10, 0x7fffff
	s_sendmsg sendmsg(MSG_INTERRUPT)
.LBB72_16:
	s_or_b32 exec_lo, exec_lo, s5
	s_branch .LBB72_20
	.p2align	6
.LBB72_17:                              ;   in Loop: Header=BB72_20 Depth=1
	s_or_b32 exec_lo, exec_lo, s5
	v_readfirstlane_b32 s5, v0
	s_cmp_eq_u32 s5, 0
	s_cbranch_scc1 .LBB72_19
; %bb.18:                               ;   in Loop: Header=BB72_20 Depth=1
	s_sleep 1
	s_cbranch_execnz .LBB72_20
	s_branch .LBB72_22
	.p2align	6
.LBB72_19:
	s_branch .LBB72_22
.LBB72_20:                              ; =>This Inner Loop Header: Depth=1
	v_mov_b32_e32 v0, 1
	s_and_saveexec_b32 s5, s4
	s_cbranch_execz .LBB72_17
; %bb.21:                               ;   in Loop: Header=BB72_20 Depth=1
	global_load_dword v0, v[13:14], off offset:20 glc dlc
	s_waitcnt vmcnt(0)
	buffer_gl1_inv
	buffer_gl0_inv
	v_and_b32_e32 v0, 1, v0
	s_branch .LBB72_17
.LBB72_22:
	s_and_saveexec_b32 s10, s4
	s_cbranch_execz .LBB72_26
; %bb.23:
	v_mov_b32_e32 v6, 0
	s_clause 0x2
	global_load_dwordx2 v[0:1], v6, s[6:7] offset:40
	global_load_dwordx2 v[9:10], v6, s[6:7] offset:24 glc dlc
	global_load_dwordx2 v[2:3], v6, s[6:7]
	s_waitcnt vmcnt(2)
	v_readfirstlane_b32 s12, v0
	v_readfirstlane_b32 s13, v1
	s_add_u32 s11, s12, 1
	s_addc_u32 s14, s13, 0
	s_add_u32 s4, s11, s8
	s_addc_u32 s5, s14, s9
	s_cmp_eq_u64 s[4:5], 0
	s_cselect_b32 s5, s14, s5
	s_cselect_b32 s4, s11, s4
	v_mov_b32_e32 v8, s5
	s_and_b64 s[8:9], s[4:5], s[12:13]
	v_mov_b32_e32 v7, s4
	s_mul_i32 s9, s9, 24
	s_mul_hi_u32 s11, s8, 24
	s_mul_i32 s8, s8, 24
	s_add_i32 s11, s11, s9
	s_waitcnt vmcnt(0)
	v_add_co_u32 v4, vcc_lo, v2, s8
	v_add_co_ci_u32_e64 v5, null, s11, v3, vcc_lo
	global_store_dwordx2 v[4:5], v[9:10], off
	s_waitcnt_vscnt null, 0x0
	global_atomic_cmpswap_x2 v[2:3], v6, v[7:10], s[6:7] offset:24 glc
	s_waitcnt vmcnt(0)
	v_cmp_ne_u64_e32 vcc_lo, v[2:3], v[9:10]
	s_and_b32 exec_lo, exec_lo, vcc_lo
	s_cbranch_execz .LBB72_26
; %bb.24:
	s_mov_b32 s8, 0
.LBB72_25:                              ; =>This Inner Loop Header: Depth=1
	v_mov_b32_e32 v0, s4
	v_mov_b32_e32 v1, s5
	s_sleep 1
	global_store_dwordx2 v[4:5], v[2:3], off
	s_waitcnt_vscnt null, 0x0
	global_atomic_cmpswap_x2 v[0:1], v6, v[0:3], s[6:7] offset:24 glc
	s_waitcnt vmcnt(0)
	v_cmp_eq_u64_e32 vcc_lo, v[0:1], v[2:3]
	v_mov_b32_e32 v3, v1
	v_mov_b32_e32 v2, v0
	s_or_b32 s8, vcc_lo, s8
	s_andn2_b32 exec_lo, exec_lo, s8
	s_cbranch_execnz .LBB72_25
.LBB72_26:
	s_or_b32 exec_lo, exec_lo, s10
	s_waitcnt lgkmcnt(0)
	s_setpc_b64 s[30:31]
.Lfunc_end72:
	.size	__ockl_printf_append_args, .Lfunc_end72-__ockl_printf_append_args
                                        ; -- End function
	.set .L__ockl_printf_append_args.num_vgpr, 16
	.set .L__ockl_printf_append_args.num_agpr, 0
	.set .L__ockl_printf_append_args.numbered_sgpr, 32
	.set .L__ockl_printf_append_args.num_named_barrier, 0
	.set .L__ockl_printf_append_args.private_seg_size, 0
	.set .L__ockl_printf_append_args.uses_vcc, 1
	.set .L__ockl_printf_append_args.uses_flat_scratch, 0
	.set .L__ockl_printf_append_args.has_dyn_sized_stack, 0
	.set .L__ockl_printf_append_args.has_recursion, 0
	.set .L__ockl_printf_append_args.has_indirect_call, 0
	.section	.AMDGPU.csdata,"",@progbits
; Function info:
; codeLenInByte = 1380
; TotalNumSgprs: 34
; NumVgprs: 16
; ScratchSize: 0
; MemoryBound: 0
	.text
	.p2align	2                               ; -- Begin function _ZL14no_device_codePKciS0_iS0_
	.type	_ZL14no_device_codePKciS0_iS0_,@function
_ZL14no_device_codePKciS0_iS0_:         ; @_ZL14no_device_codePKciS0_iS0_
; %bb.0:
	s_waitcnt vmcnt(0) expcnt(0) lgkmcnt(0)
	s_mov_b32 s24, s33
	s_mov_b32 s33, s32
	s_xor_saveexec_b32 s4, -1
	buffer_store_dword v39, off, s[0:3], s33 ; 4-byte Folded Spill
	s_mov_b32 exec_lo, s4
	v_writelane_b32 v39, s30, 0
	s_addk_i32 s32, 0x200
	v_writelane_b32 v39, s31, 1
	s_load_dwordx2 s[6:7], s[8:9], 0x50
	v_mbcnt_lo_u32_b32 v29, -1, 0
	v_mov_b32_e32 v6, 0
	v_mov_b32_e32 v7, 0
	v_readfirstlane_b32 s4, v29
	v_cmp_eq_u32_e64 s4, s4, v29
	s_and_saveexec_b32 s5, s4
	s_cbranch_execz .LBB73_6
; %bb.1:
	v_mov_b32_e32 v0, 0
	s_mov_b32 s10, exec_lo
	s_waitcnt lgkmcnt(0)
	global_load_dwordx2 v[3:4], v0, s[6:7] offset:24 glc dlc
	s_waitcnt vmcnt(0)
	buffer_gl1_inv
	buffer_gl0_inv
	s_clause 0x1
	global_load_dwordx2 v[1:2], v0, s[6:7] offset:40
	global_load_dwordx2 v[5:6], v0, s[6:7]
	s_waitcnt vmcnt(1)
	v_and_b32_e32 v2, v2, v4
	v_and_b32_e32 v1, v1, v3
	v_mul_lo_u32 v2, v2, 24
	v_mul_hi_u32 v7, v1, 24
	v_mul_lo_u32 v1, v1, 24
	v_add_nc_u32_e32 v2, v7, v2
	s_waitcnt vmcnt(0)
	v_add_co_u32 v1, vcc_lo, v5, v1
	v_add_co_ci_u32_e64 v2, null, v6, v2, vcc_lo
	global_load_dwordx2 v[1:2], v[1:2], off glc dlc
	s_waitcnt vmcnt(0)
	global_atomic_cmpswap_x2 v[6:7], v0, v[1:4], s[6:7] offset:24 glc
	s_waitcnt vmcnt(0)
	buffer_gl1_inv
	buffer_gl0_inv
	v_cmpx_ne_u64_e64 v[6:7], v[3:4]
	s_cbranch_execz .LBB73_5
; %bb.2:
	s_mov_b32 s11, 0
	.p2align	6
.LBB73_3:                               ; =>This Inner Loop Header: Depth=1
	s_sleep 1
	s_clause 0x1
	global_load_dwordx2 v[1:2], v0, s[6:7] offset:40
	global_load_dwordx2 v[8:9], v0, s[6:7]
	v_mov_b32_e32 v3, v6
	v_mov_b32_e32 v4, v7
	s_waitcnt vmcnt(1)
	v_and_b32_e32 v1, v1, v3
	v_and_b32_e32 v2, v2, v4
	s_waitcnt vmcnt(0)
	v_mad_u64_u32 v[5:6], null, v1, 24, v[8:9]
	v_mov_b32_e32 v1, v6
	v_mad_u64_u32 v[1:2], null, v2, 24, v[1:2]
	v_mov_b32_e32 v6, v1
	global_load_dwordx2 v[1:2], v[5:6], off glc dlc
	s_waitcnt vmcnt(0)
	global_atomic_cmpswap_x2 v[6:7], v0, v[1:4], s[6:7] offset:24 glc
	s_waitcnt vmcnt(0)
	buffer_gl1_inv
	buffer_gl0_inv
	v_cmp_eq_u64_e32 vcc_lo, v[6:7], v[3:4]
	s_or_b32 s11, vcc_lo, s11
	s_andn2_b32 exec_lo, exec_lo, s11
	s_cbranch_execnz .LBB73_3
; %bb.4:
	s_or_b32 exec_lo, exec_lo, s11
.LBB73_5:
	s_or_b32 exec_lo, exec_lo, s10
.LBB73_6:
	s_or_b32 exec_lo, exec_lo, s5
	v_mov_b32_e32 v5, 0
	v_readfirstlane_b32 s11, v7
	v_readfirstlane_b32 s10, v6
	s_mov_b32 s5, exec_lo
	s_waitcnt lgkmcnt(0)
	s_clause 0x1
	global_load_dwordx2 v[8:9], v5, s[6:7] offset:40
	global_load_dwordx4 v[0:3], v5, s[6:7]
	s_waitcnt vmcnt(1)
	v_readfirstlane_b32 s12, v8
	v_readfirstlane_b32 s13, v9
	s_and_b64 s[12:13], s[12:13], s[10:11]
	s_mul_i32 s14, s13, 24
	s_mul_hi_u32 s15, s12, 24
	s_mul_i32 s16, s12, 24
	s_add_i32 s15, s15, s14
	s_waitcnt vmcnt(0)
	v_add_co_u32 v8, vcc_lo, v0, s16
	v_add_co_ci_u32_e64 v9, null, s15, v1, vcc_lo
	s_and_saveexec_b32 s14, s4
	s_cbranch_execz .LBB73_8
; %bb.7:
	v_mov_b32_e32 v4, s5
	v_mov_b32_e32 v6, 2
	;; [unrolled: 1-line block ×3, first 2 shown]
	global_store_dwordx4 v[8:9], v[4:7], off offset:8
.LBB73_8:
	s_or_b32 exec_lo, exec_lo, s14
	s_lshl_b64 s[12:13], s[12:13], 12
	v_lshlrev_b32_e32 v28, 6, v29
	v_add_co_u32 v2, vcc_lo, v2, s12
	v_add_co_ci_u32_e64 v3, null, s13, v3, vcc_lo
	s_mov_b32 s12, 0
	v_add_co_u32 v10, vcc_lo, v2, v28
	s_mov_b32 s13, s12
	s_mov_b32 s14, s12
	;; [unrolled: 1-line block ×3, first 2 shown]
	v_mov_b32_e32 v4, 33
	v_mov_b32_e32 v6, v5
	;; [unrolled: 1-line block ×3, first 2 shown]
	v_readfirstlane_b32 s16, v2
	v_readfirstlane_b32 s17, v3
	v_mov_b32_e32 v12, s12
	v_add_co_ci_u32_e64 v11, null, 0, v3, vcc_lo
	v_mov_b32_e32 v13, s13
	v_mov_b32_e32 v14, s14
	;; [unrolled: 1-line block ×3, first 2 shown]
	global_store_dwordx4 v28, v[4:7], s[16:17]
	global_store_dwordx4 v28, v[12:15], s[16:17] offset:16
	global_store_dwordx4 v28, v[12:15], s[16:17] offset:32
	;; [unrolled: 1-line block ×3, first 2 shown]
	s_and_saveexec_b32 s5, s4
	s_cbranch_execz .LBB73_16
; %bb.9:
	v_mov_b32_e32 v6, 0
	v_mov_b32_e32 v12, s10
	;; [unrolled: 1-line block ×3, first 2 shown]
	s_mov_b32 s12, exec_lo
	s_clause 0x1
	global_load_dwordx2 v[14:15], v6, s[6:7] offset:32 glc dlc
	global_load_dwordx2 v[2:3], v6, s[6:7] offset:40
	s_waitcnt vmcnt(0)
	v_and_b32_e32 v3, s11, v3
	v_and_b32_e32 v2, s10, v2
	v_mul_lo_u32 v3, v3, 24
	v_mul_hi_u32 v4, v2, 24
	v_mul_lo_u32 v2, v2, 24
	v_add_nc_u32_e32 v3, v4, v3
	v_add_co_u32 v4, vcc_lo, v0, v2
	v_add_co_ci_u32_e64 v5, null, v1, v3, vcc_lo
	global_store_dwordx2 v[4:5], v[14:15], off
	s_waitcnt_vscnt null, 0x0
	global_atomic_cmpswap_x2 v[2:3], v6, v[12:15], s[6:7] offset:32 glc
	s_waitcnt vmcnt(0)
	v_cmpx_ne_u64_e64 v[2:3], v[14:15]
	s_cbranch_execz .LBB73_12
; %bb.10:
	s_mov_b32 s13, 0
.LBB73_11:                              ; =>This Inner Loop Header: Depth=1
	v_mov_b32_e32 v0, s10
	v_mov_b32_e32 v1, s11
	s_sleep 1
	global_store_dwordx2 v[4:5], v[2:3], off
	s_waitcnt_vscnt null, 0x0
	global_atomic_cmpswap_x2 v[0:1], v6, v[0:3], s[6:7] offset:32 glc
	s_waitcnt vmcnt(0)
	v_cmp_eq_u64_e32 vcc_lo, v[0:1], v[2:3]
	v_mov_b32_e32 v3, v1
	v_mov_b32_e32 v2, v0
	s_or_b32 s13, vcc_lo, s13
	s_andn2_b32 exec_lo, exec_lo, s13
	s_cbranch_execnz .LBB73_11
.LBB73_12:
	s_or_b32 exec_lo, exec_lo, s12
	v_mov_b32_e32 v3, 0
	s_mov_b32 s13, exec_lo
	s_mov_b32 s12, exec_lo
	v_mbcnt_lo_u32_b32 v2, s13, 0
	global_load_dwordx2 v[0:1], v3, s[6:7] offset:16
	v_cmpx_eq_u32_e32 0, v2
	s_cbranch_execz .LBB73_14
; %bb.13:
	s_bcnt1_i32_b32 s13, s13
	v_mov_b32_e32 v2, s13
	s_waitcnt vmcnt(0)
	global_atomic_add_x2 v[0:1], v[2:3], off offset:8
.LBB73_14:
	s_or_b32 exec_lo, exec_lo, s12
	s_waitcnt vmcnt(0)
	global_load_dwordx2 v[2:3], v[0:1], off offset:16
	s_waitcnt vmcnt(0)
	v_cmp_eq_u64_e32 vcc_lo, 0, v[2:3]
	s_cbranch_vccnz .LBB73_16
; %bb.15:
	global_load_dword v0, v[0:1], off offset:24
	v_mov_b32_e32 v1, 0
	s_waitcnt vmcnt(0)
	v_readfirstlane_b32 s12, v0
	s_waitcnt_vscnt null, 0x0
	global_store_dwordx2 v[2:3], v[0:1], off
	s_and_b32 m0, s12, 0x7fffff
	s_sendmsg sendmsg(MSG_INTERRUPT)
.LBB73_16:
	s_or_b32 exec_lo, exec_lo, s5
	s_branch .LBB73_20
	.p2align	6
.LBB73_17:                              ;   in Loop: Header=BB73_20 Depth=1
	s_or_b32 exec_lo, exec_lo, s5
	v_readfirstlane_b32 s5, v0
	s_cmp_eq_u32 s5, 0
	s_cbranch_scc1 .LBB73_19
; %bb.18:                               ;   in Loop: Header=BB73_20 Depth=1
	s_sleep 1
	s_cbranch_execnz .LBB73_20
	s_branch .LBB73_22
	.p2align	6
.LBB73_19:
	s_branch .LBB73_22
.LBB73_20:                              ; =>This Inner Loop Header: Depth=1
	v_mov_b32_e32 v0, 1
	s_and_saveexec_b32 s5, s4
	s_cbranch_execz .LBB73_17
; %bb.21:                               ;   in Loop: Header=BB73_20 Depth=1
	global_load_dword v0, v[8:9], off offset:20 glc dlc
	s_waitcnt vmcnt(0)
	buffer_gl1_inv
	buffer_gl0_inv
	v_and_b32_e32 v0, 1, v0
	s_branch .LBB73_17
.LBB73_22:
	global_load_dwordx2 v[4:5], v[10:11], off
	s_and_saveexec_b32 s12, s4
	s_cbranch_execz .LBB73_26
; %bb.23:
	v_mov_b32_e32 v8, 0
	s_clause 0x2
	global_load_dwordx2 v[0:1], v8, s[6:7] offset:40
	global_load_dwordx2 v[11:12], v8, s[6:7] offset:24 glc dlc
	global_load_dwordx2 v[2:3], v8, s[6:7]
	s_waitcnt vmcnt(2)
	v_readfirstlane_b32 s14, v0
	v_readfirstlane_b32 s15, v1
	s_add_u32 s13, s14, 1
	s_addc_u32 s16, s15, 0
	s_add_u32 s4, s13, s10
	s_addc_u32 s5, s16, s11
	s_cmp_eq_u64 s[4:5], 0
	s_cselect_b32 s5, s16, s5
	s_cselect_b32 s4, s13, s4
	v_mov_b32_e32 v10, s5
	s_and_b64 s[10:11], s[4:5], s[14:15]
	v_mov_b32_e32 v9, s4
	s_mul_i32 s11, s11, 24
	s_mul_hi_u32 s13, s10, 24
	s_mul_i32 s10, s10, 24
	s_add_i32 s13, s13, s11
	s_waitcnt vmcnt(0)
	v_add_co_u32 v6, vcc_lo, v2, s10
	v_add_co_ci_u32_e64 v7, null, s13, v3, vcc_lo
	global_store_dwordx2 v[6:7], v[11:12], off
	s_waitcnt_vscnt null, 0x0
	global_atomic_cmpswap_x2 v[2:3], v8, v[9:12], s[6:7] offset:24 glc
	s_waitcnt vmcnt(0)
	v_cmp_ne_u64_e32 vcc_lo, v[2:3], v[11:12]
	s_and_b32 exec_lo, exec_lo, vcc_lo
	s_cbranch_execz .LBB73_26
; %bb.24:
	s_mov_b32 s10, 0
.LBB73_25:                              ; =>This Inner Loop Header: Depth=1
	v_mov_b32_e32 v0, s4
	v_mov_b32_e32 v1, s5
	s_sleep 1
	global_store_dwordx2 v[6:7], v[2:3], off
	s_waitcnt_vscnt null, 0x0
	global_atomic_cmpswap_x2 v[0:1], v8, v[0:3], s[6:7] offset:24 glc
	s_waitcnt vmcnt(0)
	v_cmp_eq_u64_e32 vcc_lo, v[0:1], v[2:3]
	v_mov_b32_e32 v3, v1
	v_mov_b32_e32 v2, v0
	s_or_b32 s10, vcc_lo, s10
	s_andn2_b32 exec_lo, exec_lo, s10
	s_cbranch_execnz .LBB73_25
.LBB73_26:
	s_or_b32 exec_lo, exec_lo, s12
	s_getpc_b64 s[10:11]
	s_add_u32 s10, s10, .str.5@rel32@lo+4
	s_addc_u32 s11, s11, .str.5@rel32@hi+12
	s_cmp_lg_u64 s[10:11], 0
	s_cbranch_scc0 .LBB73_104
; %bb.27:
	s_waitcnt vmcnt(0)
	v_and_b32_e32 v30, 2, v4
	v_mov_b32_e32 v7, 0
	v_and_b32_e32 v0, -3, v4
	v_mov_b32_e32 v1, v5
	v_mov_b32_e32 v8, 2
	;; [unrolled: 1-line block ×3, first 2 shown]
	s_mov_b64 s[12:13], 0x4d
	s_branch .LBB73_29
.LBB73_28:                              ;   in Loop: Header=BB73_29 Depth=1
	s_or_b32 exec_lo, exec_lo, s18
	s_sub_u32 s12, s12, s14
	s_subb_u32 s13, s13, s15
	s_add_u32 s10, s10, s14
	s_addc_u32 s11, s11, s15
	s_cmp_lg_u64 s[12:13], 0
	s_cbranch_scc0 .LBB73_105
.LBB73_29:                              ; =>This Loop Header: Depth=1
                                        ;     Child Loop BB73_32 Depth 2
                                        ;     Child Loop BB73_39 Depth 2
	;; [unrolled: 1-line block ×11, first 2 shown]
	v_cmp_lt_u64_e64 s4, s[12:13], 56
	v_cmp_gt_u64_e64 s16, s[12:13], 7
	s_and_b32 s4, s4, exec_lo
	s_cselect_b32 s15, s13, 0
	s_cselect_b32 s14, s12, 56
	s_add_u32 s4, s10, 8
	s_addc_u32 s5, s11, 0
	s_and_b32 vcc_lo, exec_lo, s16
	s_cbranch_vccnz .LBB73_34
; %bb.30:                               ;   in Loop: Header=BB73_29 Depth=1
	v_mov_b32_e32 v2, 0
	v_mov_b32_e32 v3, 0
	s_cmp_eq_u64 s[12:13], 0
	s_cbranch_scc1 .LBB73_33
; %bb.31:                               ;   in Loop: Header=BB73_29 Depth=1
	s_lshl_b64 s[4:5], s[14:15], 3
	s_mov_b64 s[16:17], 0
	s_mov_b64 s[18:19], s[10:11]
.LBB73_32:                              ;   Parent Loop BB73_29 Depth=1
                                        ; =>  This Inner Loop Header: Depth=2
	global_load_ubyte v6, v7, s[18:19]
	s_waitcnt vmcnt(0)
	v_and_b32_e32 v6, 0xffff, v6
	v_lshlrev_b64 v[10:11], s16, v[6:7]
	s_add_u32 s16, s16, 8
	s_addc_u32 s17, s17, 0
	s_add_u32 s18, s18, 1
	s_addc_u32 s19, s19, 0
	s_cmp_lg_u32 s4, s16
	v_or_b32_e32 v2, v10, v2
	v_or_b32_e32 v3, v11, v3
	s_cbranch_scc1 .LBB73_32
.LBB73_33:                              ;   in Loop: Header=BB73_29 Depth=1
	s_mov_b64 s[4:5], s[10:11]
	s_mov_b32 s20, 0
	s_cbranch_execz .LBB73_35
	s_branch .LBB73_36
.LBB73_34:                              ;   in Loop: Header=BB73_29 Depth=1
	s_mov_b32 s20, 0
.LBB73_35:                              ;   in Loop: Header=BB73_29 Depth=1
	global_load_dwordx2 v[2:3], v7, s[10:11]
	s_add_i32 s20, s14, -8
.LBB73_36:                              ;   in Loop: Header=BB73_29 Depth=1
	s_add_u32 s16, s4, 8
	s_addc_u32 s17, s5, 0
	s_cmp_gt_u32 s20, 7
	s_cbranch_scc1 .LBB73_41
; %bb.37:                               ;   in Loop: Header=BB73_29 Depth=1
	v_mov_b32_e32 v10, 0
	v_mov_b32_e32 v11, 0
	s_cmp_eq_u32 s20, 0
	s_cbranch_scc1 .LBB73_40
; %bb.38:                               ;   in Loop: Header=BB73_29 Depth=1
	s_mov_b64 s[16:17], 0
	s_mov_b64 s[18:19], 0
.LBB73_39:                              ;   Parent Loop BB73_29 Depth=1
                                        ; =>  This Inner Loop Header: Depth=2
	s_add_u32 s22, s4, s18
	s_addc_u32 s23, s5, s19
	s_add_u32 s18, s18, 1
	global_load_ubyte v6, v7, s[22:23]
	s_addc_u32 s19, s19, 0
	s_waitcnt vmcnt(0)
	v_and_b32_e32 v6, 0xffff, v6
	v_lshlrev_b64 v[12:13], s16, v[6:7]
	s_add_u32 s16, s16, 8
	s_addc_u32 s17, s17, 0
	s_cmp_lg_u32 s20, s18
	v_or_b32_e32 v10, v12, v10
	v_or_b32_e32 v11, v13, v11
	s_cbranch_scc1 .LBB73_39
.LBB73_40:                              ;   in Loop: Header=BB73_29 Depth=1
	s_mov_b64 s[16:17], s[4:5]
	s_mov_b32 s21, 0
	s_cbranch_execz .LBB73_42
	s_branch .LBB73_43
.LBB73_41:                              ;   in Loop: Header=BB73_29 Depth=1
                                        ; implicit-def: $vgpr10_vgpr11
	s_mov_b32 s21, 0
.LBB73_42:                              ;   in Loop: Header=BB73_29 Depth=1
	global_load_dwordx2 v[10:11], v7, s[4:5]
	s_add_i32 s21, s20, -8
.LBB73_43:                              ;   in Loop: Header=BB73_29 Depth=1
	s_add_u32 s4, s16, 8
	s_addc_u32 s5, s17, 0
	s_cmp_gt_u32 s21, 7
	s_cbranch_scc1 .LBB73_48
; %bb.44:                               ;   in Loop: Header=BB73_29 Depth=1
	v_mov_b32_e32 v12, 0
	v_mov_b32_e32 v13, 0
	s_cmp_eq_u32 s21, 0
	s_cbranch_scc1 .LBB73_47
; %bb.45:                               ;   in Loop: Header=BB73_29 Depth=1
	s_mov_b64 s[4:5], 0
	s_mov_b64 s[18:19], 0
.LBB73_46:                              ;   Parent Loop BB73_29 Depth=1
                                        ; =>  This Inner Loop Header: Depth=2
	s_add_u32 s22, s16, s18
	s_addc_u32 s23, s17, s19
	s_add_u32 s18, s18, 1
	global_load_ubyte v6, v7, s[22:23]
	s_addc_u32 s19, s19, 0
	s_waitcnt vmcnt(0)
	v_and_b32_e32 v6, 0xffff, v6
	v_lshlrev_b64 v[14:15], s4, v[6:7]
	s_add_u32 s4, s4, 8
	s_addc_u32 s5, s5, 0
	s_cmp_lg_u32 s21, s18
	v_or_b32_e32 v12, v14, v12
	v_or_b32_e32 v13, v15, v13
	s_cbranch_scc1 .LBB73_46
.LBB73_47:                              ;   in Loop: Header=BB73_29 Depth=1
	s_mov_b64 s[4:5], s[16:17]
	s_mov_b32 s20, 0
	s_cbranch_execz .LBB73_49
	s_branch .LBB73_50
.LBB73_48:                              ;   in Loop: Header=BB73_29 Depth=1
	s_mov_b32 s20, 0
.LBB73_49:                              ;   in Loop: Header=BB73_29 Depth=1
	global_load_dwordx2 v[12:13], v7, s[16:17]
	s_add_i32 s20, s21, -8
.LBB73_50:                              ;   in Loop: Header=BB73_29 Depth=1
	s_add_u32 s16, s4, 8
	s_addc_u32 s17, s5, 0
	s_cmp_gt_u32 s20, 7
	s_cbranch_scc1 .LBB73_55
; %bb.51:                               ;   in Loop: Header=BB73_29 Depth=1
	v_mov_b32_e32 v14, 0
	v_mov_b32_e32 v15, 0
	s_cmp_eq_u32 s20, 0
	s_cbranch_scc1 .LBB73_54
; %bb.52:                               ;   in Loop: Header=BB73_29 Depth=1
	s_mov_b64 s[16:17], 0
	s_mov_b64 s[18:19], 0
.LBB73_53:                              ;   Parent Loop BB73_29 Depth=1
                                        ; =>  This Inner Loop Header: Depth=2
	s_add_u32 s22, s4, s18
	s_addc_u32 s23, s5, s19
	s_add_u32 s18, s18, 1
	global_load_ubyte v6, v7, s[22:23]
	s_addc_u32 s19, s19, 0
	s_waitcnt vmcnt(0)
	v_and_b32_e32 v6, 0xffff, v6
	v_lshlrev_b64 v[16:17], s16, v[6:7]
	s_add_u32 s16, s16, 8
	s_addc_u32 s17, s17, 0
	s_cmp_lg_u32 s20, s18
	v_or_b32_e32 v14, v16, v14
	v_or_b32_e32 v15, v17, v15
	s_cbranch_scc1 .LBB73_53
.LBB73_54:                              ;   in Loop: Header=BB73_29 Depth=1
	s_mov_b64 s[16:17], s[4:5]
	s_mov_b32 s21, 0
	s_cbranch_execz .LBB73_56
	s_branch .LBB73_57
.LBB73_55:                              ;   in Loop: Header=BB73_29 Depth=1
                                        ; implicit-def: $vgpr14_vgpr15
	s_mov_b32 s21, 0
.LBB73_56:                              ;   in Loop: Header=BB73_29 Depth=1
	global_load_dwordx2 v[14:15], v7, s[4:5]
	s_add_i32 s21, s20, -8
.LBB73_57:                              ;   in Loop: Header=BB73_29 Depth=1
	s_add_u32 s4, s16, 8
	s_addc_u32 s5, s17, 0
	s_cmp_gt_u32 s21, 7
	s_cbranch_scc1 .LBB73_62
; %bb.58:                               ;   in Loop: Header=BB73_29 Depth=1
	v_mov_b32_e32 v16, 0
	v_mov_b32_e32 v17, 0
	s_cmp_eq_u32 s21, 0
	s_cbranch_scc1 .LBB73_61
; %bb.59:                               ;   in Loop: Header=BB73_29 Depth=1
	s_mov_b64 s[4:5], 0
	s_mov_b64 s[18:19], 0
.LBB73_60:                              ;   Parent Loop BB73_29 Depth=1
                                        ; =>  This Inner Loop Header: Depth=2
	s_add_u32 s22, s16, s18
	s_addc_u32 s23, s17, s19
	s_add_u32 s18, s18, 1
	global_load_ubyte v6, v7, s[22:23]
	s_addc_u32 s19, s19, 0
	s_waitcnt vmcnt(0)
	v_and_b32_e32 v6, 0xffff, v6
	v_lshlrev_b64 v[18:19], s4, v[6:7]
	s_add_u32 s4, s4, 8
	s_addc_u32 s5, s5, 0
	s_cmp_lg_u32 s21, s18
	v_or_b32_e32 v16, v18, v16
	v_or_b32_e32 v17, v19, v17
	s_cbranch_scc1 .LBB73_60
.LBB73_61:                              ;   in Loop: Header=BB73_29 Depth=1
	s_mov_b64 s[4:5], s[16:17]
	s_mov_b32 s20, 0
	s_cbranch_execz .LBB73_63
	s_branch .LBB73_64
.LBB73_62:                              ;   in Loop: Header=BB73_29 Depth=1
	s_mov_b32 s20, 0
.LBB73_63:                              ;   in Loop: Header=BB73_29 Depth=1
	global_load_dwordx2 v[16:17], v7, s[16:17]
	s_add_i32 s20, s21, -8
.LBB73_64:                              ;   in Loop: Header=BB73_29 Depth=1
	s_add_u32 s16, s4, 8
	s_addc_u32 s17, s5, 0
	s_cmp_gt_u32 s20, 7
	s_cbranch_scc1 .LBB73_69
; %bb.65:                               ;   in Loop: Header=BB73_29 Depth=1
	v_mov_b32_e32 v18, 0
	v_mov_b32_e32 v19, 0
	s_cmp_eq_u32 s20, 0
	s_cbranch_scc1 .LBB73_68
; %bb.66:                               ;   in Loop: Header=BB73_29 Depth=1
	s_mov_b64 s[16:17], 0
	s_mov_b64 s[18:19], 0
.LBB73_67:                              ;   Parent Loop BB73_29 Depth=1
                                        ; =>  This Inner Loop Header: Depth=2
	s_add_u32 s22, s4, s18
	s_addc_u32 s23, s5, s19
	s_add_u32 s18, s18, 1
	global_load_ubyte v6, v7, s[22:23]
	s_addc_u32 s19, s19, 0
	s_waitcnt vmcnt(0)
	v_and_b32_e32 v6, 0xffff, v6
	v_lshlrev_b64 v[20:21], s16, v[6:7]
	s_add_u32 s16, s16, 8
	s_addc_u32 s17, s17, 0
	s_cmp_lg_u32 s20, s18
	v_or_b32_e32 v18, v20, v18
	v_or_b32_e32 v19, v21, v19
	s_cbranch_scc1 .LBB73_67
.LBB73_68:                              ;   in Loop: Header=BB73_29 Depth=1
	s_mov_b64 s[16:17], s[4:5]
	s_mov_b32 s21, 0
	s_cbranch_execz .LBB73_70
	s_branch .LBB73_71
.LBB73_69:                              ;   in Loop: Header=BB73_29 Depth=1
                                        ; implicit-def: $vgpr18_vgpr19
	s_mov_b32 s21, 0
.LBB73_70:                              ;   in Loop: Header=BB73_29 Depth=1
	global_load_dwordx2 v[18:19], v7, s[4:5]
	s_add_i32 s21, s20, -8
.LBB73_71:                              ;   in Loop: Header=BB73_29 Depth=1
	s_cmp_gt_u32 s21, 7
	s_cbranch_scc1 .LBB73_76
; %bb.72:                               ;   in Loop: Header=BB73_29 Depth=1
	v_mov_b32_e32 v20, 0
	v_mov_b32_e32 v21, 0
	s_cmp_eq_u32 s21, 0
	s_cbranch_scc1 .LBB73_75
; %bb.73:                               ;   in Loop: Header=BB73_29 Depth=1
	s_mov_b64 s[4:5], 0
	s_mov_b64 s[18:19], s[16:17]
.LBB73_74:                              ;   Parent Loop BB73_29 Depth=1
                                        ; =>  This Inner Loop Header: Depth=2
	global_load_ubyte v6, v7, s[18:19]
	s_add_i32 s21, s21, -1
	s_waitcnt vmcnt(0)
	v_and_b32_e32 v6, 0xffff, v6
	v_lshlrev_b64 v[22:23], s4, v[6:7]
	s_add_u32 s4, s4, 8
	s_addc_u32 s5, s5, 0
	s_add_u32 s18, s18, 1
	s_addc_u32 s19, s19, 0
	s_cmp_lg_u32 s21, 0
	v_or_b32_e32 v20, v22, v20
	v_or_b32_e32 v21, v23, v21
	s_cbranch_scc1 .LBB73_74
.LBB73_75:                              ;   in Loop: Header=BB73_29 Depth=1
	s_cbranch_execz .LBB73_77
	s_branch .LBB73_78
.LBB73_76:                              ;   in Loop: Header=BB73_29 Depth=1
.LBB73_77:                              ;   in Loop: Header=BB73_29 Depth=1
	global_load_dwordx2 v[20:21], v7, s[16:17]
.LBB73_78:                              ;   in Loop: Header=BB73_29 Depth=1
	v_readfirstlane_b32 s4, v29
	v_mov_b32_e32 v26, 0
	v_mov_b32_e32 v27, 0
	v_cmp_eq_u32_e64 s4, s4, v29
	s_and_saveexec_b32 s5, s4
	s_cbranch_execz .LBB73_84
; %bb.79:                               ;   in Loop: Header=BB73_29 Depth=1
	global_load_dwordx2 v[24:25], v7, s[6:7] offset:24 glc dlc
	s_waitcnt vmcnt(0)
	buffer_gl1_inv
	buffer_gl0_inv
	s_clause 0x1
	global_load_dwordx2 v[22:23], v7, s[6:7] offset:40
	global_load_dwordx2 v[26:27], v7, s[6:7]
	s_mov_b32 s16, exec_lo
	s_waitcnt vmcnt(1)
	v_and_b32_e32 v6, v23, v25
	v_and_b32_e32 v22, v22, v24
	v_mul_lo_u32 v6, v6, 24
	v_mul_hi_u32 v23, v22, 24
	v_mul_lo_u32 v22, v22, 24
	v_add_nc_u32_e32 v6, v23, v6
	s_waitcnt vmcnt(0)
	v_add_co_u32 v22, vcc_lo, v26, v22
	v_add_co_ci_u32_e64 v23, null, v27, v6, vcc_lo
	global_load_dwordx2 v[22:23], v[22:23], off glc dlc
	s_waitcnt vmcnt(0)
	global_atomic_cmpswap_x2 v[26:27], v7, v[22:25], s[6:7] offset:24 glc
	s_waitcnt vmcnt(0)
	buffer_gl1_inv
	buffer_gl0_inv
	v_cmpx_ne_u64_e64 v[26:27], v[24:25]
	s_cbranch_execz .LBB73_83
; %bb.80:                               ;   in Loop: Header=BB73_29 Depth=1
	s_mov_b32 s17, 0
	.p2align	6
.LBB73_81:                              ;   Parent Loop BB73_29 Depth=1
                                        ; =>  This Inner Loop Header: Depth=2
	s_sleep 1
	s_clause 0x1
	global_load_dwordx2 v[22:23], v7, s[6:7] offset:40
	global_load_dwordx2 v[31:32], v7, s[6:7]
	v_mov_b32_e32 v24, v26
	v_mov_b32_e32 v25, v27
	s_waitcnt vmcnt(1)
	v_and_b32_e32 v6, v22, v24
	v_and_b32_e32 v22, v23, v25
	s_waitcnt vmcnt(0)
	v_mad_u64_u32 v[26:27], null, v6, 24, v[31:32]
	v_mov_b32_e32 v6, v27
	v_mad_u64_u32 v[22:23], null, v22, 24, v[6:7]
	v_mov_b32_e32 v27, v22
	global_load_dwordx2 v[22:23], v[26:27], off glc dlc
	s_waitcnt vmcnt(0)
	global_atomic_cmpswap_x2 v[26:27], v7, v[22:25], s[6:7] offset:24 glc
	s_waitcnt vmcnt(0)
	buffer_gl1_inv
	buffer_gl0_inv
	v_cmp_eq_u64_e32 vcc_lo, v[26:27], v[24:25]
	s_or_b32 s17, vcc_lo, s17
	s_andn2_b32 exec_lo, exec_lo, s17
	s_cbranch_execnz .LBB73_81
; %bb.82:                               ;   in Loop: Header=BB73_29 Depth=1
	s_or_b32 exec_lo, exec_lo, s17
.LBB73_83:                              ;   in Loop: Header=BB73_29 Depth=1
	s_or_b32 exec_lo, exec_lo, s16
.LBB73_84:                              ;   in Loop: Header=BB73_29 Depth=1
	s_or_b32 exec_lo, exec_lo, s5
	s_clause 0x1
	global_load_dwordx2 v[31:32], v7, s[6:7] offset:40
	global_load_dwordx4 v[22:25], v7, s[6:7]
	v_readfirstlane_b32 s17, v27
	v_readfirstlane_b32 s16, v26
	s_mov_b32 s5, exec_lo
	s_waitcnt vmcnt(1)
	v_readfirstlane_b32 s18, v31
	v_readfirstlane_b32 s19, v32
	s_and_b64 s[18:19], s[18:19], s[16:17]
	s_mul_i32 s20, s19, 24
	s_mul_hi_u32 s21, s18, 24
	s_mul_i32 s22, s18, 24
	s_add_i32 s21, s21, s20
	s_waitcnt vmcnt(0)
	v_add_co_u32 v26, vcc_lo, v22, s22
	v_add_co_ci_u32_e64 v27, null, s21, v23, vcc_lo
	s_and_saveexec_b32 s20, s4
	s_cbranch_execz .LBB73_86
; %bb.85:                               ;   in Loop: Header=BB73_29 Depth=1
	v_mov_b32_e32 v6, s5
	global_store_dwordx4 v[26:27], v[6:9], off offset:8
.LBB73_86:                              ;   in Loop: Header=BB73_29 Depth=1
	s_or_b32 exec_lo, exec_lo, s20
	v_cmp_lt_u64_e64 vcc_lo, s[12:13], 57
	s_lshl_b64 s[18:19], s[18:19], 12
	v_and_b32_e32 v0, 0xffffff1f, v0
	s_lshl_b32 s5, s14, 2
	s_add_i32 s5, s5, 28
	v_cndmask_b32_e32 v6, 0, v30, vcc_lo
	v_add_co_u32 v24, vcc_lo, v24, s18
	v_add_co_ci_u32_e64 v25, null, s19, v25, vcc_lo
	v_or_b32_e32 v0, v0, v6
	v_readfirstlane_b32 s18, v24
	v_readfirstlane_b32 s19, v25
	v_and_or_b32 v0, 0x1e0, s5, v0
	global_store_dwordx4 v28, v[10:13], s[18:19] offset:16
	global_store_dwordx4 v28, v[0:3], s[18:19]
	global_store_dwordx4 v28, v[14:17], s[18:19] offset:32
	global_store_dwordx4 v28, v[18:21], s[18:19] offset:48
	s_and_saveexec_b32 s5, s4
	s_cbranch_execz .LBB73_94
; %bb.87:                               ;   in Loop: Header=BB73_29 Depth=1
	s_clause 0x1
	global_load_dwordx2 v[14:15], v7, s[6:7] offset:32 glc dlc
	global_load_dwordx2 v[0:1], v7, s[6:7] offset:40
	v_mov_b32_e32 v12, s16
	v_mov_b32_e32 v13, s17
	s_waitcnt vmcnt(0)
	v_readfirstlane_b32 s18, v0
	v_readfirstlane_b32 s19, v1
	s_and_b64 s[18:19], s[18:19], s[16:17]
	s_mul_i32 s19, s19, 24
	s_mul_hi_u32 s20, s18, 24
	s_mul_i32 s18, s18, 24
	s_add_i32 s20, s20, s19
	v_add_co_u32 v10, vcc_lo, v22, s18
	v_add_co_ci_u32_e64 v11, null, s20, v23, vcc_lo
	s_mov_b32 s18, exec_lo
	global_store_dwordx2 v[10:11], v[14:15], off
	s_waitcnt_vscnt null, 0x0
	global_atomic_cmpswap_x2 v[2:3], v7, v[12:15], s[6:7] offset:32 glc
	s_waitcnt vmcnt(0)
	v_cmpx_ne_u64_e64 v[2:3], v[14:15]
	s_cbranch_execz .LBB73_90
; %bb.88:                               ;   in Loop: Header=BB73_29 Depth=1
	s_mov_b32 s19, 0
.LBB73_89:                              ;   Parent Loop BB73_29 Depth=1
                                        ; =>  This Inner Loop Header: Depth=2
	v_mov_b32_e32 v0, s16
	v_mov_b32_e32 v1, s17
	s_sleep 1
	global_store_dwordx2 v[10:11], v[2:3], off
	s_waitcnt_vscnt null, 0x0
	global_atomic_cmpswap_x2 v[0:1], v7, v[0:3], s[6:7] offset:32 glc
	s_waitcnt vmcnt(0)
	v_cmp_eq_u64_e32 vcc_lo, v[0:1], v[2:3]
	v_mov_b32_e32 v3, v1
	v_mov_b32_e32 v2, v0
	s_or_b32 s19, vcc_lo, s19
	s_andn2_b32 exec_lo, exec_lo, s19
	s_cbranch_execnz .LBB73_89
.LBB73_90:                              ;   in Loop: Header=BB73_29 Depth=1
	s_or_b32 exec_lo, exec_lo, s18
	global_load_dwordx2 v[0:1], v7, s[6:7] offset:16
	s_mov_b32 s19, exec_lo
	s_mov_b32 s18, exec_lo
	v_mbcnt_lo_u32_b32 v2, s19, 0
	v_cmpx_eq_u32_e32 0, v2
	s_cbranch_execz .LBB73_92
; %bb.91:                               ;   in Loop: Header=BB73_29 Depth=1
	s_bcnt1_i32_b32 s19, s19
	v_mov_b32_e32 v6, s19
	s_waitcnt vmcnt(0)
	global_atomic_add_x2 v[0:1], v[6:7], off offset:8
.LBB73_92:                              ;   in Loop: Header=BB73_29 Depth=1
	s_or_b32 exec_lo, exec_lo, s18
	s_waitcnt vmcnt(0)
	global_load_dwordx2 v[2:3], v[0:1], off offset:16
	s_waitcnt vmcnt(0)
	v_cmp_eq_u64_e32 vcc_lo, 0, v[2:3]
	s_cbranch_vccnz .LBB73_94
; %bb.93:                               ;   in Loop: Header=BB73_29 Depth=1
	global_load_dword v6, v[0:1], off offset:24
	s_waitcnt vmcnt(0)
	v_readfirstlane_b32 s18, v6
	s_waitcnt_vscnt null, 0x0
	global_store_dwordx2 v[2:3], v[6:7], off
	s_and_b32 m0, s18, 0x7fffff
	s_sendmsg sendmsg(MSG_INTERRUPT)
.LBB73_94:                              ;   in Loop: Header=BB73_29 Depth=1
	s_or_b32 exec_lo, exec_lo, s5
	v_add_co_u32 v0, vcc_lo, v24, v28
	v_add_co_ci_u32_e64 v1, null, 0, v25, vcc_lo
	s_branch .LBB73_98
	.p2align	6
.LBB73_95:                              ;   in Loop: Header=BB73_98 Depth=2
	s_or_b32 exec_lo, exec_lo, s5
	v_readfirstlane_b32 s5, v2
	s_cmp_eq_u32 s5, 0
	s_cbranch_scc1 .LBB73_97
; %bb.96:                               ;   in Loop: Header=BB73_98 Depth=2
	s_sleep 1
	s_cbranch_execnz .LBB73_98
	s_branch .LBB73_100
	.p2align	6
.LBB73_97:                              ;   in Loop: Header=BB73_29 Depth=1
	s_branch .LBB73_100
.LBB73_98:                              ;   Parent Loop BB73_29 Depth=1
                                        ; =>  This Inner Loop Header: Depth=2
	v_mov_b32_e32 v2, 1
	s_and_saveexec_b32 s5, s4
	s_cbranch_execz .LBB73_95
; %bb.99:                               ;   in Loop: Header=BB73_98 Depth=2
	global_load_dword v2, v[26:27], off offset:20 glc dlc
	s_waitcnt vmcnt(0)
	buffer_gl1_inv
	buffer_gl0_inv
	v_and_b32_e32 v2, 1, v2
	s_branch .LBB73_95
.LBB73_100:                             ;   in Loop: Header=BB73_29 Depth=1
	global_load_dwordx2 v[0:1], v[0:1], off
	s_and_saveexec_b32 s18, s4
	s_cbranch_execz .LBB73_28
; %bb.101:                              ;   in Loop: Header=BB73_29 Depth=1
	s_clause 0x2
	global_load_dwordx2 v[2:3], v7, s[6:7] offset:40
	global_load_dwordx2 v[14:15], v7, s[6:7] offset:24 glc dlc
	global_load_dwordx2 v[10:11], v7, s[6:7]
	s_waitcnt vmcnt(2)
	v_readfirstlane_b32 s20, v2
	v_readfirstlane_b32 s21, v3
	s_add_u32 s19, s20, 1
	s_addc_u32 s22, s21, 0
	s_add_u32 s4, s19, s16
	s_addc_u32 s5, s22, s17
	s_cmp_eq_u64 s[4:5], 0
	s_cselect_b32 s5, s22, s5
	s_cselect_b32 s4, s19, s4
	v_mov_b32_e32 v13, s5
	s_and_b64 s[16:17], s[4:5], s[20:21]
	v_mov_b32_e32 v12, s4
	s_mul_i32 s17, s17, 24
	s_mul_hi_u32 s19, s16, 24
	s_mul_i32 s16, s16, 24
	s_add_i32 s19, s19, s17
	s_waitcnt vmcnt(0)
	v_add_co_u32 v2, vcc_lo, v10, s16
	v_add_co_ci_u32_e64 v3, null, s19, v11, vcc_lo
	global_store_dwordx2 v[2:3], v[14:15], off
	s_waitcnt_vscnt null, 0x0
	global_atomic_cmpswap_x2 v[12:13], v7, v[12:15], s[6:7] offset:24 glc
	s_waitcnt vmcnt(0)
	v_cmp_ne_u64_e32 vcc_lo, v[12:13], v[14:15]
	s_and_b32 exec_lo, exec_lo, vcc_lo
	s_cbranch_execz .LBB73_28
; %bb.102:                              ;   in Loop: Header=BB73_29 Depth=1
	s_mov_b32 s16, 0
.LBB73_103:                             ;   Parent Loop BB73_29 Depth=1
                                        ; =>  This Inner Loop Header: Depth=2
	v_mov_b32_e32 v10, s4
	v_mov_b32_e32 v11, s5
	s_sleep 1
	global_store_dwordx2 v[2:3], v[12:13], off
	s_waitcnt_vscnt null, 0x0
	global_atomic_cmpswap_x2 v[10:11], v7, v[10:13], s[6:7] offset:24 glc
	s_waitcnt vmcnt(0)
	v_cmp_eq_u64_e32 vcc_lo, v[10:11], v[12:13]
	v_mov_b32_e32 v13, v11
	v_mov_b32_e32 v12, v10
	s_or_b32 s16, vcc_lo, s16
	s_andn2_b32 exec_lo, exec_lo, s16
	s_cbranch_execnz .LBB73_103
	s_branch .LBB73_28
.LBB73_104:
                                        ; implicit-def: $vgpr0_vgpr1
	s_cbranch_execnz .LBB73_106
	s_branch .LBB73_133
.LBB73_105:
	s_branch .LBB73_133
.LBB73_106:
	v_readfirstlane_b32 s4, v29
	v_mov_b32_e32 v7, 0
	v_mov_b32_e32 v8, 0
	v_cmp_eq_u32_e64 s4, s4, v29
	s_and_saveexec_b32 s5, s4
	s_cbranch_execz .LBB73_112
; %bb.107:
	s_waitcnt vmcnt(0)
	v_mov_b32_e32 v0, 0
	s_mov_b32 s10, exec_lo
	global_load_dwordx2 v[9:10], v0, s[6:7] offset:24 glc dlc
	s_waitcnt vmcnt(0)
	buffer_gl1_inv
	buffer_gl0_inv
	s_clause 0x1
	global_load_dwordx2 v[1:2], v0, s[6:7] offset:40
	global_load_dwordx2 v[6:7], v0, s[6:7]
	s_waitcnt vmcnt(1)
	v_and_b32_e32 v2, v2, v10
	v_and_b32_e32 v1, v1, v9
	v_mul_lo_u32 v2, v2, 24
	v_mul_hi_u32 v3, v1, 24
	v_mul_lo_u32 v1, v1, 24
	v_add_nc_u32_e32 v2, v3, v2
	s_waitcnt vmcnt(0)
	v_add_co_u32 v1, vcc_lo, v6, v1
	v_add_co_ci_u32_e64 v2, null, v7, v2, vcc_lo
	global_load_dwordx2 v[7:8], v[1:2], off glc dlc
	s_waitcnt vmcnt(0)
	global_atomic_cmpswap_x2 v[7:8], v0, v[7:10], s[6:7] offset:24 glc
	s_waitcnt vmcnt(0)
	buffer_gl1_inv
	buffer_gl0_inv
	v_cmpx_ne_u64_e64 v[7:8], v[9:10]
	s_cbranch_execz .LBB73_111
; %bb.108:
	s_mov_b32 s11, 0
	.p2align	6
.LBB73_109:                             ; =>This Inner Loop Header: Depth=1
	s_sleep 1
	s_clause 0x1
	global_load_dwordx2 v[1:2], v0, s[6:7] offset:40
	global_load_dwordx2 v[11:12], v0, s[6:7]
	v_mov_b32_e32 v10, v8
	v_mov_b32_e32 v9, v7
	s_waitcnt vmcnt(1)
	v_and_b32_e32 v1, v1, v9
	v_and_b32_e32 v2, v2, v10
	s_waitcnt vmcnt(0)
	v_mad_u64_u32 v[6:7], null, v1, 24, v[11:12]
	v_mov_b32_e32 v1, v7
	v_mad_u64_u32 v[1:2], null, v2, 24, v[1:2]
	v_mov_b32_e32 v7, v1
	global_load_dwordx2 v[7:8], v[6:7], off glc dlc
	s_waitcnt vmcnt(0)
	global_atomic_cmpswap_x2 v[7:8], v0, v[7:10], s[6:7] offset:24 glc
	s_waitcnt vmcnt(0)
	buffer_gl1_inv
	buffer_gl0_inv
	v_cmp_eq_u64_e32 vcc_lo, v[7:8], v[9:10]
	s_or_b32 s11, vcc_lo, s11
	s_andn2_b32 exec_lo, exec_lo, s11
	s_cbranch_execnz .LBB73_109
; %bb.110:
	s_or_b32 exec_lo, exec_lo, s11
.LBB73_111:
	s_or_b32 exec_lo, exec_lo, s10
.LBB73_112:
	s_or_b32 exec_lo, exec_lo, s5
	v_mov_b32_e32 v6, 0
	v_readfirstlane_b32 s11, v8
	v_readfirstlane_b32 s10, v7
	s_mov_b32 s5, exec_lo
	s_clause 0x1
	global_load_dwordx2 v[9:10], v6, s[6:7] offset:40
	global_load_dwordx4 v[0:3], v6, s[6:7]
	s_waitcnt vmcnt(1)
	v_readfirstlane_b32 s12, v9
	v_readfirstlane_b32 s13, v10
	s_and_b64 s[12:13], s[12:13], s[10:11]
	s_mul_i32 s14, s13, 24
	s_mul_hi_u32 s15, s12, 24
	s_mul_i32 s16, s12, 24
	s_add_i32 s15, s15, s14
	s_waitcnt vmcnt(0)
	v_add_co_u32 v8, vcc_lo, v0, s16
	v_add_co_ci_u32_e64 v9, null, s15, v1, vcc_lo
	s_and_saveexec_b32 s14, s4
	s_cbranch_execz .LBB73_114
; %bb.113:
	v_mov_b32_e32 v10, s5
	v_mov_b32_e32 v11, v6
	;; [unrolled: 1-line block ×4, first 2 shown]
	global_store_dwordx4 v[8:9], v[10:13], off offset:8
.LBB73_114:
	s_or_b32 exec_lo, exec_lo, s14
	s_lshl_b64 s[12:13], s[12:13], 12
	v_and_or_b32 v4, 0xffffff1f, v4, 32
	v_add_co_u32 v2, vcc_lo, v2, s12
	v_add_co_ci_u32_e64 v3, null, s13, v3, vcc_lo
	s_mov_b32 s12, 0
	v_add_co_u32 v10, vcc_lo, v2, v28
	s_mov_b32 s13, s12
	s_mov_b32 s14, s12
	;; [unrolled: 1-line block ×3, first 2 shown]
	v_mov_b32_e32 v7, v6
	v_readfirstlane_b32 s16, v2
	v_readfirstlane_b32 s17, v3
	v_mov_b32_e32 v12, s12
	v_add_co_ci_u32_e64 v11, null, 0, v3, vcc_lo
	v_mov_b32_e32 v13, s13
	v_mov_b32_e32 v14, s14
	;; [unrolled: 1-line block ×3, first 2 shown]
	global_store_dwordx4 v28, v[4:7], s[16:17]
	global_store_dwordx4 v28, v[12:15], s[16:17] offset:16
	global_store_dwordx4 v28, v[12:15], s[16:17] offset:32
	global_store_dwordx4 v28, v[12:15], s[16:17] offset:48
	s_and_saveexec_b32 s5, s4
	s_cbranch_execz .LBB73_122
; %bb.115:
	v_mov_b32_e32 v6, 0
	v_mov_b32_e32 v12, s10
	;; [unrolled: 1-line block ×3, first 2 shown]
	s_clause 0x1
	global_load_dwordx2 v[14:15], v6, s[6:7] offset:32 glc dlc
	global_load_dwordx2 v[2:3], v6, s[6:7] offset:40
	s_waitcnt vmcnt(0)
	v_readfirstlane_b32 s12, v2
	v_readfirstlane_b32 s13, v3
	s_and_b64 s[12:13], s[12:13], s[10:11]
	s_mul_i32 s13, s13, 24
	s_mul_hi_u32 s14, s12, 24
	s_mul_i32 s12, s12, 24
	s_add_i32 s14, s14, s13
	v_add_co_u32 v4, vcc_lo, v0, s12
	v_add_co_ci_u32_e64 v5, null, s14, v1, vcc_lo
	s_mov_b32 s12, exec_lo
	global_store_dwordx2 v[4:5], v[14:15], off
	s_waitcnt_vscnt null, 0x0
	global_atomic_cmpswap_x2 v[2:3], v6, v[12:15], s[6:7] offset:32 glc
	s_waitcnt vmcnt(0)
	v_cmpx_ne_u64_e64 v[2:3], v[14:15]
	s_cbranch_execz .LBB73_118
; %bb.116:
	s_mov_b32 s13, 0
.LBB73_117:                             ; =>This Inner Loop Header: Depth=1
	v_mov_b32_e32 v0, s10
	v_mov_b32_e32 v1, s11
	s_sleep 1
	global_store_dwordx2 v[4:5], v[2:3], off
	s_waitcnt_vscnt null, 0x0
	global_atomic_cmpswap_x2 v[0:1], v6, v[0:3], s[6:7] offset:32 glc
	s_waitcnt vmcnt(0)
	v_cmp_eq_u64_e32 vcc_lo, v[0:1], v[2:3]
	v_mov_b32_e32 v3, v1
	v_mov_b32_e32 v2, v0
	s_or_b32 s13, vcc_lo, s13
	s_andn2_b32 exec_lo, exec_lo, s13
	s_cbranch_execnz .LBB73_117
.LBB73_118:
	s_or_b32 exec_lo, exec_lo, s12
	v_mov_b32_e32 v3, 0
	s_mov_b32 s13, exec_lo
	s_mov_b32 s12, exec_lo
	v_mbcnt_lo_u32_b32 v2, s13, 0
	global_load_dwordx2 v[0:1], v3, s[6:7] offset:16
	v_cmpx_eq_u32_e32 0, v2
	s_cbranch_execz .LBB73_120
; %bb.119:
	s_bcnt1_i32_b32 s13, s13
	v_mov_b32_e32 v2, s13
	s_waitcnt vmcnt(0)
	global_atomic_add_x2 v[0:1], v[2:3], off offset:8
.LBB73_120:
	s_or_b32 exec_lo, exec_lo, s12
	s_waitcnt vmcnt(0)
	global_load_dwordx2 v[2:3], v[0:1], off offset:16
	s_waitcnt vmcnt(0)
	v_cmp_eq_u64_e32 vcc_lo, 0, v[2:3]
	s_cbranch_vccnz .LBB73_122
; %bb.121:
	global_load_dword v0, v[0:1], off offset:24
	v_mov_b32_e32 v1, 0
	s_waitcnt vmcnt(0)
	v_readfirstlane_b32 s12, v0
	s_waitcnt_vscnt null, 0x0
	global_store_dwordx2 v[2:3], v[0:1], off
	s_and_b32 m0, s12, 0x7fffff
	s_sendmsg sendmsg(MSG_INTERRUPT)
.LBB73_122:
	s_or_b32 exec_lo, exec_lo, s5
	s_branch .LBB73_126
	.p2align	6
.LBB73_123:                             ;   in Loop: Header=BB73_126 Depth=1
	s_or_b32 exec_lo, exec_lo, s5
	v_readfirstlane_b32 s5, v0
	s_cmp_eq_u32 s5, 0
	s_cbranch_scc1 .LBB73_125
; %bb.124:                              ;   in Loop: Header=BB73_126 Depth=1
	s_sleep 1
	s_cbranch_execnz .LBB73_126
	s_branch .LBB73_128
	.p2align	6
.LBB73_125:
	s_branch .LBB73_128
.LBB73_126:                             ; =>This Inner Loop Header: Depth=1
	v_mov_b32_e32 v0, 1
	s_and_saveexec_b32 s5, s4
	s_cbranch_execz .LBB73_123
; %bb.127:                              ;   in Loop: Header=BB73_126 Depth=1
	global_load_dword v0, v[8:9], off offset:20 glc dlc
	s_waitcnt vmcnt(0)
	buffer_gl1_inv
	buffer_gl0_inv
	v_and_b32_e32 v0, 1, v0
	s_branch .LBB73_123
.LBB73_128:
	global_load_dwordx2 v[0:1], v[10:11], off
	s_and_saveexec_b32 s12, s4
	s_cbranch_execz .LBB73_132
; %bb.129:
	v_mov_b32_e32 v8, 0
	s_clause 0x2
	global_load_dwordx2 v[2:3], v8, s[6:7] offset:40
	global_load_dwordx2 v[11:12], v8, s[6:7] offset:24 glc dlc
	global_load_dwordx2 v[4:5], v8, s[6:7]
	s_waitcnt vmcnt(2)
	v_readfirstlane_b32 s14, v2
	v_readfirstlane_b32 s15, v3
	s_add_u32 s13, s14, 1
	s_addc_u32 s16, s15, 0
	s_add_u32 s4, s13, s10
	s_addc_u32 s5, s16, s11
	s_cmp_eq_u64 s[4:5], 0
	s_cselect_b32 s5, s16, s5
	s_cselect_b32 s4, s13, s4
	v_mov_b32_e32 v10, s5
	s_and_b64 s[10:11], s[4:5], s[14:15]
	v_mov_b32_e32 v9, s4
	s_mul_i32 s11, s11, 24
	s_mul_hi_u32 s13, s10, 24
	s_mul_i32 s10, s10, 24
	s_add_i32 s13, s13, s11
	s_waitcnt vmcnt(0)
	v_add_co_u32 v6, vcc_lo, v4, s10
	v_add_co_ci_u32_e64 v7, null, s13, v5, vcc_lo
	global_store_dwordx2 v[6:7], v[11:12], off
	s_waitcnt_vscnt null, 0x0
	global_atomic_cmpswap_x2 v[4:5], v8, v[9:12], s[6:7] offset:24 glc
	s_waitcnt vmcnt(0)
	v_cmp_ne_u64_e32 vcc_lo, v[4:5], v[11:12]
	s_and_b32 exec_lo, exec_lo, vcc_lo
	s_cbranch_execz .LBB73_132
; %bb.130:
	s_mov_b32 s10, 0
.LBB73_131:                             ; =>This Inner Loop Header: Depth=1
	v_mov_b32_e32 v2, s4
	v_mov_b32_e32 v3, s5
	s_sleep 1
	global_store_dwordx2 v[6:7], v[4:5], off
	s_waitcnt_vscnt null, 0x0
	global_atomic_cmpswap_x2 v[2:3], v8, v[2:5], s[6:7] offset:24 glc
	s_waitcnt vmcnt(0)
	v_cmp_eq_u64_e32 vcc_lo, v[2:3], v[4:5]
	v_mov_b32_e32 v5, v3
	v_mov_b32_e32 v4, v2
	s_or_b32 s10, vcc_lo, s10
	s_andn2_b32 exec_lo, exec_lo, s10
	s_cbranch_execnz .LBB73_131
.LBB73_132:
	s_or_b32 exec_lo, exec_lo, s12
.LBB73_133:
	s_getpc_b64 s[4:5]
	s_add_u32 s4, s4, .str.3@rel32@lo+4
	s_addc_u32 s5, s5, .str.3@rel32@hi+12
	s_mov_b64 s[10:11], 0
	s_cmp_lg_u64 s[4:5], 0
	s_cselect_b32 s12, -1, 0
	s_cmp_eq_u64 s[4:5], 0
	s_cbranch_scc1 .LBB73_137
; %bb.134:
	v_mov_b32_e32 v2, 0
	s_getpc_b64 s[4:5]
	s_add_u32 s4, s4, .str.3@rel32@lo+3
	s_addc_u32 s5, s5, .str.3@rel32@hi+11
.LBB73_135:                             ; =>This Inner Loop Header: Depth=1
	global_load_ubyte v3, v2, s[4:5] offset:1
	s_add_u32 s10, s4, 1
	s_addc_u32 s11, s5, 0
	s_mov_b64 s[4:5], s[10:11]
	s_waitcnt vmcnt(0)
	v_cmp_ne_u32_e32 vcc_lo, 0, v3
	s_cbranch_vccnz .LBB73_135
; %bb.136:
	s_getpc_b64 s[4:5]
	s_add_u32 s4, s4, .str.3@rel32@lo+4
	s_addc_u32 s5, s5, .str.3@rel32@hi+12
	s_sub_u32 s4, s10, s4
	s_subb_u32 s5, s11, s5
	s_add_u32 s10, s4, 1
	s_addc_u32 s11, s5, 0
.LBB73_137:
	s_and_b32 vcc_lo, exec_lo, s12
	s_cbranch_vccz .LBB73_215
; %bb.138:
	s_waitcnt vmcnt(0)
	v_and_b32_e32 v30, 2, v0
	v_mov_b32_e32 v7, 0
	v_and_b32_e32 v2, -3, v0
	v_mov_b32_e32 v3, v1
	v_mov_b32_e32 v8, 2
	;; [unrolled: 1-line block ×3, first 2 shown]
	s_getpc_b64 s[12:13]
	s_add_u32 s12, s12, .str.3@rel32@lo+4
	s_addc_u32 s13, s13, .str.3@rel32@hi+12
	s_branch .LBB73_140
.LBB73_139:                             ;   in Loop: Header=BB73_140 Depth=1
	s_or_b32 exec_lo, exec_lo, s18
	s_sub_u32 s10, s10, s14
	s_subb_u32 s11, s11, s15
	s_add_u32 s12, s12, s14
	s_addc_u32 s13, s13, s15
	s_cmp_lg_u64 s[10:11], 0
	s_cbranch_scc0 .LBB73_216
.LBB73_140:                             ; =>This Loop Header: Depth=1
                                        ;     Child Loop BB73_143 Depth 2
                                        ;     Child Loop BB73_150 Depth 2
	;; [unrolled: 1-line block ×11, first 2 shown]
	v_cmp_lt_u64_e64 s4, s[10:11], 56
	v_cmp_gt_u64_e64 s16, s[10:11], 7
	s_and_b32 s4, s4, exec_lo
	s_cselect_b32 s15, s11, 0
	s_cselect_b32 s14, s10, 56
	s_add_u32 s4, s12, 8
	s_addc_u32 s5, s13, 0
	s_and_b32 vcc_lo, exec_lo, s16
	s_cbranch_vccnz .LBB73_145
; %bb.141:                              ;   in Loop: Header=BB73_140 Depth=1
	v_mov_b32_e32 v4, 0
	v_mov_b32_e32 v5, 0
	s_cmp_eq_u64 s[10:11], 0
	s_cbranch_scc1 .LBB73_144
; %bb.142:                              ;   in Loop: Header=BB73_140 Depth=1
	s_lshl_b64 s[4:5], s[14:15], 3
	s_mov_b64 s[16:17], 0
	s_mov_b64 s[18:19], s[12:13]
.LBB73_143:                             ;   Parent Loop BB73_140 Depth=1
                                        ; =>  This Inner Loop Header: Depth=2
	global_load_ubyte v6, v7, s[18:19]
	s_waitcnt vmcnt(0)
	v_and_b32_e32 v6, 0xffff, v6
	v_lshlrev_b64 v[10:11], s16, v[6:7]
	s_add_u32 s16, s16, 8
	s_addc_u32 s17, s17, 0
	s_add_u32 s18, s18, 1
	s_addc_u32 s19, s19, 0
	s_cmp_lg_u32 s4, s16
	v_or_b32_e32 v4, v10, v4
	v_or_b32_e32 v5, v11, v5
	s_cbranch_scc1 .LBB73_143
.LBB73_144:                             ;   in Loop: Header=BB73_140 Depth=1
	s_mov_b64 s[4:5], s[12:13]
	s_mov_b32 s20, 0
	s_cbranch_execz .LBB73_146
	s_branch .LBB73_147
.LBB73_145:                             ;   in Loop: Header=BB73_140 Depth=1
	s_mov_b32 s20, 0
.LBB73_146:                             ;   in Loop: Header=BB73_140 Depth=1
	global_load_dwordx2 v[4:5], v7, s[12:13]
	s_add_i32 s20, s14, -8
.LBB73_147:                             ;   in Loop: Header=BB73_140 Depth=1
	s_add_u32 s16, s4, 8
	s_addc_u32 s17, s5, 0
	s_cmp_gt_u32 s20, 7
	s_cbranch_scc1 .LBB73_152
; %bb.148:                              ;   in Loop: Header=BB73_140 Depth=1
	v_mov_b32_e32 v10, 0
	v_mov_b32_e32 v11, 0
	s_cmp_eq_u32 s20, 0
	s_cbranch_scc1 .LBB73_151
; %bb.149:                              ;   in Loop: Header=BB73_140 Depth=1
	s_mov_b64 s[16:17], 0
	s_mov_b64 s[18:19], 0
.LBB73_150:                             ;   Parent Loop BB73_140 Depth=1
                                        ; =>  This Inner Loop Header: Depth=2
	s_add_u32 s22, s4, s18
	s_addc_u32 s23, s5, s19
	s_add_u32 s18, s18, 1
	global_load_ubyte v6, v7, s[22:23]
	s_addc_u32 s19, s19, 0
	s_waitcnt vmcnt(0)
	v_and_b32_e32 v6, 0xffff, v6
	v_lshlrev_b64 v[12:13], s16, v[6:7]
	s_add_u32 s16, s16, 8
	s_addc_u32 s17, s17, 0
	s_cmp_lg_u32 s20, s18
	v_or_b32_e32 v10, v12, v10
	v_or_b32_e32 v11, v13, v11
	s_cbranch_scc1 .LBB73_150
.LBB73_151:                             ;   in Loop: Header=BB73_140 Depth=1
	s_mov_b64 s[16:17], s[4:5]
	s_mov_b32 s21, 0
	s_cbranch_execz .LBB73_153
	s_branch .LBB73_154
.LBB73_152:                             ;   in Loop: Header=BB73_140 Depth=1
                                        ; implicit-def: $vgpr10_vgpr11
	s_mov_b32 s21, 0
.LBB73_153:                             ;   in Loop: Header=BB73_140 Depth=1
	global_load_dwordx2 v[10:11], v7, s[4:5]
	s_add_i32 s21, s20, -8
.LBB73_154:                             ;   in Loop: Header=BB73_140 Depth=1
	s_add_u32 s4, s16, 8
	s_addc_u32 s5, s17, 0
	s_cmp_gt_u32 s21, 7
	s_cbranch_scc1 .LBB73_159
; %bb.155:                              ;   in Loop: Header=BB73_140 Depth=1
	v_mov_b32_e32 v12, 0
	v_mov_b32_e32 v13, 0
	s_cmp_eq_u32 s21, 0
	s_cbranch_scc1 .LBB73_158
; %bb.156:                              ;   in Loop: Header=BB73_140 Depth=1
	s_mov_b64 s[4:5], 0
	s_mov_b64 s[18:19], 0
.LBB73_157:                             ;   Parent Loop BB73_140 Depth=1
                                        ; =>  This Inner Loop Header: Depth=2
	s_add_u32 s22, s16, s18
	s_addc_u32 s23, s17, s19
	s_add_u32 s18, s18, 1
	global_load_ubyte v6, v7, s[22:23]
	s_addc_u32 s19, s19, 0
	s_waitcnt vmcnt(0)
	v_and_b32_e32 v6, 0xffff, v6
	v_lshlrev_b64 v[14:15], s4, v[6:7]
	s_add_u32 s4, s4, 8
	s_addc_u32 s5, s5, 0
	s_cmp_lg_u32 s21, s18
	v_or_b32_e32 v12, v14, v12
	v_or_b32_e32 v13, v15, v13
	s_cbranch_scc1 .LBB73_157
.LBB73_158:                             ;   in Loop: Header=BB73_140 Depth=1
	s_mov_b64 s[4:5], s[16:17]
	s_mov_b32 s20, 0
	s_cbranch_execz .LBB73_160
	s_branch .LBB73_161
.LBB73_159:                             ;   in Loop: Header=BB73_140 Depth=1
	s_mov_b32 s20, 0
.LBB73_160:                             ;   in Loop: Header=BB73_140 Depth=1
	global_load_dwordx2 v[12:13], v7, s[16:17]
	s_add_i32 s20, s21, -8
.LBB73_161:                             ;   in Loop: Header=BB73_140 Depth=1
	s_add_u32 s16, s4, 8
	s_addc_u32 s17, s5, 0
	s_cmp_gt_u32 s20, 7
	s_cbranch_scc1 .LBB73_166
; %bb.162:                              ;   in Loop: Header=BB73_140 Depth=1
	v_mov_b32_e32 v14, 0
	v_mov_b32_e32 v15, 0
	s_cmp_eq_u32 s20, 0
	s_cbranch_scc1 .LBB73_165
; %bb.163:                              ;   in Loop: Header=BB73_140 Depth=1
	s_mov_b64 s[16:17], 0
	s_mov_b64 s[18:19], 0
.LBB73_164:                             ;   Parent Loop BB73_140 Depth=1
                                        ; =>  This Inner Loop Header: Depth=2
	s_add_u32 s22, s4, s18
	s_addc_u32 s23, s5, s19
	s_add_u32 s18, s18, 1
	global_load_ubyte v6, v7, s[22:23]
	s_addc_u32 s19, s19, 0
	s_waitcnt vmcnt(0)
	v_and_b32_e32 v6, 0xffff, v6
	v_lshlrev_b64 v[16:17], s16, v[6:7]
	s_add_u32 s16, s16, 8
	s_addc_u32 s17, s17, 0
	s_cmp_lg_u32 s20, s18
	v_or_b32_e32 v14, v16, v14
	v_or_b32_e32 v15, v17, v15
	s_cbranch_scc1 .LBB73_164
.LBB73_165:                             ;   in Loop: Header=BB73_140 Depth=1
	s_mov_b64 s[16:17], s[4:5]
	s_mov_b32 s21, 0
	s_cbranch_execz .LBB73_167
	s_branch .LBB73_168
.LBB73_166:                             ;   in Loop: Header=BB73_140 Depth=1
                                        ; implicit-def: $vgpr14_vgpr15
	s_mov_b32 s21, 0
.LBB73_167:                             ;   in Loop: Header=BB73_140 Depth=1
	global_load_dwordx2 v[14:15], v7, s[4:5]
	s_add_i32 s21, s20, -8
.LBB73_168:                             ;   in Loop: Header=BB73_140 Depth=1
	s_add_u32 s4, s16, 8
	s_addc_u32 s5, s17, 0
	s_cmp_gt_u32 s21, 7
	s_cbranch_scc1 .LBB73_173
; %bb.169:                              ;   in Loop: Header=BB73_140 Depth=1
	v_mov_b32_e32 v16, 0
	v_mov_b32_e32 v17, 0
	s_cmp_eq_u32 s21, 0
	s_cbranch_scc1 .LBB73_172
; %bb.170:                              ;   in Loop: Header=BB73_140 Depth=1
	s_mov_b64 s[4:5], 0
	s_mov_b64 s[18:19], 0
.LBB73_171:                             ;   Parent Loop BB73_140 Depth=1
                                        ; =>  This Inner Loop Header: Depth=2
	s_add_u32 s22, s16, s18
	s_addc_u32 s23, s17, s19
	s_add_u32 s18, s18, 1
	global_load_ubyte v6, v7, s[22:23]
	s_addc_u32 s19, s19, 0
	s_waitcnt vmcnt(0)
	v_and_b32_e32 v6, 0xffff, v6
	v_lshlrev_b64 v[18:19], s4, v[6:7]
	s_add_u32 s4, s4, 8
	s_addc_u32 s5, s5, 0
	s_cmp_lg_u32 s21, s18
	v_or_b32_e32 v16, v18, v16
	v_or_b32_e32 v17, v19, v17
	s_cbranch_scc1 .LBB73_171
.LBB73_172:                             ;   in Loop: Header=BB73_140 Depth=1
	s_mov_b64 s[4:5], s[16:17]
	s_mov_b32 s20, 0
	s_cbranch_execz .LBB73_174
	s_branch .LBB73_175
.LBB73_173:                             ;   in Loop: Header=BB73_140 Depth=1
	s_mov_b32 s20, 0
.LBB73_174:                             ;   in Loop: Header=BB73_140 Depth=1
	global_load_dwordx2 v[16:17], v7, s[16:17]
	s_add_i32 s20, s21, -8
.LBB73_175:                             ;   in Loop: Header=BB73_140 Depth=1
	s_add_u32 s16, s4, 8
	s_addc_u32 s17, s5, 0
	s_cmp_gt_u32 s20, 7
	s_cbranch_scc1 .LBB73_180
; %bb.176:                              ;   in Loop: Header=BB73_140 Depth=1
	v_mov_b32_e32 v18, 0
	v_mov_b32_e32 v19, 0
	s_cmp_eq_u32 s20, 0
	s_cbranch_scc1 .LBB73_179
; %bb.177:                              ;   in Loop: Header=BB73_140 Depth=1
	s_mov_b64 s[16:17], 0
	s_mov_b64 s[18:19], 0
.LBB73_178:                             ;   Parent Loop BB73_140 Depth=1
                                        ; =>  This Inner Loop Header: Depth=2
	s_add_u32 s22, s4, s18
	s_addc_u32 s23, s5, s19
	s_add_u32 s18, s18, 1
	global_load_ubyte v6, v7, s[22:23]
	s_addc_u32 s19, s19, 0
	s_waitcnt vmcnt(0)
	v_and_b32_e32 v6, 0xffff, v6
	v_lshlrev_b64 v[20:21], s16, v[6:7]
	s_add_u32 s16, s16, 8
	s_addc_u32 s17, s17, 0
	s_cmp_lg_u32 s20, s18
	v_or_b32_e32 v18, v20, v18
	v_or_b32_e32 v19, v21, v19
	s_cbranch_scc1 .LBB73_178
.LBB73_179:                             ;   in Loop: Header=BB73_140 Depth=1
	s_mov_b64 s[16:17], s[4:5]
	s_mov_b32 s21, 0
	s_cbranch_execz .LBB73_181
	s_branch .LBB73_182
.LBB73_180:                             ;   in Loop: Header=BB73_140 Depth=1
                                        ; implicit-def: $vgpr18_vgpr19
	s_mov_b32 s21, 0
.LBB73_181:                             ;   in Loop: Header=BB73_140 Depth=1
	global_load_dwordx2 v[18:19], v7, s[4:5]
	s_add_i32 s21, s20, -8
.LBB73_182:                             ;   in Loop: Header=BB73_140 Depth=1
	s_cmp_gt_u32 s21, 7
	s_cbranch_scc1 .LBB73_187
; %bb.183:                              ;   in Loop: Header=BB73_140 Depth=1
	v_mov_b32_e32 v20, 0
	v_mov_b32_e32 v21, 0
	s_cmp_eq_u32 s21, 0
	s_cbranch_scc1 .LBB73_186
; %bb.184:                              ;   in Loop: Header=BB73_140 Depth=1
	s_mov_b64 s[4:5], 0
	s_mov_b64 s[18:19], s[16:17]
.LBB73_185:                             ;   Parent Loop BB73_140 Depth=1
                                        ; =>  This Inner Loop Header: Depth=2
	global_load_ubyte v6, v7, s[18:19]
	s_add_i32 s21, s21, -1
	s_waitcnt vmcnt(0)
	v_and_b32_e32 v6, 0xffff, v6
	v_lshlrev_b64 v[22:23], s4, v[6:7]
	s_add_u32 s4, s4, 8
	s_addc_u32 s5, s5, 0
	s_add_u32 s18, s18, 1
	s_addc_u32 s19, s19, 0
	s_cmp_lg_u32 s21, 0
	v_or_b32_e32 v20, v22, v20
	v_or_b32_e32 v21, v23, v21
	s_cbranch_scc1 .LBB73_185
.LBB73_186:                             ;   in Loop: Header=BB73_140 Depth=1
	s_cbranch_execz .LBB73_188
	s_branch .LBB73_189
.LBB73_187:                             ;   in Loop: Header=BB73_140 Depth=1
.LBB73_188:                             ;   in Loop: Header=BB73_140 Depth=1
	global_load_dwordx2 v[20:21], v7, s[16:17]
.LBB73_189:                             ;   in Loop: Header=BB73_140 Depth=1
	v_readfirstlane_b32 s4, v29
	v_mov_b32_e32 v26, 0
	v_mov_b32_e32 v27, 0
	v_cmp_eq_u32_e64 s4, s4, v29
	s_and_saveexec_b32 s5, s4
	s_cbranch_execz .LBB73_195
; %bb.190:                              ;   in Loop: Header=BB73_140 Depth=1
	global_load_dwordx2 v[24:25], v7, s[6:7] offset:24 glc dlc
	s_waitcnt vmcnt(0)
	buffer_gl1_inv
	buffer_gl0_inv
	s_clause 0x1
	global_load_dwordx2 v[22:23], v7, s[6:7] offset:40
	global_load_dwordx2 v[26:27], v7, s[6:7]
	s_mov_b32 s16, exec_lo
	s_waitcnt vmcnt(1)
	v_and_b32_e32 v6, v23, v25
	v_and_b32_e32 v22, v22, v24
	v_mul_lo_u32 v6, v6, 24
	v_mul_hi_u32 v23, v22, 24
	v_mul_lo_u32 v22, v22, 24
	v_add_nc_u32_e32 v6, v23, v6
	s_waitcnt vmcnt(0)
	v_add_co_u32 v22, vcc_lo, v26, v22
	v_add_co_ci_u32_e64 v23, null, v27, v6, vcc_lo
	global_load_dwordx2 v[22:23], v[22:23], off glc dlc
	s_waitcnt vmcnt(0)
	global_atomic_cmpswap_x2 v[26:27], v7, v[22:25], s[6:7] offset:24 glc
	s_waitcnt vmcnt(0)
	buffer_gl1_inv
	buffer_gl0_inv
	v_cmpx_ne_u64_e64 v[26:27], v[24:25]
	s_cbranch_execz .LBB73_194
; %bb.191:                              ;   in Loop: Header=BB73_140 Depth=1
	s_mov_b32 s17, 0
	.p2align	6
.LBB73_192:                             ;   Parent Loop BB73_140 Depth=1
                                        ; =>  This Inner Loop Header: Depth=2
	s_sleep 1
	s_clause 0x1
	global_load_dwordx2 v[22:23], v7, s[6:7] offset:40
	global_load_dwordx2 v[31:32], v7, s[6:7]
	v_mov_b32_e32 v24, v26
	v_mov_b32_e32 v25, v27
	s_waitcnt vmcnt(1)
	v_and_b32_e32 v6, v22, v24
	v_and_b32_e32 v22, v23, v25
	s_waitcnt vmcnt(0)
	v_mad_u64_u32 v[26:27], null, v6, 24, v[31:32]
	v_mov_b32_e32 v6, v27
	v_mad_u64_u32 v[22:23], null, v22, 24, v[6:7]
	v_mov_b32_e32 v27, v22
	global_load_dwordx2 v[22:23], v[26:27], off glc dlc
	s_waitcnt vmcnt(0)
	global_atomic_cmpswap_x2 v[26:27], v7, v[22:25], s[6:7] offset:24 glc
	s_waitcnt vmcnt(0)
	buffer_gl1_inv
	buffer_gl0_inv
	v_cmp_eq_u64_e32 vcc_lo, v[26:27], v[24:25]
	s_or_b32 s17, vcc_lo, s17
	s_andn2_b32 exec_lo, exec_lo, s17
	s_cbranch_execnz .LBB73_192
; %bb.193:                              ;   in Loop: Header=BB73_140 Depth=1
	s_or_b32 exec_lo, exec_lo, s17
.LBB73_194:                             ;   in Loop: Header=BB73_140 Depth=1
	s_or_b32 exec_lo, exec_lo, s16
.LBB73_195:                             ;   in Loop: Header=BB73_140 Depth=1
	s_or_b32 exec_lo, exec_lo, s5
	s_clause 0x1
	global_load_dwordx2 v[31:32], v7, s[6:7] offset:40
	global_load_dwordx4 v[22:25], v7, s[6:7]
	v_readfirstlane_b32 s17, v27
	v_readfirstlane_b32 s16, v26
	s_mov_b32 s5, exec_lo
	s_waitcnt vmcnt(1)
	v_readfirstlane_b32 s18, v31
	v_readfirstlane_b32 s19, v32
	s_and_b64 s[18:19], s[18:19], s[16:17]
	s_mul_i32 s20, s19, 24
	s_mul_hi_u32 s21, s18, 24
	s_mul_i32 s22, s18, 24
	s_add_i32 s21, s21, s20
	s_waitcnt vmcnt(0)
	v_add_co_u32 v26, vcc_lo, v22, s22
	v_add_co_ci_u32_e64 v27, null, s21, v23, vcc_lo
	s_and_saveexec_b32 s20, s4
	s_cbranch_execz .LBB73_197
; %bb.196:                              ;   in Loop: Header=BB73_140 Depth=1
	v_mov_b32_e32 v6, s5
	global_store_dwordx4 v[26:27], v[6:9], off offset:8
.LBB73_197:                             ;   in Loop: Header=BB73_140 Depth=1
	s_or_b32 exec_lo, exec_lo, s20
	v_cmp_lt_u64_e64 vcc_lo, s[10:11], 57
	s_lshl_b64 s[18:19], s[18:19], 12
	v_and_b32_e32 v2, 0xffffff1f, v2
	s_lshl_b32 s5, s14, 2
	s_add_i32 s5, s5, 28
	v_cndmask_b32_e32 v6, 0, v30, vcc_lo
	v_add_co_u32 v24, vcc_lo, v24, s18
	v_add_co_ci_u32_e64 v25, null, s19, v25, vcc_lo
	v_or_b32_e32 v2, v2, v6
	v_readfirstlane_b32 s18, v24
	v_readfirstlane_b32 s19, v25
	v_and_or_b32 v2, 0x1e0, s5, v2
	global_store_dwordx4 v28, v[10:13], s[18:19] offset:16
	global_store_dwordx4 v28, v[2:5], s[18:19]
	global_store_dwordx4 v28, v[14:17], s[18:19] offset:32
	global_store_dwordx4 v28, v[18:21], s[18:19] offset:48
	s_and_saveexec_b32 s5, s4
	s_cbranch_execz .LBB73_205
; %bb.198:                              ;   in Loop: Header=BB73_140 Depth=1
	s_clause 0x1
	global_load_dwordx2 v[14:15], v7, s[6:7] offset:32 glc dlc
	global_load_dwordx2 v[2:3], v7, s[6:7] offset:40
	v_mov_b32_e32 v12, s16
	v_mov_b32_e32 v13, s17
	s_waitcnt vmcnt(0)
	v_readfirstlane_b32 s18, v2
	v_readfirstlane_b32 s19, v3
	s_and_b64 s[18:19], s[18:19], s[16:17]
	s_mul_i32 s19, s19, 24
	s_mul_hi_u32 s20, s18, 24
	s_mul_i32 s18, s18, 24
	s_add_i32 s20, s20, s19
	v_add_co_u32 v10, vcc_lo, v22, s18
	v_add_co_ci_u32_e64 v11, null, s20, v23, vcc_lo
	s_mov_b32 s18, exec_lo
	global_store_dwordx2 v[10:11], v[14:15], off
	s_waitcnt_vscnt null, 0x0
	global_atomic_cmpswap_x2 v[4:5], v7, v[12:15], s[6:7] offset:32 glc
	s_waitcnt vmcnt(0)
	v_cmpx_ne_u64_e64 v[4:5], v[14:15]
	s_cbranch_execz .LBB73_201
; %bb.199:                              ;   in Loop: Header=BB73_140 Depth=1
	s_mov_b32 s19, 0
.LBB73_200:                             ;   Parent Loop BB73_140 Depth=1
                                        ; =>  This Inner Loop Header: Depth=2
	v_mov_b32_e32 v2, s16
	v_mov_b32_e32 v3, s17
	s_sleep 1
	global_store_dwordx2 v[10:11], v[4:5], off
	s_waitcnt_vscnt null, 0x0
	global_atomic_cmpswap_x2 v[2:3], v7, v[2:5], s[6:7] offset:32 glc
	s_waitcnt vmcnt(0)
	v_cmp_eq_u64_e32 vcc_lo, v[2:3], v[4:5]
	v_mov_b32_e32 v5, v3
	v_mov_b32_e32 v4, v2
	s_or_b32 s19, vcc_lo, s19
	s_andn2_b32 exec_lo, exec_lo, s19
	s_cbranch_execnz .LBB73_200
.LBB73_201:                             ;   in Loop: Header=BB73_140 Depth=1
	s_or_b32 exec_lo, exec_lo, s18
	global_load_dwordx2 v[2:3], v7, s[6:7] offset:16
	s_mov_b32 s19, exec_lo
	s_mov_b32 s18, exec_lo
	v_mbcnt_lo_u32_b32 v4, s19, 0
	v_cmpx_eq_u32_e32 0, v4
	s_cbranch_execz .LBB73_203
; %bb.202:                              ;   in Loop: Header=BB73_140 Depth=1
	s_bcnt1_i32_b32 s19, s19
	v_mov_b32_e32 v6, s19
	s_waitcnt vmcnt(0)
	global_atomic_add_x2 v[2:3], v[6:7], off offset:8
.LBB73_203:                             ;   in Loop: Header=BB73_140 Depth=1
	s_or_b32 exec_lo, exec_lo, s18
	s_waitcnt vmcnt(0)
	global_load_dwordx2 v[4:5], v[2:3], off offset:16
	s_waitcnt vmcnt(0)
	v_cmp_eq_u64_e32 vcc_lo, 0, v[4:5]
	s_cbranch_vccnz .LBB73_205
; %bb.204:                              ;   in Loop: Header=BB73_140 Depth=1
	global_load_dword v6, v[2:3], off offset:24
	s_waitcnt vmcnt(0)
	v_readfirstlane_b32 s18, v6
	s_waitcnt_vscnt null, 0x0
	global_store_dwordx2 v[4:5], v[6:7], off
	s_and_b32 m0, s18, 0x7fffff
	s_sendmsg sendmsg(MSG_INTERRUPT)
.LBB73_205:                             ;   in Loop: Header=BB73_140 Depth=1
	s_or_b32 exec_lo, exec_lo, s5
	v_add_co_u32 v2, vcc_lo, v24, v28
	v_add_co_ci_u32_e64 v3, null, 0, v25, vcc_lo
	s_branch .LBB73_209
	.p2align	6
.LBB73_206:                             ;   in Loop: Header=BB73_209 Depth=2
	s_or_b32 exec_lo, exec_lo, s5
	v_readfirstlane_b32 s5, v4
	s_cmp_eq_u32 s5, 0
	s_cbranch_scc1 .LBB73_208
; %bb.207:                              ;   in Loop: Header=BB73_209 Depth=2
	s_sleep 1
	s_cbranch_execnz .LBB73_209
	s_branch .LBB73_211
	.p2align	6
.LBB73_208:                             ;   in Loop: Header=BB73_140 Depth=1
	s_branch .LBB73_211
.LBB73_209:                             ;   Parent Loop BB73_140 Depth=1
                                        ; =>  This Inner Loop Header: Depth=2
	v_mov_b32_e32 v4, 1
	s_and_saveexec_b32 s5, s4
	s_cbranch_execz .LBB73_206
; %bb.210:                              ;   in Loop: Header=BB73_209 Depth=2
	global_load_dword v4, v[26:27], off offset:20 glc dlc
	s_waitcnt vmcnt(0)
	buffer_gl1_inv
	buffer_gl0_inv
	v_and_b32_e32 v4, 1, v4
	s_branch .LBB73_206
.LBB73_211:                             ;   in Loop: Header=BB73_140 Depth=1
	global_load_dwordx2 v[2:3], v[2:3], off
	s_and_saveexec_b32 s18, s4
	s_cbranch_execz .LBB73_139
; %bb.212:                              ;   in Loop: Header=BB73_140 Depth=1
	s_clause 0x2
	global_load_dwordx2 v[4:5], v7, s[6:7] offset:40
	global_load_dwordx2 v[14:15], v7, s[6:7] offset:24 glc dlc
	global_load_dwordx2 v[10:11], v7, s[6:7]
	s_waitcnt vmcnt(2)
	v_readfirstlane_b32 s20, v4
	v_readfirstlane_b32 s21, v5
	s_add_u32 s19, s20, 1
	s_addc_u32 s22, s21, 0
	s_add_u32 s4, s19, s16
	s_addc_u32 s5, s22, s17
	s_cmp_eq_u64 s[4:5], 0
	s_cselect_b32 s5, s22, s5
	s_cselect_b32 s4, s19, s4
	v_mov_b32_e32 v13, s5
	s_and_b64 s[16:17], s[4:5], s[20:21]
	v_mov_b32_e32 v12, s4
	s_mul_i32 s17, s17, 24
	s_mul_hi_u32 s19, s16, 24
	s_mul_i32 s16, s16, 24
	s_add_i32 s19, s19, s17
	s_waitcnt vmcnt(0)
	v_add_co_u32 v4, vcc_lo, v10, s16
	v_add_co_ci_u32_e64 v5, null, s19, v11, vcc_lo
	global_store_dwordx2 v[4:5], v[14:15], off
	s_waitcnt_vscnt null, 0x0
	global_atomic_cmpswap_x2 v[12:13], v7, v[12:15], s[6:7] offset:24 glc
	s_waitcnt vmcnt(0)
	v_cmp_ne_u64_e32 vcc_lo, v[12:13], v[14:15]
	s_and_b32 exec_lo, exec_lo, vcc_lo
	s_cbranch_execz .LBB73_139
; %bb.213:                              ;   in Loop: Header=BB73_140 Depth=1
	s_mov_b32 s16, 0
.LBB73_214:                             ;   Parent Loop BB73_140 Depth=1
                                        ; =>  This Inner Loop Header: Depth=2
	v_mov_b32_e32 v10, s4
	v_mov_b32_e32 v11, s5
	s_sleep 1
	global_store_dwordx2 v[4:5], v[12:13], off
	s_waitcnt_vscnt null, 0x0
	global_atomic_cmpswap_x2 v[10:11], v7, v[10:13], s[6:7] offset:24 glc
	s_waitcnt vmcnt(0)
	v_cmp_eq_u64_e32 vcc_lo, v[10:11], v[12:13]
	v_mov_b32_e32 v13, v11
	v_mov_b32_e32 v12, v10
	s_or_b32 s16, vcc_lo, s16
	s_andn2_b32 exec_lo, exec_lo, s16
	s_cbranch_execnz .LBB73_214
	s_branch .LBB73_139
.LBB73_215:
                                        ; implicit-def: $vgpr2_vgpr3
	s_cbranch_execnz .LBB73_217
	s_branch .LBB73_244
.LBB73_216:
	s_branch .LBB73_244
.LBB73_217:
	v_readfirstlane_b32 s4, v29
	v_mov_b32_e32 v8, 0
	v_mov_b32_e32 v9, 0
	v_cmp_eq_u32_e64 s4, s4, v29
	s_and_saveexec_b32 s5, s4
	s_cbranch_execz .LBB73_223
; %bb.218:
	s_waitcnt vmcnt(0)
	v_mov_b32_e32 v2, 0
	s_mov_b32 s10, exec_lo
	global_load_dwordx2 v[5:6], v2, s[6:7] offset:24 glc dlc
	s_waitcnt vmcnt(0)
	buffer_gl1_inv
	buffer_gl0_inv
	s_clause 0x1
	global_load_dwordx2 v[3:4], v2, s[6:7] offset:40
	global_load_dwordx2 v[7:8], v2, s[6:7]
	s_waitcnt vmcnt(1)
	v_and_b32_e32 v4, v4, v6
	v_and_b32_e32 v3, v3, v5
	v_mul_lo_u32 v4, v4, 24
	v_mul_hi_u32 v9, v3, 24
	v_mul_lo_u32 v3, v3, 24
	v_add_nc_u32_e32 v4, v9, v4
	s_waitcnt vmcnt(0)
	v_add_co_u32 v3, vcc_lo, v7, v3
	v_add_co_ci_u32_e64 v4, null, v8, v4, vcc_lo
	global_load_dwordx2 v[3:4], v[3:4], off glc dlc
	s_waitcnt vmcnt(0)
	global_atomic_cmpswap_x2 v[8:9], v2, v[3:6], s[6:7] offset:24 glc
	s_waitcnt vmcnt(0)
	buffer_gl1_inv
	buffer_gl0_inv
	v_cmpx_ne_u64_e64 v[8:9], v[5:6]
	s_cbranch_execz .LBB73_222
; %bb.219:
	s_mov_b32 s11, 0
	.p2align	6
.LBB73_220:                             ; =>This Inner Loop Header: Depth=1
	s_sleep 1
	s_clause 0x1
	global_load_dwordx2 v[3:4], v2, s[6:7] offset:40
	global_load_dwordx2 v[10:11], v2, s[6:7]
	v_mov_b32_e32 v5, v8
	v_mov_b32_e32 v6, v9
	s_waitcnt vmcnt(1)
	v_and_b32_e32 v3, v3, v5
	v_and_b32_e32 v4, v4, v6
	s_waitcnt vmcnt(0)
	v_mad_u64_u32 v[7:8], null, v3, 24, v[10:11]
	v_mov_b32_e32 v3, v8
	v_mad_u64_u32 v[3:4], null, v4, 24, v[3:4]
	v_mov_b32_e32 v8, v3
	global_load_dwordx2 v[3:4], v[7:8], off glc dlc
	s_waitcnt vmcnt(0)
	global_atomic_cmpswap_x2 v[8:9], v2, v[3:6], s[6:7] offset:24 glc
	s_waitcnt vmcnt(0)
	buffer_gl1_inv
	buffer_gl0_inv
	v_cmp_eq_u64_e32 vcc_lo, v[8:9], v[5:6]
	s_or_b32 s11, vcc_lo, s11
	s_andn2_b32 exec_lo, exec_lo, s11
	s_cbranch_execnz .LBB73_220
; %bb.221:
	s_or_b32 exec_lo, exec_lo, s11
.LBB73_222:
	s_or_b32 exec_lo, exec_lo, s10
.LBB73_223:
	s_or_b32 exec_lo, exec_lo, s5
	s_waitcnt vmcnt(0)
	v_mov_b32_e32 v2, 0
	v_readfirstlane_b32 s11, v9
	v_readfirstlane_b32 s10, v8
	s_mov_b32 s5, exec_lo
	s_clause 0x1
	global_load_dwordx2 v[10:11], v2, s[6:7] offset:40
	global_load_dwordx4 v[4:7], v2, s[6:7]
	s_waitcnt vmcnt(1)
	v_readfirstlane_b32 s12, v10
	v_readfirstlane_b32 s13, v11
	s_and_b64 s[12:13], s[12:13], s[10:11]
	s_mul_i32 s14, s13, 24
	s_mul_hi_u32 s15, s12, 24
	s_mul_i32 s16, s12, 24
	s_add_i32 s15, s15, s14
	s_waitcnt vmcnt(0)
	v_add_co_u32 v8, vcc_lo, v4, s16
	v_add_co_ci_u32_e64 v9, null, s15, v5, vcc_lo
	s_and_saveexec_b32 s14, s4
	s_cbranch_execz .LBB73_225
; %bb.224:
	v_mov_b32_e32 v10, s5
	v_mov_b32_e32 v11, v2
	;; [unrolled: 1-line block ×4, first 2 shown]
	global_store_dwordx4 v[8:9], v[10:13], off offset:8
.LBB73_225:
	s_or_b32 exec_lo, exec_lo, s14
	s_lshl_b64 s[12:13], s[12:13], 12
	v_and_or_b32 v0, 0xffffff1f, v0, 32
	v_add_co_u32 v6, vcc_lo, v6, s12
	v_add_co_ci_u32_e64 v7, null, s13, v7, vcc_lo
	s_mov_b32 s12, 0
	v_readfirstlane_b32 s16, v6
	v_add_co_u32 v6, vcc_lo, v6, v28
	s_mov_b32 s13, s12
	s_mov_b32 s14, s12
	;; [unrolled: 1-line block ×3, first 2 shown]
	v_mov_b32_e32 v3, v2
	v_readfirstlane_b32 s17, v7
	v_mov_b32_e32 v10, s12
	v_add_co_ci_u32_e64 v7, null, 0, v7, vcc_lo
	v_mov_b32_e32 v11, s13
	v_mov_b32_e32 v12, s14
	;; [unrolled: 1-line block ×3, first 2 shown]
	global_store_dwordx4 v28, v[0:3], s[16:17]
	global_store_dwordx4 v28, v[10:13], s[16:17] offset:16
	global_store_dwordx4 v28, v[10:13], s[16:17] offset:32
	;; [unrolled: 1-line block ×3, first 2 shown]
	s_and_saveexec_b32 s5, s4
	s_cbranch_execz .LBB73_233
; %bb.226:
	v_mov_b32_e32 v10, 0
	v_mov_b32_e32 v11, s10
	;; [unrolled: 1-line block ×3, first 2 shown]
	s_clause 0x1
	global_load_dwordx2 v[13:14], v10, s[6:7] offset:32 glc dlc
	global_load_dwordx2 v[0:1], v10, s[6:7] offset:40
	s_waitcnt vmcnt(0)
	v_readfirstlane_b32 s12, v0
	v_readfirstlane_b32 s13, v1
	s_and_b64 s[12:13], s[12:13], s[10:11]
	s_mul_i32 s13, s13, 24
	s_mul_hi_u32 s14, s12, 24
	s_mul_i32 s12, s12, 24
	s_add_i32 s14, s14, s13
	v_add_co_u32 v4, vcc_lo, v4, s12
	v_add_co_ci_u32_e64 v5, null, s14, v5, vcc_lo
	s_mov_b32 s12, exec_lo
	global_store_dwordx2 v[4:5], v[13:14], off
	s_waitcnt_vscnt null, 0x0
	global_atomic_cmpswap_x2 v[2:3], v10, v[11:14], s[6:7] offset:32 glc
	s_waitcnt vmcnt(0)
	v_cmpx_ne_u64_e64 v[2:3], v[13:14]
	s_cbranch_execz .LBB73_229
; %bb.227:
	s_mov_b32 s13, 0
.LBB73_228:                             ; =>This Inner Loop Header: Depth=1
	v_mov_b32_e32 v0, s10
	v_mov_b32_e32 v1, s11
	s_sleep 1
	global_store_dwordx2 v[4:5], v[2:3], off
	s_waitcnt_vscnt null, 0x0
	global_atomic_cmpswap_x2 v[0:1], v10, v[0:3], s[6:7] offset:32 glc
	s_waitcnt vmcnt(0)
	v_cmp_eq_u64_e32 vcc_lo, v[0:1], v[2:3]
	v_mov_b32_e32 v3, v1
	v_mov_b32_e32 v2, v0
	s_or_b32 s13, vcc_lo, s13
	s_andn2_b32 exec_lo, exec_lo, s13
	s_cbranch_execnz .LBB73_228
.LBB73_229:
	s_or_b32 exec_lo, exec_lo, s12
	v_mov_b32_e32 v3, 0
	s_mov_b32 s13, exec_lo
	s_mov_b32 s12, exec_lo
	v_mbcnt_lo_u32_b32 v2, s13, 0
	global_load_dwordx2 v[0:1], v3, s[6:7] offset:16
	v_cmpx_eq_u32_e32 0, v2
	s_cbranch_execz .LBB73_231
; %bb.230:
	s_bcnt1_i32_b32 s13, s13
	v_mov_b32_e32 v2, s13
	s_waitcnt vmcnt(0)
	global_atomic_add_x2 v[0:1], v[2:3], off offset:8
.LBB73_231:
	s_or_b32 exec_lo, exec_lo, s12
	s_waitcnt vmcnt(0)
	global_load_dwordx2 v[2:3], v[0:1], off offset:16
	s_waitcnt vmcnt(0)
	v_cmp_eq_u64_e32 vcc_lo, 0, v[2:3]
	s_cbranch_vccnz .LBB73_233
; %bb.232:
	global_load_dword v0, v[0:1], off offset:24
	v_mov_b32_e32 v1, 0
	s_waitcnt vmcnt(0)
	v_readfirstlane_b32 s12, v0
	s_waitcnt_vscnt null, 0x0
	global_store_dwordx2 v[2:3], v[0:1], off
	s_and_b32 m0, s12, 0x7fffff
	s_sendmsg sendmsg(MSG_INTERRUPT)
.LBB73_233:
	s_or_b32 exec_lo, exec_lo, s5
	s_branch .LBB73_237
	.p2align	6
.LBB73_234:                             ;   in Loop: Header=BB73_237 Depth=1
	s_or_b32 exec_lo, exec_lo, s5
	v_readfirstlane_b32 s5, v0
	s_cmp_eq_u32 s5, 0
	s_cbranch_scc1 .LBB73_236
; %bb.235:                              ;   in Loop: Header=BB73_237 Depth=1
	s_sleep 1
	s_cbranch_execnz .LBB73_237
	s_branch .LBB73_239
	.p2align	6
.LBB73_236:
	s_branch .LBB73_239
.LBB73_237:                             ; =>This Inner Loop Header: Depth=1
	v_mov_b32_e32 v0, 1
	s_and_saveexec_b32 s5, s4
	s_cbranch_execz .LBB73_234
; %bb.238:                              ;   in Loop: Header=BB73_237 Depth=1
	global_load_dword v0, v[8:9], off offset:20 glc dlc
	s_waitcnt vmcnt(0)
	buffer_gl1_inv
	buffer_gl0_inv
	v_and_b32_e32 v0, 1, v0
	s_branch .LBB73_234
.LBB73_239:
	global_load_dwordx2 v[2:3], v[6:7], off
	s_and_saveexec_b32 s12, s4
	s_cbranch_execz .LBB73_243
; %bb.240:
	v_mov_b32_e32 v8, 0
	s_clause 0x2
	global_load_dwordx2 v[0:1], v8, s[6:7] offset:40
	global_load_dwordx2 v[11:12], v8, s[6:7] offset:24 glc dlc
	global_load_dwordx2 v[4:5], v8, s[6:7]
	s_waitcnt vmcnt(2)
	v_readfirstlane_b32 s14, v0
	v_readfirstlane_b32 s15, v1
	s_add_u32 s13, s14, 1
	s_addc_u32 s16, s15, 0
	s_add_u32 s4, s13, s10
	s_addc_u32 s5, s16, s11
	s_cmp_eq_u64 s[4:5], 0
	s_cselect_b32 s5, s16, s5
	s_cselect_b32 s4, s13, s4
	v_mov_b32_e32 v10, s5
	s_and_b64 s[10:11], s[4:5], s[14:15]
	v_mov_b32_e32 v9, s4
	s_mul_i32 s11, s11, 24
	s_mul_hi_u32 s13, s10, 24
	s_mul_i32 s10, s10, 24
	s_add_i32 s13, s13, s11
	s_waitcnt vmcnt(0)
	v_add_co_u32 v0, vcc_lo, v4, s10
	v_add_co_ci_u32_e64 v1, null, s13, v5, vcc_lo
	global_store_dwordx2 v[0:1], v[11:12], off
	s_waitcnt_vscnt null, 0x0
	global_atomic_cmpswap_x2 v[6:7], v8, v[9:12], s[6:7] offset:24 glc
	s_waitcnt vmcnt(0)
	v_cmp_ne_u64_e32 vcc_lo, v[6:7], v[11:12]
	s_and_b32 exec_lo, exec_lo, vcc_lo
	s_cbranch_execz .LBB73_243
; %bb.241:
	s_mov_b32 s10, 0
.LBB73_242:                             ; =>This Inner Loop Header: Depth=1
	v_mov_b32_e32 v4, s4
	v_mov_b32_e32 v5, s5
	s_sleep 1
	global_store_dwordx2 v[0:1], v[6:7], off
	s_waitcnt_vscnt null, 0x0
	global_atomic_cmpswap_x2 v[4:5], v8, v[4:7], s[6:7] offset:24 glc
	s_waitcnt vmcnt(0)
	v_cmp_eq_u64_e32 vcc_lo, v[4:5], v[6:7]
	v_mov_b32_e32 v7, v5
	v_mov_b32_e32 v6, v4
	s_or_b32 s10, vcc_lo, s10
	s_andn2_b32 exec_lo, exec_lo, s10
	s_cbranch_execnz .LBB73_242
.LBB73_243:
	s_or_b32 exec_lo, exec_lo, s12
.LBB73_244:
	v_readfirstlane_b32 s4, v29
	s_waitcnt vmcnt(0)
	v_mov_b32_e32 v0, 0
	v_mov_b32_e32 v1, 0
	v_cmp_eq_u32_e64 s4, s4, v29
	s_and_saveexec_b32 s5, s4
	s_cbranch_execz .LBB73_250
; %bb.245:
	v_mov_b32_e32 v4, 0
	s_mov_b32 s10, exec_lo
	global_load_dwordx2 v[7:8], v4, s[6:7] offset:24 glc dlc
	s_waitcnt vmcnt(0)
	buffer_gl1_inv
	buffer_gl0_inv
	s_clause 0x1
	global_load_dwordx2 v[0:1], v4, s[6:7] offset:40
	global_load_dwordx2 v[5:6], v4, s[6:7]
	s_waitcnt vmcnt(1)
	v_and_b32_e32 v1, v1, v8
	v_and_b32_e32 v0, v0, v7
	v_mul_lo_u32 v1, v1, 24
	v_mul_hi_u32 v9, v0, 24
	v_mul_lo_u32 v0, v0, 24
	v_add_nc_u32_e32 v1, v9, v1
	s_waitcnt vmcnt(0)
	v_add_co_u32 v0, vcc_lo, v5, v0
	v_add_co_ci_u32_e64 v1, null, v6, v1, vcc_lo
	global_load_dwordx2 v[5:6], v[0:1], off glc dlc
	s_waitcnt vmcnt(0)
	global_atomic_cmpswap_x2 v[0:1], v4, v[5:8], s[6:7] offset:24 glc
	s_waitcnt vmcnt(0)
	buffer_gl1_inv
	buffer_gl0_inv
	v_cmpx_ne_u64_e64 v[0:1], v[7:8]
	s_cbranch_execz .LBB73_249
; %bb.246:
	s_mov_b32 s11, 0
	.p2align	6
.LBB73_247:                             ; =>This Inner Loop Header: Depth=1
	s_sleep 1
	s_clause 0x1
	global_load_dwordx2 v[5:6], v4, s[6:7] offset:40
	global_load_dwordx2 v[9:10], v4, s[6:7]
	v_mov_b32_e32 v8, v1
	v_mov_b32_e32 v7, v0
	s_waitcnt vmcnt(1)
	v_and_b32_e32 v0, v5, v7
	v_and_b32_e32 v5, v6, v8
	s_waitcnt vmcnt(0)
	v_mad_u64_u32 v[0:1], null, v0, 24, v[9:10]
	v_mad_u64_u32 v[5:6], null, v5, 24, v[1:2]
	v_mov_b32_e32 v1, v5
	global_load_dwordx2 v[5:6], v[0:1], off glc dlc
	s_waitcnt vmcnt(0)
	global_atomic_cmpswap_x2 v[0:1], v4, v[5:8], s[6:7] offset:24 glc
	s_waitcnt vmcnt(0)
	buffer_gl1_inv
	buffer_gl0_inv
	v_cmp_eq_u64_e32 vcc_lo, v[0:1], v[7:8]
	s_or_b32 s11, vcc_lo, s11
	s_andn2_b32 exec_lo, exec_lo, s11
	s_cbranch_execnz .LBB73_247
; %bb.248:
	s_or_b32 exec_lo, exec_lo, s11
.LBB73_249:
	s_or_b32 exec_lo, exec_lo, s10
.LBB73_250:
	s_or_b32 exec_lo, exec_lo, s5
	v_mov_b32_e32 v5, 0
	v_readfirstlane_b32 s11, v1
	v_readfirstlane_b32 s10, v0
	s_mov_b32 s5, exec_lo
	s_clause 0x1
	global_load_dwordx2 v[10:11], v5, s[6:7] offset:40
	global_load_dwordx4 v[6:9], v5, s[6:7]
	s_waitcnt vmcnt(1)
	v_readfirstlane_b32 s12, v10
	v_readfirstlane_b32 s13, v11
	s_and_b64 s[12:13], s[12:13], s[10:11]
	s_mul_i32 s14, s13, 24
	s_mul_hi_u32 s15, s12, 24
	s_mul_i32 s16, s12, 24
	s_add_i32 s15, s15, s14
	s_waitcnt vmcnt(0)
	v_add_co_u32 v10, vcc_lo, v6, s16
	v_add_co_ci_u32_e64 v11, null, s15, v7, vcc_lo
	s_and_saveexec_b32 s14, s4
	s_cbranch_execz .LBB73_252
; %bb.251:
	v_mov_b32_e32 v4, s5
	v_mov_b32_e32 v13, v5
	;; [unrolled: 1-line block ×5, first 2 shown]
	global_store_dwordx4 v[10:11], v[12:15], off offset:8
.LBB73_252:
	s_or_b32 exec_lo, exec_lo, s14
	s_lshl_b64 s[12:13], s[12:13], 12
	v_and_or_b32 v2, 0xffffff1f, v2, 32
	v_add_co_u32 v0, vcc_lo, v8, s12
	v_add_co_ci_u32_e64 v1, null, s13, v9, vcc_lo
	s_mov_b32 s12, 0
	v_add_co_u32 v8, vcc_lo, v0, v28
	s_mov_b32 s13, s12
	s_mov_b32 s14, s12
	;; [unrolled: 1-line block ×3, first 2 shown]
	v_mov_b32_e32 v4, 0x347
	v_readfirstlane_b32 s16, v0
	v_readfirstlane_b32 s17, v1
	v_mov_b32_e32 v12, s12
	v_add_co_ci_u32_e64 v9, null, 0, v1, vcc_lo
	v_mov_b32_e32 v13, s13
	v_mov_b32_e32 v14, s14
	;; [unrolled: 1-line block ×3, first 2 shown]
	global_store_dwordx4 v28, v[2:5], s[16:17]
	global_store_dwordx4 v28, v[12:15], s[16:17] offset:16
	global_store_dwordx4 v28, v[12:15], s[16:17] offset:32
	;; [unrolled: 1-line block ×3, first 2 shown]
	s_and_saveexec_b32 s5, s4
	s_cbranch_execz .LBB73_260
; %bb.253:
	v_mov_b32_e32 v12, 0
	v_mov_b32_e32 v13, s10
	;; [unrolled: 1-line block ×3, first 2 shown]
	s_clause 0x1
	global_load_dwordx2 v[15:16], v12, s[6:7] offset:32 glc dlc
	global_load_dwordx2 v[0:1], v12, s[6:7] offset:40
	s_waitcnt vmcnt(0)
	v_readfirstlane_b32 s12, v0
	v_readfirstlane_b32 s13, v1
	s_and_b64 s[12:13], s[12:13], s[10:11]
	s_mul_i32 s13, s13, 24
	s_mul_hi_u32 s14, s12, 24
	s_mul_i32 s12, s12, 24
	s_add_i32 s14, s14, s13
	v_add_co_u32 v4, vcc_lo, v6, s12
	v_add_co_ci_u32_e64 v5, null, s14, v7, vcc_lo
	s_mov_b32 s12, exec_lo
	global_store_dwordx2 v[4:5], v[15:16], off
	s_waitcnt_vscnt null, 0x0
	global_atomic_cmpswap_x2 v[2:3], v12, v[13:16], s[6:7] offset:32 glc
	s_waitcnt vmcnt(0)
	v_cmpx_ne_u64_e64 v[2:3], v[15:16]
	s_cbranch_execz .LBB73_256
; %bb.254:
	s_mov_b32 s13, 0
.LBB73_255:                             ; =>This Inner Loop Header: Depth=1
	v_mov_b32_e32 v0, s10
	v_mov_b32_e32 v1, s11
	s_sleep 1
	global_store_dwordx2 v[4:5], v[2:3], off
	s_waitcnt_vscnt null, 0x0
	global_atomic_cmpswap_x2 v[0:1], v12, v[0:3], s[6:7] offset:32 glc
	s_waitcnt vmcnt(0)
	v_cmp_eq_u64_e32 vcc_lo, v[0:1], v[2:3]
	v_mov_b32_e32 v3, v1
	v_mov_b32_e32 v2, v0
	s_or_b32 s13, vcc_lo, s13
	s_andn2_b32 exec_lo, exec_lo, s13
	s_cbranch_execnz .LBB73_255
.LBB73_256:
	s_or_b32 exec_lo, exec_lo, s12
	v_mov_b32_e32 v3, 0
	s_mov_b32 s13, exec_lo
	s_mov_b32 s12, exec_lo
	v_mbcnt_lo_u32_b32 v2, s13, 0
	global_load_dwordx2 v[0:1], v3, s[6:7] offset:16
	v_cmpx_eq_u32_e32 0, v2
	s_cbranch_execz .LBB73_258
; %bb.257:
	s_bcnt1_i32_b32 s13, s13
	v_mov_b32_e32 v2, s13
	s_waitcnt vmcnt(0)
	global_atomic_add_x2 v[0:1], v[2:3], off offset:8
.LBB73_258:
	s_or_b32 exec_lo, exec_lo, s12
	s_waitcnt vmcnt(0)
	global_load_dwordx2 v[2:3], v[0:1], off offset:16
	s_waitcnt vmcnt(0)
	v_cmp_eq_u64_e32 vcc_lo, 0, v[2:3]
	s_cbranch_vccnz .LBB73_260
; %bb.259:
	global_load_dword v0, v[0:1], off offset:24
	v_mov_b32_e32 v1, 0
	s_waitcnt vmcnt(0)
	v_readfirstlane_b32 s12, v0
	s_waitcnt_vscnt null, 0x0
	global_store_dwordx2 v[2:3], v[0:1], off
	s_and_b32 m0, s12, 0x7fffff
	s_sendmsg sendmsg(MSG_INTERRUPT)
.LBB73_260:
	s_or_b32 exec_lo, exec_lo, s5
	s_branch .LBB73_264
	.p2align	6
.LBB73_261:                             ;   in Loop: Header=BB73_264 Depth=1
	s_or_b32 exec_lo, exec_lo, s5
	v_readfirstlane_b32 s5, v0
	s_cmp_eq_u32 s5, 0
	s_cbranch_scc1 .LBB73_263
; %bb.262:                              ;   in Loop: Header=BB73_264 Depth=1
	s_sleep 1
	s_cbranch_execnz .LBB73_264
	s_branch .LBB73_266
	.p2align	6
.LBB73_263:
	s_branch .LBB73_266
.LBB73_264:                             ; =>This Inner Loop Header: Depth=1
	v_mov_b32_e32 v0, 1
	s_and_saveexec_b32 s5, s4
	s_cbranch_execz .LBB73_261
; %bb.265:                              ;   in Loop: Header=BB73_264 Depth=1
	global_load_dword v0, v[10:11], off offset:20 glc dlc
	s_waitcnt vmcnt(0)
	buffer_gl1_inv
	buffer_gl0_inv
	v_and_b32_e32 v0, 1, v0
	s_branch .LBB73_261
.LBB73_266:
	global_load_dwordx2 v[0:1], v[8:9], off
	s_and_saveexec_b32 s12, s4
	s_cbranch_execz .LBB73_270
; %bb.267:
	v_mov_b32_e32 v8, 0
	s_clause 0x2
	global_load_dwordx2 v[2:3], v8, s[6:7] offset:40
	global_load_dwordx2 v[11:12], v8, s[6:7] offset:24 glc dlc
	global_load_dwordx2 v[4:5], v8, s[6:7]
	s_waitcnt vmcnt(2)
	v_readfirstlane_b32 s14, v2
	v_readfirstlane_b32 s15, v3
	s_add_u32 s13, s14, 1
	s_addc_u32 s16, s15, 0
	s_add_u32 s4, s13, s10
	s_addc_u32 s5, s16, s11
	s_cmp_eq_u64 s[4:5], 0
	s_cselect_b32 s5, s16, s5
	s_cselect_b32 s4, s13, s4
	v_mov_b32_e32 v10, s5
	s_and_b64 s[10:11], s[4:5], s[14:15]
	v_mov_b32_e32 v9, s4
	s_mul_i32 s11, s11, 24
	s_mul_hi_u32 s13, s10, 24
	s_mul_i32 s10, s10, 24
	s_add_i32 s13, s13, s11
	s_waitcnt vmcnt(0)
	v_add_co_u32 v6, vcc_lo, v4, s10
	v_add_co_ci_u32_e64 v7, null, s13, v5, vcc_lo
	global_store_dwordx2 v[6:7], v[11:12], off
	s_waitcnt_vscnt null, 0x0
	global_atomic_cmpswap_x2 v[4:5], v8, v[9:12], s[6:7] offset:24 glc
	s_waitcnt vmcnt(0)
	v_cmp_ne_u64_e32 vcc_lo, v[4:5], v[11:12]
	s_and_b32 exec_lo, exec_lo, vcc_lo
	s_cbranch_execz .LBB73_270
; %bb.268:
	s_mov_b32 s10, 0
.LBB73_269:                             ; =>This Inner Loop Header: Depth=1
	v_mov_b32_e32 v2, s4
	v_mov_b32_e32 v3, s5
	s_sleep 1
	global_store_dwordx2 v[6:7], v[4:5], off
	s_waitcnt_vscnt null, 0x0
	global_atomic_cmpswap_x2 v[2:3], v8, v[2:5], s[6:7] offset:24 glc
	s_waitcnt vmcnt(0)
	v_cmp_eq_u64_e32 vcc_lo, v[2:3], v[4:5]
	v_mov_b32_e32 v5, v3
	v_mov_b32_e32 v4, v2
	s_or_b32 s10, vcc_lo, s10
	s_andn2_b32 exec_lo, exec_lo, s10
	s_cbranch_execnz .LBB73_269
.LBB73_270:
	s_or_b32 exec_lo, exec_lo, s12
	s_getpc_b64 s[4:5]
	s_add_u32 s4, s4, __FUNCTION__._ZL15flash_attn_tileILi64ELi64ELi8ELi8ELb1EEvPKcS1_S1_S1_S1_PKiPfP15HIP_vector_typeIfLj2EEffffjfiS5_IjLj3EEiiiiiiiiiiiliiliiiiil@rel32@lo+4
	s_addc_u32 s5, s5, __FUNCTION__._ZL15flash_attn_tileILi64ELi64ELi8ELi8ELb1EEvPKcS1_S1_S1_S1_PKiPfP15HIP_vector_typeIfLj2EEffffjfiS5_IjLj3EEiiiiiiiiiiiliiliiiiil@rel32@hi+12
	v_mov_b32_e32 v2, s4
	s_cmp_lg_u64 s[4:5], 0
	v_mov_b32_e32 v3, s5
	s_cselect_b32 s10, 16, 0
	v_mov_b32_e32 v5, 0
	v_mov_b32_e32 v4, s10
	s_getpc_b64 s[6:7]
	s_add_u32 s6, s6, __ockl_printf_append_string_n@rel32@lo+4
	s_addc_u32 s7, s7, __ockl_printf_append_string_n@rel32@hi+12
	s_mov_b64 s[20:21], s[8:9]
	s_swappc_b64 s[30:31], s[6:7]
	v_mov_b32_e32 v2, 0x514
	v_mov_b32_e32 v3, 0
	;; [unrolled: 1-line block ×3, first 2 shown]
	s_getpc_b64 s[4:5]
	s_add_u32 s4, s4, __ockl_printf_append_args@rel32@lo+4
	s_addc_u32 s5, s5, __ockl_printf_append_args@rel32@hi+12
	s_mov_b64 s[8:9], s[20:21]
	s_swappc_b64 s[30:31], s[4:5]
	s_trap 2
.Lfunc_end73:
	.size	_ZL14no_device_codePKciS0_iS0_, .Lfunc_end73-_ZL14no_device_codePKciS0_iS0_
                                        ; -- End function
	.set .L_ZL14no_device_codePKciS0_iS0_.num_vgpr, max(40, .L__ockl_printf_append_string_n.num_vgpr, .L__ockl_printf_append_args.num_vgpr)
	.set .L_ZL14no_device_codePKciS0_iS0_.num_agpr, max(0, .L__ockl_printf_append_string_n.num_agpr, .L__ockl_printf_append_args.num_agpr)
	.set .L_ZL14no_device_codePKciS0_iS0_.numbered_sgpr, max(34, .L__ockl_printf_append_string_n.numbered_sgpr, .L__ockl_printf_append_args.numbered_sgpr)
	.set .L_ZL14no_device_codePKciS0_iS0_.num_named_barrier, max(0, .L__ockl_printf_append_string_n.num_named_barrier, .L__ockl_printf_append_args.num_named_barrier)
	.set .L_ZL14no_device_codePKciS0_iS0_.private_seg_size, 16+max(.L__ockl_printf_append_string_n.private_seg_size, .L__ockl_printf_append_args.private_seg_size)
	.set .L_ZL14no_device_codePKciS0_iS0_.uses_vcc, or(1, .L__ockl_printf_append_string_n.uses_vcc, .L__ockl_printf_append_args.uses_vcc)
	.set .L_ZL14no_device_codePKciS0_iS0_.uses_flat_scratch, or(0, .L__ockl_printf_append_string_n.uses_flat_scratch, .L__ockl_printf_append_args.uses_flat_scratch)
	.set .L_ZL14no_device_codePKciS0_iS0_.has_dyn_sized_stack, or(0, .L__ockl_printf_append_string_n.has_dyn_sized_stack, .L__ockl_printf_append_args.has_dyn_sized_stack)
	.set .L_ZL14no_device_codePKciS0_iS0_.has_recursion, or(0, .L__ockl_printf_append_string_n.has_recursion, .L__ockl_printf_append_args.has_recursion)
	.set .L_ZL14no_device_codePKciS0_iS0_.has_indirect_call, or(0, .L__ockl_printf_append_string_n.has_indirect_call, .L__ockl_printf_append_args.has_indirect_call)
	.section	.AMDGPU.csdata,"",@progbits
; Function info:
; codeLenInByte = 10460
; TotalNumSgprs: 36
; NumVgprs: 40
; ScratchSize: 16
; MemoryBound: 0
	.section	.text._ZL15flash_attn_tileILi64ELi64ELi8ELi8ELb1EEvPKcS1_S1_S1_S1_PKiPfP15HIP_vector_typeIfLj2EEffffjfiS5_IjLj3EEiiiiiiiiiiiliiliiiiil,"axG",@progbits,_ZL15flash_attn_tileILi64ELi64ELi8ELi8ELb1EEvPKcS1_S1_S1_S1_PKiPfP15HIP_vector_typeIfLj2EEffffjfiS5_IjLj3EEiiiiiiiiiiiliiliiiiil,comdat
	.globl	_ZL15flash_attn_tileILi64ELi64ELi8ELi8ELb1EEvPKcS1_S1_S1_S1_PKiPfP15HIP_vector_typeIfLj2EEffffjfiS5_IjLj3EEiiiiiiiiiiiliiliiiiil ; -- Begin function _ZL15flash_attn_tileILi64ELi64ELi8ELi8ELb1EEvPKcS1_S1_S1_S1_PKiPfP15HIP_vector_typeIfLj2EEffffjfiS5_IjLj3EEiiiiiiiiiiiliiliiiiil
	.p2align	8
	.type	_ZL15flash_attn_tileILi64ELi64ELi8ELi8ELb1EEvPKcS1_S1_S1_S1_PKiPfP15HIP_vector_typeIfLj2EEffffjfiS5_IjLj3EEiiiiiiiiiiiliiliiiiil,@function
_ZL15flash_attn_tileILi64ELi64ELi8ELi8ELb1EEvPKcS1_S1_S1_S1_PKiPfP15HIP_vector_typeIfLj2EEffffjfiS5_IjLj3EEiiiiiiiiiiiliiliiiiil: ; @_ZL15flash_attn_tileILi64ELi64ELi8ELi8ELb1EEvPKcS1_S1_S1_S1_PKiPfP15HIP_vector_typeIfLj2EEffffjfiS5_IjLj3EEiiiiiiiiiiiliiliiiiil
; %bb.0:
	s_add_u32 s0, s0, s7
	s_addc_u32 s1, s1, 0
	s_add_u32 s8, s4, 0xd0
	s_addc_u32 s9, s5, 0
	s_getpc_b64 s[4:5]
	s_add_u32 s4, s4, _ZL14no_device_codePKciS0_iS0_@rel32@lo+4
	s_addc_u32 s5, s5, _ZL14no_device_codePKciS0_iS0_@rel32@hi+12
	s_mov_b32 s32, 0
	s_swappc_b64 s[30:31], s[4:5]
	.section	.rodata,"a",@progbits
	.p2align	6, 0x0
	.amdhsa_kernel _ZL15flash_attn_tileILi64ELi64ELi8ELi8ELb1EEvPKcS1_S1_S1_S1_PKiPfP15HIP_vector_typeIfLj2EEffffjfiS5_IjLj3EEiiiiiiiiiiiliiliiiiil
		.amdhsa_group_segment_fixed_size 0
		.amdhsa_private_segment_fixed_size 16
		.amdhsa_kernarg_size 464
		.amdhsa_user_sgpr_count 6
		.amdhsa_user_sgpr_private_segment_buffer 1
		.amdhsa_user_sgpr_dispatch_ptr 0
		.amdhsa_user_sgpr_queue_ptr 0
		.amdhsa_user_sgpr_kernarg_segment_ptr 1
		.amdhsa_user_sgpr_dispatch_id 0
		.amdhsa_user_sgpr_flat_scratch_init 0
		.amdhsa_user_sgpr_private_segment_size 0
		.amdhsa_wavefront_size32 1
		.amdhsa_uses_dynamic_stack 0
		.amdhsa_system_sgpr_private_segment_wavefront_offset 1
		.amdhsa_system_sgpr_workgroup_id_x 1
		.amdhsa_system_sgpr_workgroup_id_y 0
		.amdhsa_system_sgpr_workgroup_id_z 0
		.amdhsa_system_sgpr_workgroup_info 0
		.amdhsa_system_vgpr_workitem_id 0
		.amdhsa_next_free_vgpr 40
		.amdhsa_next_free_sgpr 34
		.amdhsa_reserve_vcc 1
		.amdhsa_reserve_flat_scratch 0
		.amdhsa_float_round_mode_32 0
		.amdhsa_float_round_mode_16_64 0
		.amdhsa_float_denorm_mode_32 3
		.amdhsa_float_denorm_mode_16_64 3
		.amdhsa_dx10_clamp 1
		.amdhsa_ieee_mode 1
		.amdhsa_fp16_overflow 0
		.amdhsa_workgroup_processor_mode 1
		.amdhsa_memory_ordered 1
		.amdhsa_forward_progress 1
		.amdhsa_shared_vgpr_count 0
		.amdhsa_exception_fp_ieee_invalid_op 0
		.amdhsa_exception_fp_denorm_src 0
		.amdhsa_exception_fp_ieee_div_zero 0
		.amdhsa_exception_fp_ieee_overflow 0
		.amdhsa_exception_fp_ieee_underflow 0
		.amdhsa_exception_fp_ieee_inexact 0
		.amdhsa_exception_int_div_zero 0
	.end_amdhsa_kernel
	.section	.text._ZL15flash_attn_tileILi64ELi64ELi8ELi8ELb1EEvPKcS1_S1_S1_S1_PKiPfP15HIP_vector_typeIfLj2EEffffjfiS5_IjLj3EEiiiiiiiiiiiliiliiiiil,"axG",@progbits,_ZL15flash_attn_tileILi64ELi64ELi8ELi8ELb1EEvPKcS1_S1_S1_S1_PKiPfP15HIP_vector_typeIfLj2EEffffjfiS5_IjLj3EEiiiiiiiiiiiliiliiiiil,comdat
.Lfunc_end74:
	.size	_ZL15flash_attn_tileILi64ELi64ELi8ELi8ELb1EEvPKcS1_S1_S1_S1_PKiPfP15HIP_vector_typeIfLj2EEffffjfiS5_IjLj3EEiiiiiiiiiiiliiliiiiil, .Lfunc_end74-_ZL15flash_attn_tileILi64ELi64ELi8ELi8ELb1EEvPKcS1_S1_S1_S1_PKiPfP15HIP_vector_typeIfLj2EEffffjfiS5_IjLj3EEiiiiiiiiiiiliiliiiiil
                                        ; -- End function
	.set _ZL15flash_attn_tileILi64ELi64ELi8ELi8ELb1EEvPKcS1_S1_S1_S1_PKiPfP15HIP_vector_typeIfLj2EEffffjfiS5_IjLj3EEiiiiiiiiiiiliiliiiiil.num_vgpr, max(0, .L_ZL14no_device_codePKciS0_iS0_.num_vgpr)
	.set _ZL15flash_attn_tileILi64ELi64ELi8ELi8ELb1EEvPKcS1_S1_S1_S1_PKiPfP15HIP_vector_typeIfLj2EEffffjfiS5_IjLj3EEiiiiiiiiiiiliiliiiiil.num_agpr, max(0, .L_ZL14no_device_codePKciS0_iS0_.num_agpr)
	.set _ZL15flash_attn_tileILi64ELi64ELi8ELi8ELb1EEvPKcS1_S1_S1_S1_PKiPfP15HIP_vector_typeIfLj2EEffffjfiS5_IjLj3EEiiiiiiiiiiiliiliiiiil.numbered_sgpr, max(33, .L_ZL14no_device_codePKciS0_iS0_.numbered_sgpr)
	.set _ZL15flash_attn_tileILi64ELi64ELi8ELi8ELb1EEvPKcS1_S1_S1_S1_PKiPfP15HIP_vector_typeIfLj2EEffffjfiS5_IjLj3EEiiiiiiiiiiiliiliiiiil.num_named_barrier, max(0, .L_ZL14no_device_codePKciS0_iS0_.num_named_barrier)
	.set _ZL15flash_attn_tileILi64ELi64ELi8ELi8ELb1EEvPKcS1_S1_S1_S1_PKiPfP15HIP_vector_typeIfLj2EEffffjfiS5_IjLj3EEiiiiiiiiiiiliiliiiiil.private_seg_size, 0+max(.L_ZL14no_device_codePKciS0_iS0_.private_seg_size)
	.set _ZL15flash_attn_tileILi64ELi64ELi8ELi8ELb1EEvPKcS1_S1_S1_S1_PKiPfP15HIP_vector_typeIfLj2EEffffjfiS5_IjLj3EEiiiiiiiiiiiliiliiiiil.uses_vcc, or(1, .L_ZL14no_device_codePKciS0_iS0_.uses_vcc)
	.set _ZL15flash_attn_tileILi64ELi64ELi8ELi8ELb1EEvPKcS1_S1_S1_S1_PKiPfP15HIP_vector_typeIfLj2EEffffjfiS5_IjLj3EEiiiiiiiiiiiliiliiiiil.uses_flat_scratch, or(0, .L_ZL14no_device_codePKciS0_iS0_.uses_flat_scratch)
	.set _ZL15flash_attn_tileILi64ELi64ELi8ELi8ELb1EEvPKcS1_S1_S1_S1_PKiPfP15HIP_vector_typeIfLj2EEffffjfiS5_IjLj3EEiiiiiiiiiiiliiliiiiil.has_dyn_sized_stack, or(0, .L_ZL14no_device_codePKciS0_iS0_.has_dyn_sized_stack)
	.set _ZL15flash_attn_tileILi64ELi64ELi8ELi8ELb1EEvPKcS1_S1_S1_S1_PKiPfP15HIP_vector_typeIfLj2EEffffjfiS5_IjLj3EEiiiiiiiiiiiliiliiiiil.has_recursion, or(0, .L_ZL14no_device_codePKciS0_iS0_.has_recursion)
	.set _ZL15flash_attn_tileILi64ELi64ELi8ELi8ELb1EEvPKcS1_S1_S1_S1_PKiPfP15HIP_vector_typeIfLj2EEffffjfiS5_IjLj3EEiiiiiiiiiiiliiliiiiil.has_indirect_call, or(0, .L_ZL14no_device_codePKciS0_iS0_.has_indirect_call)
	.section	.AMDGPU.csdata,"",@progbits
; Kernel info:
; codeLenInByte = 48
; TotalNumSgprs: 36
; NumVgprs: 40
; ScratchSize: 16
; MemoryBound: 0
; FloatMode: 240
; IeeeMode: 1
; LDSByteSize: 0 bytes/workgroup (compile time only)
; SGPRBlocks: 0
; VGPRBlocks: 4
; NumSGPRsForWavesPerEU: 36
; NumVGPRsForWavesPerEU: 40
; Occupancy: 16
; WaveLimiterHint : 1
; COMPUTE_PGM_RSRC2:SCRATCH_EN: 1
; COMPUTE_PGM_RSRC2:USER_SGPR: 6
; COMPUTE_PGM_RSRC2:TRAP_HANDLER: 0
; COMPUTE_PGM_RSRC2:TGID_X_EN: 1
; COMPUTE_PGM_RSRC2:TGID_Y_EN: 0
; COMPUTE_PGM_RSRC2:TGID_Z_EN: 0
; COMPUTE_PGM_RSRC2:TIDIG_COMP_CNT: 0
	.section	.text._ZL15flash_attn_tileILi64ELi64ELi4ELi8ELb1EEvPKcS1_S1_S1_S1_PKiPfP15HIP_vector_typeIfLj2EEffffjfiS5_IjLj3EEiiiiiiiiiiiliiliiiiil,"axG",@progbits,_ZL15flash_attn_tileILi64ELi64ELi4ELi8ELb1EEvPKcS1_S1_S1_S1_PKiPfP15HIP_vector_typeIfLj2EEffffjfiS5_IjLj3EEiiiiiiiiiiiliiliiiiil,comdat
	.globl	_ZL15flash_attn_tileILi64ELi64ELi4ELi8ELb1EEvPKcS1_S1_S1_S1_PKiPfP15HIP_vector_typeIfLj2EEffffjfiS5_IjLj3EEiiiiiiiiiiiliiliiiiil ; -- Begin function _ZL15flash_attn_tileILi64ELi64ELi4ELi8ELb1EEvPKcS1_S1_S1_S1_PKiPfP15HIP_vector_typeIfLj2EEffffjfiS5_IjLj3EEiiiiiiiiiiiliiliiiiil
	.p2align	8
	.type	_ZL15flash_attn_tileILi64ELi64ELi4ELi8ELb1EEvPKcS1_S1_S1_S1_PKiPfP15HIP_vector_typeIfLj2EEffffjfiS5_IjLj3EEiiiiiiiiiiiliiliiiiil,@function
_ZL15flash_attn_tileILi64ELi64ELi4ELi8ELb1EEvPKcS1_S1_S1_S1_PKiPfP15HIP_vector_typeIfLj2EEffffjfiS5_IjLj3EEiiiiiiiiiiiliiliiiiil: ; @_ZL15flash_attn_tileILi64ELi64ELi4ELi8ELb1EEvPKcS1_S1_S1_S1_PKiPfP15HIP_vector_typeIfLj2EEffffjfiS5_IjLj3EEiiiiiiiiiiiliiliiiiil
; %bb.0:
	s_add_u32 s0, s0, s7
	s_addc_u32 s1, s1, 0
	s_add_u32 s8, s4, 0xd0
	s_addc_u32 s9, s5, 0
	s_getpc_b64 s[4:5]
	s_add_u32 s4, s4, _ZL14no_device_codePKciS0_iS0_@rel32@lo+4
	s_addc_u32 s5, s5, _ZL14no_device_codePKciS0_iS0_@rel32@hi+12
	s_mov_b32 s32, 0
	s_swappc_b64 s[30:31], s[4:5]
	.section	.rodata,"a",@progbits
	.p2align	6, 0x0
	.amdhsa_kernel _ZL15flash_attn_tileILi64ELi64ELi4ELi8ELb1EEvPKcS1_S1_S1_S1_PKiPfP15HIP_vector_typeIfLj2EEffffjfiS5_IjLj3EEiiiiiiiiiiiliiliiiiil
		.amdhsa_group_segment_fixed_size 0
		.amdhsa_private_segment_fixed_size 16
		.amdhsa_kernarg_size 464
		.amdhsa_user_sgpr_count 6
		.amdhsa_user_sgpr_private_segment_buffer 1
		.amdhsa_user_sgpr_dispatch_ptr 0
		.amdhsa_user_sgpr_queue_ptr 0
		.amdhsa_user_sgpr_kernarg_segment_ptr 1
		.amdhsa_user_sgpr_dispatch_id 0
		.amdhsa_user_sgpr_flat_scratch_init 0
		.amdhsa_user_sgpr_private_segment_size 0
		.amdhsa_wavefront_size32 1
		.amdhsa_uses_dynamic_stack 0
		.amdhsa_system_sgpr_private_segment_wavefront_offset 1
		.amdhsa_system_sgpr_workgroup_id_x 1
		.amdhsa_system_sgpr_workgroup_id_y 0
		.amdhsa_system_sgpr_workgroup_id_z 0
		.amdhsa_system_sgpr_workgroup_info 0
		.amdhsa_system_vgpr_workitem_id 0
		.amdhsa_next_free_vgpr 40
		.amdhsa_next_free_sgpr 34
		.amdhsa_reserve_vcc 1
		.amdhsa_reserve_flat_scratch 0
		.amdhsa_float_round_mode_32 0
		.amdhsa_float_round_mode_16_64 0
		.amdhsa_float_denorm_mode_32 3
		.amdhsa_float_denorm_mode_16_64 3
		.amdhsa_dx10_clamp 1
		.amdhsa_ieee_mode 1
		.amdhsa_fp16_overflow 0
		.amdhsa_workgroup_processor_mode 1
		.amdhsa_memory_ordered 1
		.amdhsa_forward_progress 1
		.amdhsa_shared_vgpr_count 0
		.amdhsa_exception_fp_ieee_invalid_op 0
		.amdhsa_exception_fp_denorm_src 0
		.amdhsa_exception_fp_ieee_div_zero 0
		.amdhsa_exception_fp_ieee_overflow 0
		.amdhsa_exception_fp_ieee_underflow 0
		.amdhsa_exception_fp_ieee_inexact 0
		.amdhsa_exception_int_div_zero 0
	.end_amdhsa_kernel
	.section	.text._ZL15flash_attn_tileILi64ELi64ELi4ELi8ELb1EEvPKcS1_S1_S1_S1_PKiPfP15HIP_vector_typeIfLj2EEffffjfiS5_IjLj3EEiiiiiiiiiiiliiliiiiil,"axG",@progbits,_ZL15flash_attn_tileILi64ELi64ELi4ELi8ELb1EEvPKcS1_S1_S1_S1_PKiPfP15HIP_vector_typeIfLj2EEffffjfiS5_IjLj3EEiiiiiiiiiiiliiliiiiil,comdat
.Lfunc_end75:
	.size	_ZL15flash_attn_tileILi64ELi64ELi4ELi8ELb1EEvPKcS1_S1_S1_S1_PKiPfP15HIP_vector_typeIfLj2EEffffjfiS5_IjLj3EEiiiiiiiiiiiliiliiiiil, .Lfunc_end75-_ZL15flash_attn_tileILi64ELi64ELi4ELi8ELb1EEvPKcS1_S1_S1_S1_PKiPfP15HIP_vector_typeIfLj2EEffffjfiS5_IjLj3EEiiiiiiiiiiiliiliiiiil
                                        ; -- End function
	.set _ZL15flash_attn_tileILi64ELi64ELi4ELi8ELb1EEvPKcS1_S1_S1_S1_PKiPfP15HIP_vector_typeIfLj2EEffffjfiS5_IjLj3EEiiiiiiiiiiiliiliiiiil.num_vgpr, max(0, .L_ZL14no_device_codePKciS0_iS0_.num_vgpr)
	.set _ZL15flash_attn_tileILi64ELi64ELi4ELi8ELb1EEvPKcS1_S1_S1_S1_PKiPfP15HIP_vector_typeIfLj2EEffffjfiS5_IjLj3EEiiiiiiiiiiiliiliiiiil.num_agpr, max(0, .L_ZL14no_device_codePKciS0_iS0_.num_agpr)
	.set _ZL15flash_attn_tileILi64ELi64ELi4ELi8ELb1EEvPKcS1_S1_S1_S1_PKiPfP15HIP_vector_typeIfLj2EEffffjfiS5_IjLj3EEiiiiiiiiiiiliiliiiiil.numbered_sgpr, max(33, .L_ZL14no_device_codePKciS0_iS0_.numbered_sgpr)
	.set _ZL15flash_attn_tileILi64ELi64ELi4ELi8ELb1EEvPKcS1_S1_S1_S1_PKiPfP15HIP_vector_typeIfLj2EEffffjfiS5_IjLj3EEiiiiiiiiiiiliiliiiiil.num_named_barrier, max(0, .L_ZL14no_device_codePKciS0_iS0_.num_named_barrier)
	.set _ZL15flash_attn_tileILi64ELi64ELi4ELi8ELb1EEvPKcS1_S1_S1_S1_PKiPfP15HIP_vector_typeIfLj2EEffffjfiS5_IjLj3EEiiiiiiiiiiiliiliiiiil.private_seg_size, 0+max(.L_ZL14no_device_codePKciS0_iS0_.private_seg_size)
	.set _ZL15flash_attn_tileILi64ELi64ELi4ELi8ELb1EEvPKcS1_S1_S1_S1_PKiPfP15HIP_vector_typeIfLj2EEffffjfiS5_IjLj3EEiiiiiiiiiiiliiliiiiil.uses_vcc, or(1, .L_ZL14no_device_codePKciS0_iS0_.uses_vcc)
	.set _ZL15flash_attn_tileILi64ELi64ELi4ELi8ELb1EEvPKcS1_S1_S1_S1_PKiPfP15HIP_vector_typeIfLj2EEffffjfiS5_IjLj3EEiiiiiiiiiiiliiliiiiil.uses_flat_scratch, or(0, .L_ZL14no_device_codePKciS0_iS0_.uses_flat_scratch)
	.set _ZL15flash_attn_tileILi64ELi64ELi4ELi8ELb1EEvPKcS1_S1_S1_S1_PKiPfP15HIP_vector_typeIfLj2EEffffjfiS5_IjLj3EEiiiiiiiiiiiliiliiiiil.has_dyn_sized_stack, or(0, .L_ZL14no_device_codePKciS0_iS0_.has_dyn_sized_stack)
	.set _ZL15flash_attn_tileILi64ELi64ELi4ELi8ELb1EEvPKcS1_S1_S1_S1_PKiPfP15HIP_vector_typeIfLj2EEffffjfiS5_IjLj3EEiiiiiiiiiiiliiliiiiil.has_recursion, or(0, .L_ZL14no_device_codePKciS0_iS0_.has_recursion)
	.set _ZL15flash_attn_tileILi64ELi64ELi4ELi8ELb1EEvPKcS1_S1_S1_S1_PKiPfP15HIP_vector_typeIfLj2EEffffjfiS5_IjLj3EEiiiiiiiiiiiliiliiiiil.has_indirect_call, or(0, .L_ZL14no_device_codePKciS0_iS0_.has_indirect_call)
	.section	.AMDGPU.csdata,"",@progbits
; Kernel info:
; codeLenInByte = 48
; TotalNumSgprs: 36
; NumVgprs: 40
; ScratchSize: 16
; MemoryBound: 0
; FloatMode: 240
; IeeeMode: 1
; LDSByteSize: 0 bytes/workgroup (compile time only)
; SGPRBlocks: 0
; VGPRBlocks: 4
; NumSGPRsForWavesPerEU: 36
; NumVGPRsForWavesPerEU: 40
; Occupancy: 16
; WaveLimiterHint : 1
; COMPUTE_PGM_RSRC2:SCRATCH_EN: 1
; COMPUTE_PGM_RSRC2:USER_SGPR: 6
; COMPUTE_PGM_RSRC2:TRAP_HANDLER: 0
; COMPUTE_PGM_RSRC2:TGID_X_EN: 1
; COMPUTE_PGM_RSRC2:TGID_Y_EN: 0
; COMPUTE_PGM_RSRC2:TGID_Z_EN: 0
; COMPUTE_PGM_RSRC2:TIDIG_COMP_CNT: 0
	.section	.text._ZL15flash_attn_tileILi64ELi64ELi2ELi8ELb1EEvPKcS1_S1_S1_S1_PKiPfP15HIP_vector_typeIfLj2EEffffjfiS5_IjLj3EEiiiiiiiiiiiliiliiiiil,"axG",@progbits,_ZL15flash_attn_tileILi64ELi64ELi2ELi8ELb1EEvPKcS1_S1_S1_S1_PKiPfP15HIP_vector_typeIfLj2EEffffjfiS5_IjLj3EEiiiiiiiiiiiliiliiiiil,comdat
	.globl	_ZL15flash_attn_tileILi64ELi64ELi2ELi8ELb1EEvPKcS1_S1_S1_S1_PKiPfP15HIP_vector_typeIfLj2EEffffjfiS5_IjLj3EEiiiiiiiiiiiliiliiiiil ; -- Begin function _ZL15flash_attn_tileILi64ELi64ELi2ELi8ELb1EEvPKcS1_S1_S1_S1_PKiPfP15HIP_vector_typeIfLj2EEffffjfiS5_IjLj3EEiiiiiiiiiiiliiliiiiil
	.p2align	8
	.type	_ZL15flash_attn_tileILi64ELi64ELi2ELi8ELb1EEvPKcS1_S1_S1_S1_PKiPfP15HIP_vector_typeIfLj2EEffffjfiS5_IjLj3EEiiiiiiiiiiiliiliiiiil,@function
_ZL15flash_attn_tileILi64ELi64ELi2ELi8ELb1EEvPKcS1_S1_S1_S1_PKiPfP15HIP_vector_typeIfLj2EEffffjfiS5_IjLj3EEiiiiiiiiiiiliiliiiiil: ; @_ZL15flash_attn_tileILi64ELi64ELi2ELi8ELb1EEvPKcS1_S1_S1_S1_PKiPfP15HIP_vector_typeIfLj2EEffffjfiS5_IjLj3EEiiiiiiiiiiiliiliiiiil
; %bb.0:
	s_add_u32 s0, s0, s7
	s_addc_u32 s1, s1, 0
	s_add_u32 s8, s4, 0xd0
	s_addc_u32 s9, s5, 0
	s_getpc_b64 s[4:5]
	s_add_u32 s4, s4, _ZL14no_device_codePKciS0_iS0_@rel32@lo+4
	s_addc_u32 s5, s5, _ZL14no_device_codePKciS0_iS0_@rel32@hi+12
	s_mov_b32 s32, 0
	s_swappc_b64 s[30:31], s[4:5]
	.section	.rodata,"a",@progbits
	.p2align	6, 0x0
	.amdhsa_kernel _ZL15flash_attn_tileILi64ELi64ELi2ELi8ELb1EEvPKcS1_S1_S1_S1_PKiPfP15HIP_vector_typeIfLj2EEffffjfiS5_IjLj3EEiiiiiiiiiiiliiliiiiil
		.amdhsa_group_segment_fixed_size 0
		.amdhsa_private_segment_fixed_size 16
		.amdhsa_kernarg_size 464
		.amdhsa_user_sgpr_count 6
		.amdhsa_user_sgpr_private_segment_buffer 1
		.amdhsa_user_sgpr_dispatch_ptr 0
		.amdhsa_user_sgpr_queue_ptr 0
		.amdhsa_user_sgpr_kernarg_segment_ptr 1
		.amdhsa_user_sgpr_dispatch_id 0
		.amdhsa_user_sgpr_flat_scratch_init 0
		.amdhsa_user_sgpr_private_segment_size 0
		.amdhsa_wavefront_size32 1
		.amdhsa_uses_dynamic_stack 0
		.amdhsa_system_sgpr_private_segment_wavefront_offset 1
		.amdhsa_system_sgpr_workgroup_id_x 1
		.amdhsa_system_sgpr_workgroup_id_y 0
		.amdhsa_system_sgpr_workgroup_id_z 0
		.amdhsa_system_sgpr_workgroup_info 0
		.amdhsa_system_vgpr_workitem_id 0
		.amdhsa_next_free_vgpr 40
		.amdhsa_next_free_sgpr 34
		.amdhsa_reserve_vcc 1
		.amdhsa_reserve_flat_scratch 0
		.amdhsa_float_round_mode_32 0
		.amdhsa_float_round_mode_16_64 0
		.amdhsa_float_denorm_mode_32 3
		.amdhsa_float_denorm_mode_16_64 3
		.amdhsa_dx10_clamp 1
		.amdhsa_ieee_mode 1
		.amdhsa_fp16_overflow 0
		.amdhsa_workgroup_processor_mode 1
		.amdhsa_memory_ordered 1
		.amdhsa_forward_progress 1
		.amdhsa_shared_vgpr_count 0
		.amdhsa_exception_fp_ieee_invalid_op 0
		.amdhsa_exception_fp_denorm_src 0
		.amdhsa_exception_fp_ieee_div_zero 0
		.amdhsa_exception_fp_ieee_overflow 0
		.amdhsa_exception_fp_ieee_underflow 0
		.amdhsa_exception_fp_ieee_inexact 0
		.amdhsa_exception_int_div_zero 0
	.end_amdhsa_kernel
	.section	.text._ZL15flash_attn_tileILi64ELi64ELi2ELi8ELb1EEvPKcS1_S1_S1_S1_PKiPfP15HIP_vector_typeIfLj2EEffffjfiS5_IjLj3EEiiiiiiiiiiiliiliiiiil,"axG",@progbits,_ZL15flash_attn_tileILi64ELi64ELi2ELi8ELb1EEvPKcS1_S1_S1_S1_PKiPfP15HIP_vector_typeIfLj2EEffffjfiS5_IjLj3EEiiiiiiiiiiiliiliiiiil,comdat
.Lfunc_end76:
	.size	_ZL15flash_attn_tileILi64ELi64ELi2ELi8ELb1EEvPKcS1_S1_S1_S1_PKiPfP15HIP_vector_typeIfLj2EEffffjfiS5_IjLj3EEiiiiiiiiiiiliiliiiiil, .Lfunc_end76-_ZL15flash_attn_tileILi64ELi64ELi2ELi8ELb1EEvPKcS1_S1_S1_S1_PKiPfP15HIP_vector_typeIfLj2EEffffjfiS5_IjLj3EEiiiiiiiiiiiliiliiiiil
                                        ; -- End function
	.set _ZL15flash_attn_tileILi64ELi64ELi2ELi8ELb1EEvPKcS1_S1_S1_S1_PKiPfP15HIP_vector_typeIfLj2EEffffjfiS5_IjLj3EEiiiiiiiiiiiliiliiiiil.num_vgpr, max(0, .L_ZL14no_device_codePKciS0_iS0_.num_vgpr)
	.set _ZL15flash_attn_tileILi64ELi64ELi2ELi8ELb1EEvPKcS1_S1_S1_S1_PKiPfP15HIP_vector_typeIfLj2EEffffjfiS5_IjLj3EEiiiiiiiiiiiliiliiiiil.num_agpr, max(0, .L_ZL14no_device_codePKciS0_iS0_.num_agpr)
	.set _ZL15flash_attn_tileILi64ELi64ELi2ELi8ELb1EEvPKcS1_S1_S1_S1_PKiPfP15HIP_vector_typeIfLj2EEffffjfiS5_IjLj3EEiiiiiiiiiiiliiliiiiil.numbered_sgpr, max(33, .L_ZL14no_device_codePKciS0_iS0_.numbered_sgpr)
	.set _ZL15flash_attn_tileILi64ELi64ELi2ELi8ELb1EEvPKcS1_S1_S1_S1_PKiPfP15HIP_vector_typeIfLj2EEffffjfiS5_IjLj3EEiiiiiiiiiiiliiliiiiil.num_named_barrier, max(0, .L_ZL14no_device_codePKciS0_iS0_.num_named_barrier)
	.set _ZL15flash_attn_tileILi64ELi64ELi2ELi8ELb1EEvPKcS1_S1_S1_S1_PKiPfP15HIP_vector_typeIfLj2EEffffjfiS5_IjLj3EEiiiiiiiiiiiliiliiiiil.private_seg_size, 0+max(.L_ZL14no_device_codePKciS0_iS0_.private_seg_size)
	.set _ZL15flash_attn_tileILi64ELi64ELi2ELi8ELb1EEvPKcS1_S1_S1_S1_PKiPfP15HIP_vector_typeIfLj2EEffffjfiS5_IjLj3EEiiiiiiiiiiiliiliiiiil.uses_vcc, or(1, .L_ZL14no_device_codePKciS0_iS0_.uses_vcc)
	.set _ZL15flash_attn_tileILi64ELi64ELi2ELi8ELb1EEvPKcS1_S1_S1_S1_PKiPfP15HIP_vector_typeIfLj2EEffffjfiS5_IjLj3EEiiiiiiiiiiiliiliiiiil.uses_flat_scratch, or(0, .L_ZL14no_device_codePKciS0_iS0_.uses_flat_scratch)
	.set _ZL15flash_attn_tileILi64ELi64ELi2ELi8ELb1EEvPKcS1_S1_S1_S1_PKiPfP15HIP_vector_typeIfLj2EEffffjfiS5_IjLj3EEiiiiiiiiiiiliiliiiiil.has_dyn_sized_stack, or(0, .L_ZL14no_device_codePKciS0_iS0_.has_dyn_sized_stack)
	.set _ZL15flash_attn_tileILi64ELi64ELi2ELi8ELb1EEvPKcS1_S1_S1_S1_PKiPfP15HIP_vector_typeIfLj2EEffffjfiS5_IjLj3EEiiiiiiiiiiiliiliiiiil.has_recursion, or(0, .L_ZL14no_device_codePKciS0_iS0_.has_recursion)
	.set _ZL15flash_attn_tileILi64ELi64ELi2ELi8ELb1EEvPKcS1_S1_S1_S1_PKiPfP15HIP_vector_typeIfLj2EEffffjfiS5_IjLj3EEiiiiiiiiiiiliiliiiiil.has_indirect_call, or(0, .L_ZL14no_device_codePKciS0_iS0_.has_indirect_call)
	.section	.AMDGPU.csdata,"",@progbits
; Kernel info:
; codeLenInByte = 48
; TotalNumSgprs: 36
; NumVgprs: 40
; ScratchSize: 16
; MemoryBound: 0
; FloatMode: 240
; IeeeMode: 1
; LDSByteSize: 0 bytes/workgroup (compile time only)
; SGPRBlocks: 0
; VGPRBlocks: 4
; NumSGPRsForWavesPerEU: 36
; NumVGPRsForWavesPerEU: 40
; Occupancy: 16
; WaveLimiterHint : 1
; COMPUTE_PGM_RSRC2:SCRATCH_EN: 1
; COMPUTE_PGM_RSRC2:USER_SGPR: 6
; COMPUTE_PGM_RSRC2:TRAP_HANDLER: 0
; COMPUTE_PGM_RSRC2:TGID_X_EN: 1
; COMPUTE_PGM_RSRC2:TGID_Y_EN: 0
; COMPUTE_PGM_RSRC2:TGID_Z_EN: 0
; COMPUTE_PGM_RSRC2:TIDIG_COMP_CNT: 0
	.section	.text._ZL15flash_attn_tileILi64ELi64ELi1ELi8ELb1EEvPKcS1_S1_S1_S1_PKiPfP15HIP_vector_typeIfLj2EEffffjfiS5_IjLj3EEiiiiiiiiiiiliiliiiiil,"axG",@progbits,_ZL15flash_attn_tileILi64ELi64ELi1ELi8ELb1EEvPKcS1_S1_S1_S1_PKiPfP15HIP_vector_typeIfLj2EEffffjfiS5_IjLj3EEiiiiiiiiiiiliiliiiiil,comdat
	.globl	_ZL15flash_attn_tileILi64ELi64ELi1ELi8ELb1EEvPKcS1_S1_S1_S1_PKiPfP15HIP_vector_typeIfLj2EEffffjfiS5_IjLj3EEiiiiiiiiiiiliiliiiiil ; -- Begin function _ZL15flash_attn_tileILi64ELi64ELi1ELi8ELb1EEvPKcS1_S1_S1_S1_PKiPfP15HIP_vector_typeIfLj2EEffffjfiS5_IjLj3EEiiiiiiiiiiiliiliiiiil
	.p2align	8
	.type	_ZL15flash_attn_tileILi64ELi64ELi1ELi8ELb1EEvPKcS1_S1_S1_S1_PKiPfP15HIP_vector_typeIfLj2EEffffjfiS5_IjLj3EEiiiiiiiiiiiliiliiiiil,@function
_ZL15flash_attn_tileILi64ELi64ELi1ELi8ELb1EEvPKcS1_S1_S1_S1_PKiPfP15HIP_vector_typeIfLj2EEffffjfiS5_IjLj3EEiiiiiiiiiiiliiliiiiil: ; @_ZL15flash_attn_tileILi64ELi64ELi1ELi8ELb1EEvPKcS1_S1_S1_S1_PKiPfP15HIP_vector_typeIfLj2EEffffjfiS5_IjLj3EEiiiiiiiiiiiliiliiiiil
; %bb.0:
	s_add_u32 s0, s0, s7
	s_addc_u32 s1, s1, 0
	s_add_u32 s8, s4, 0xd0
	s_addc_u32 s9, s5, 0
	s_getpc_b64 s[4:5]
	s_add_u32 s4, s4, _ZL14no_device_codePKciS0_iS0_@rel32@lo+4
	s_addc_u32 s5, s5, _ZL14no_device_codePKciS0_iS0_@rel32@hi+12
	s_mov_b32 s32, 0
	s_swappc_b64 s[30:31], s[4:5]
	.section	.rodata,"a",@progbits
	.p2align	6, 0x0
	.amdhsa_kernel _ZL15flash_attn_tileILi64ELi64ELi1ELi8ELb1EEvPKcS1_S1_S1_S1_PKiPfP15HIP_vector_typeIfLj2EEffffjfiS5_IjLj3EEiiiiiiiiiiiliiliiiiil
		.amdhsa_group_segment_fixed_size 0
		.amdhsa_private_segment_fixed_size 16
		.amdhsa_kernarg_size 464
		.amdhsa_user_sgpr_count 6
		.amdhsa_user_sgpr_private_segment_buffer 1
		.amdhsa_user_sgpr_dispatch_ptr 0
		.amdhsa_user_sgpr_queue_ptr 0
		.amdhsa_user_sgpr_kernarg_segment_ptr 1
		.amdhsa_user_sgpr_dispatch_id 0
		.amdhsa_user_sgpr_flat_scratch_init 0
		.amdhsa_user_sgpr_private_segment_size 0
		.amdhsa_wavefront_size32 1
		.amdhsa_uses_dynamic_stack 0
		.amdhsa_system_sgpr_private_segment_wavefront_offset 1
		.amdhsa_system_sgpr_workgroup_id_x 1
		.amdhsa_system_sgpr_workgroup_id_y 0
		.amdhsa_system_sgpr_workgroup_id_z 0
		.amdhsa_system_sgpr_workgroup_info 0
		.amdhsa_system_vgpr_workitem_id 0
		.amdhsa_next_free_vgpr 40
		.amdhsa_next_free_sgpr 34
		.amdhsa_reserve_vcc 1
		.amdhsa_reserve_flat_scratch 0
		.amdhsa_float_round_mode_32 0
		.amdhsa_float_round_mode_16_64 0
		.amdhsa_float_denorm_mode_32 3
		.amdhsa_float_denorm_mode_16_64 3
		.amdhsa_dx10_clamp 1
		.amdhsa_ieee_mode 1
		.amdhsa_fp16_overflow 0
		.amdhsa_workgroup_processor_mode 1
		.amdhsa_memory_ordered 1
		.amdhsa_forward_progress 1
		.amdhsa_shared_vgpr_count 0
		.amdhsa_exception_fp_ieee_invalid_op 0
		.amdhsa_exception_fp_denorm_src 0
		.amdhsa_exception_fp_ieee_div_zero 0
		.amdhsa_exception_fp_ieee_overflow 0
		.amdhsa_exception_fp_ieee_underflow 0
		.amdhsa_exception_fp_ieee_inexact 0
		.amdhsa_exception_int_div_zero 0
	.end_amdhsa_kernel
	.section	.text._ZL15flash_attn_tileILi64ELi64ELi1ELi8ELb1EEvPKcS1_S1_S1_S1_PKiPfP15HIP_vector_typeIfLj2EEffffjfiS5_IjLj3EEiiiiiiiiiiiliiliiiiil,"axG",@progbits,_ZL15flash_attn_tileILi64ELi64ELi1ELi8ELb1EEvPKcS1_S1_S1_S1_PKiPfP15HIP_vector_typeIfLj2EEffffjfiS5_IjLj3EEiiiiiiiiiiiliiliiiiil,comdat
.Lfunc_end77:
	.size	_ZL15flash_attn_tileILi64ELi64ELi1ELi8ELb1EEvPKcS1_S1_S1_S1_PKiPfP15HIP_vector_typeIfLj2EEffffjfiS5_IjLj3EEiiiiiiiiiiiliiliiiiil, .Lfunc_end77-_ZL15flash_attn_tileILi64ELi64ELi1ELi8ELb1EEvPKcS1_S1_S1_S1_PKiPfP15HIP_vector_typeIfLj2EEffffjfiS5_IjLj3EEiiiiiiiiiiiliiliiiiil
                                        ; -- End function
	.set _ZL15flash_attn_tileILi64ELi64ELi1ELi8ELb1EEvPKcS1_S1_S1_S1_PKiPfP15HIP_vector_typeIfLj2EEffffjfiS5_IjLj3EEiiiiiiiiiiiliiliiiiil.num_vgpr, max(0, .L_ZL14no_device_codePKciS0_iS0_.num_vgpr)
	.set _ZL15flash_attn_tileILi64ELi64ELi1ELi8ELb1EEvPKcS1_S1_S1_S1_PKiPfP15HIP_vector_typeIfLj2EEffffjfiS5_IjLj3EEiiiiiiiiiiiliiliiiiil.num_agpr, max(0, .L_ZL14no_device_codePKciS0_iS0_.num_agpr)
	.set _ZL15flash_attn_tileILi64ELi64ELi1ELi8ELb1EEvPKcS1_S1_S1_S1_PKiPfP15HIP_vector_typeIfLj2EEffffjfiS5_IjLj3EEiiiiiiiiiiiliiliiiiil.numbered_sgpr, max(33, .L_ZL14no_device_codePKciS0_iS0_.numbered_sgpr)
	.set _ZL15flash_attn_tileILi64ELi64ELi1ELi8ELb1EEvPKcS1_S1_S1_S1_PKiPfP15HIP_vector_typeIfLj2EEffffjfiS5_IjLj3EEiiiiiiiiiiiliiliiiiil.num_named_barrier, max(0, .L_ZL14no_device_codePKciS0_iS0_.num_named_barrier)
	.set _ZL15flash_attn_tileILi64ELi64ELi1ELi8ELb1EEvPKcS1_S1_S1_S1_PKiPfP15HIP_vector_typeIfLj2EEffffjfiS5_IjLj3EEiiiiiiiiiiiliiliiiiil.private_seg_size, 0+max(.L_ZL14no_device_codePKciS0_iS0_.private_seg_size)
	.set _ZL15flash_attn_tileILi64ELi64ELi1ELi8ELb1EEvPKcS1_S1_S1_S1_PKiPfP15HIP_vector_typeIfLj2EEffffjfiS5_IjLj3EEiiiiiiiiiiiliiliiiiil.uses_vcc, or(1, .L_ZL14no_device_codePKciS0_iS0_.uses_vcc)
	.set _ZL15flash_attn_tileILi64ELi64ELi1ELi8ELb1EEvPKcS1_S1_S1_S1_PKiPfP15HIP_vector_typeIfLj2EEffffjfiS5_IjLj3EEiiiiiiiiiiiliiliiiiil.uses_flat_scratch, or(0, .L_ZL14no_device_codePKciS0_iS0_.uses_flat_scratch)
	.set _ZL15flash_attn_tileILi64ELi64ELi1ELi8ELb1EEvPKcS1_S1_S1_S1_PKiPfP15HIP_vector_typeIfLj2EEffffjfiS5_IjLj3EEiiiiiiiiiiiliiliiiiil.has_dyn_sized_stack, or(0, .L_ZL14no_device_codePKciS0_iS0_.has_dyn_sized_stack)
	.set _ZL15flash_attn_tileILi64ELi64ELi1ELi8ELb1EEvPKcS1_S1_S1_S1_PKiPfP15HIP_vector_typeIfLj2EEffffjfiS5_IjLj3EEiiiiiiiiiiiliiliiiiil.has_recursion, or(0, .L_ZL14no_device_codePKciS0_iS0_.has_recursion)
	.set _ZL15flash_attn_tileILi64ELi64ELi1ELi8ELb1EEvPKcS1_S1_S1_S1_PKiPfP15HIP_vector_typeIfLj2EEffffjfiS5_IjLj3EEiiiiiiiiiiiliiliiiiil.has_indirect_call, or(0, .L_ZL14no_device_codePKciS0_iS0_.has_indirect_call)
	.section	.AMDGPU.csdata,"",@progbits
; Kernel info:
; codeLenInByte = 48
; TotalNumSgprs: 36
; NumVgprs: 40
; ScratchSize: 16
; MemoryBound: 0
; FloatMode: 240
; IeeeMode: 1
; LDSByteSize: 0 bytes/workgroup (compile time only)
; SGPRBlocks: 0
; VGPRBlocks: 4
; NumSGPRsForWavesPerEU: 36
; NumVGPRsForWavesPerEU: 40
; Occupancy: 16
; WaveLimiterHint : 1
; COMPUTE_PGM_RSRC2:SCRATCH_EN: 1
; COMPUTE_PGM_RSRC2:USER_SGPR: 6
; COMPUTE_PGM_RSRC2:TRAP_HANDLER: 0
; COMPUTE_PGM_RSRC2:TGID_X_EN: 1
; COMPUTE_PGM_RSRC2:TGID_Y_EN: 0
; COMPUTE_PGM_RSRC2:TGID_Z_EN: 0
; COMPUTE_PGM_RSRC2:TIDIG_COMP_CNT: 0
	.section	.text._ZL15flash_attn_tileILi64ELi64ELi16ELi4ELb1EEvPKcS1_S1_S1_S1_PKiPfP15HIP_vector_typeIfLj2EEffffjfiS5_IjLj3EEiiiiiiiiiiiliiliiiiil,"axG",@progbits,_ZL15flash_attn_tileILi64ELi64ELi16ELi4ELb1EEvPKcS1_S1_S1_S1_PKiPfP15HIP_vector_typeIfLj2EEffffjfiS5_IjLj3EEiiiiiiiiiiiliiliiiiil,comdat
	.globl	_ZL15flash_attn_tileILi64ELi64ELi16ELi4ELb1EEvPKcS1_S1_S1_S1_PKiPfP15HIP_vector_typeIfLj2EEffffjfiS5_IjLj3EEiiiiiiiiiiiliiliiiiil ; -- Begin function _ZL15flash_attn_tileILi64ELi64ELi16ELi4ELb1EEvPKcS1_S1_S1_S1_PKiPfP15HIP_vector_typeIfLj2EEffffjfiS5_IjLj3EEiiiiiiiiiiiliiliiiiil
	.p2align	8
	.type	_ZL15flash_attn_tileILi64ELi64ELi16ELi4ELb1EEvPKcS1_S1_S1_S1_PKiPfP15HIP_vector_typeIfLj2EEffffjfiS5_IjLj3EEiiiiiiiiiiiliiliiiiil,@function
_ZL15flash_attn_tileILi64ELi64ELi16ELi4ELb1EEvPKcS1_S1_S1_S1_PKiPfP15HIP_vector_typeIfLj2EEffffjfiS5_IjLj3EEiiiiiiiiiiiliiliiiiil: ; @_ZL15flash_attn_tileILi64ELi64ELi16ELi4ELb1EEvPKcS1_S1_S1_S1_PKiPfP15HIP_vector_typeIfLj2EEffffjfiS5_IjLj3EEiiiiiiiiiiiliiliiiiil
; %bb.0:
	s_add_u32 s0, s0, s7
	s_addc_u32 s1, s1, 0
	s_add_u32 s8, s4, 0xd0
	s_addc_u32 s9, s5, 0
	s_getpc_b64 s[4:5]
	s_add_u32 s4, s4, _ZL14no_device_codePKciS0_iS0_@rel32@lo+4
	s_addc_u32 s5, s5, _ZL14no_device_codePKciS0_iS0_@rel32@hi+12
	s_mov_b32 s32, 0
	s_swappc_b64 s[30:31], s[4:5]
	.section	.rodata,"a",@progbits
	.p2align	6, 0x0
	.amdhsa_kernel _ZL15flash_attn_tileILi64ELi64ELi16ELi4ELb1EEvPKcS1_S1_S1_S1_PKiPfP15HIP_vector_typeIfLj2EEffffjfiS5_IjLj3EEiiiiiiiiiiiliiliiiiil
		.amdhsa_group_segment_fixed_size 0
		.amdhsa_private_segment_fixed_size 16
		.amdhsa_kernarg_size 464
		.amdhsa_user_sgpr_count 6
		.amdhsa_user_sgpr_private_segment_buffer 1
		.amdhsa_user_sgpr_dispatch_ptr 0
		.amdhsa_user_sgpr_queue_ptr 0
		.amdhsa_user_sgpr_kernarg_segment_ptr 1
		.amdhsa_user_sgpr_dispatch_id 0
		.amdhsa_user_sgpr_flat_scratch_init 0
		.amdhsa_user_sgpr_private_segment_size 0
		.amdhsa_wavefront_size32 1
		.amdhsa_uses_dynamic_stack 0
		.amdhsa_system_sgpr_private_segment_wavefront_offset 1
		.amdhsa_system_sgpr_workgroup_id_x 1
		.amdhsa_system_sgpr_workgroup_id_y 0
		.amdhsa_system_sgpr_workgroup_id_z 0
		.amdhsa_system_sgpr_workgroup_info 0
		.amdhsa_system_vgpr_workitem_id 0
		.amdhsa_next_free_vgpr 40
		.amdhsa_next_free_sgpr 34
		.amdhsa_reserve_vcc 1
		.amdhsa_reserve_flat_scratch 0
		.amdhsa_float_round_mode_32 0
		.amdhsa_float_round_mode_16_64 0
		.amdhsa_float_denorm_mode_32 3
		.amdhsa_float_denorm_mode_16_64 3
		.amdhsa_dx10_clamp 1
		.amdhsa_ieee_mode 1
		.amdhsa_fp16_overflow 0
		.amdhsa_workgroup_processor_mode 1
		.amdhsa_memory_ordered 1
		.amdhsa_forward_progress 1
		.amdhsa_shared_vgpr_count 0
		.amdhsa_exception_fp_ieee_invalid_op 0
		.amdhsa_exception_fp_denorm_src 0
		.amdhsa_exception_fp_ieee_div_zero 0
		.amdhsa_exception_fp_ieee_overflow 0
		.amdhsa_exception_fp_ieee_underflow 0
		.amdhsa_exception_fp_ieee_inexact 0
		.amdhsa_exception_int_div_zero 0
	.end_amdhsa_kernel
	.section	.text._ZL15flash_attn_tileILi64ELi64ELi16ELi4ELb1EEvPKcS1_S1_S1_S1_PKiPfP15HIP_vector_typeIfLj2EEffffjfiS5_IjLj3EEiiiiiiiiiiiliiliiiiil,"axG",@progbits,_ZL15flash_attn_tileILi64ELi64ELi16ELi4ELb1EEvPKcS1_S1_S1_S1_PKiPfP15HIP_vector_typeIfLj2EEffffjfiS5_IjLj3EEiiiiiiiiiiiliiliiiiil,comdat
.Lfunc_end78:
	.size	_ZL15flash_attn_tileILi64ELi64ELi16ELi4ELb1EEvPKcS1_S1_S1_S1_PKiPfP15HIP_vector_typeIfLj2EEffffjfiS5_IjLj3EEiiiiiiiiiiiliiliiiiil, .Lfunc_end78-_ZL15flash_attn_tileILi64ELi64ELi16ELi4ELb1EEvPKcS1_S1_S1_S1_PKiPfP15HIP_vector_typeIfLj2EEffffjfiS5_IjLj3EEiiiiiiiiiiiliiliiiiil
                                        ; -- End function
	.set _ZL15flash_attn_tileILi64ELi64ELi16ELi4ELb1EEvPKcS1_S1_S1_S1_PKiPfP15HIP_vector_typeIfLj2EEffffjfiS5_IjLj3EEiiiiiiiiiiiliiliiiiil.num_vgpr, max(0, .L_ZL14no_device_codePKciS0_iS0_.num_vgpr)
	.set _ZL15flash_attn_tileILi64ELi64ELi16ELi4ELb1EEvPKcS1_S1_S1_S1_PKiPfP15HIP_vector_typeIfLj2EEffffjfiS5_IjLj3EEiiiiiiiiiiiliiliiiiil.num_agpr, max(0, .L_ZL14no_device_codePKciS0_iS0_.num_agpr)
	.set _ZL15flash_attn_tileILi64ELi64ELi16ELi4ELb1EEvPKcS1_S1_S1_S1_PKiPfP15HIP_vector_typeIfLj2EEffffjfiS5_IjLj3EEiiiiiiiiiiiliiliiiiil.numbered_sgpr, max(33, .L_ZL14no_device_codePKciS0_iS0_.numbered_sgpr)
	.set _ZL15flash_attn_tileILi64ELi64ELi16ELi4ELb1EEvPKcS1_S1_S1_S1_PKiPfP15HIP_vector_typeIfLj2EEffffjfiS5_IjLj3EEiiiiiiiiiiiliiliiiiil.num_named_barrier, max(0, .L_ZL14no_device_codePKciS0_iS0_.num_named_barrier)
	.set _ZL15flash_attn_tileILi64ELi64ELi16ELi4ELb1EEvPKcS1_S1_S1_S1_PKiPfP15HIP_vector_typeIfLj2EEffffjfiS5_IjLj3EEiiiiiiiiiiiliiliiiiil.private_seg_size, 0+max(.L_ZL14no_device_codePKciS0_iS0_.private_seg_size)
	.set _ZL15flash_attn_tileILi64ELi64ELi16ELi4ELb1EEvPKcS1_S1_S1_S1_PKiPfP15HIP_vector_typeIfLj2EEffffjfiS5_IjLj3EEiiiiiiiiiiiliiliiiiil.uses_vcc, or(1, .L_ZL14no_device_codePKciS0_iS0_.uses_vcc)
	.set _ZL15flash_attn_tileILi64ELi64ELi16ELi4ELb1EEvPKcS1_S1_S1_S1_PKiPfP15HIP_vector_typeIfLj2EEffffjfiS5_IjLj3EEiiiiiiiiiiiliiliiiiil.uses_flat_scratch, or(0, .L_ZL14no_device_codePKciS0_iS0_.uses_flat_scratch)
	.set _ZL15flash_attn_tileILi64ELi64ELi16ELi4ELb1EEvPKcS1_S1_S1_S1_PKiPfP15HIP_vector_typeIfLj2EEffffjfiS5_IjLj3EEiiiiiiiiiiiliiliiiiil.has_dyn_sized_stack, or(0, .L_ZL14no_device_codePKciS0_iS0_.has_dyn_sized_stack)
	.set _ZL15flash_attn_tileILi64ELi64ELi16ELi4ELb1EEvPKcS1_S1_S1_S1_PKiPfP15HIP_vector_typeIfLj2EEffffjfiS5_IjLj3EEiiiiiiiiiiiliiliiiiil.has_recursion, or(0, .L_ZL14no_device_codePKciS0_iS0_.has_recursion)
	.set _ZL15flash_attn_tileILi64ELi64ELi16ELi4ELb1EEvPKcS1_S1_S1_S1_PKiPfP15HIP_vector_typeIfLj2EEffffjfiS5_IjLj3EEiiiiiiiiiiiliiliiiiil.has_indirect_call, or(0, .L_ZL14no_device_codePKciS0_iS0_.has_indirect_call)
	.section	.AMDGPU.csdata,"",@progbits
; Kernel info:
; codeLenInByte = 48
; TotalNumSgprs: 36
; NumVgprs: 40
; ScratchSize: 16
; MemoryBound: 0
; FloatMode: 240
; IeeeMode: 1
; LDSByteSize: 0 bytes/workgroup (compile time only)
; SGPRBlocks: 0
; VGPRBlocks: 4
; NumSGPRsForWavesPerEU: 36
; NumVGPRsForWavesPerEU: 40
; Occupancy: 16
; WaveLimiterHint : 1
; COMPUTE_PGM_RSRC2:SCRATCH_EN: 1
; COMPUTE_PGM_RSRC2:USER_SGPR: 6
; COMPUTE_PGM_RSRC2:TRAP_HANDLER: 0
; COMPUTE_PGM_RSRC2:TGID_X_EN: 1
; COMPUTE_PGM_RSRC2:TGID_Y_EN: 0
; COMPUTE_PGM_RSRC2:TGID_Z_EN: 0
; COMPUTE_PGM_RSRC2:TIDIG_COMP_CNT: 0
	.section	.text._ZL15flash_attn_tileILi64ELi64ELi8ELi4ELb1EEvPKcS1_S1_S1_S1_PKiPfP15HIP_vector_typeIfLj2EEffffjfiS5_IjLj3EEiiiiiiiiiiiliiliiiiil,"axG",@progbits,_ZL15flash_attn_tileILi64ELi64ELi8ELi4ELb1EEvPKcS1_S1_S1_S1_PKiPfP15HIP_vector_typeIfLj2EEffffjfiS5_IjLj3EEiiiiiiiiiiiliiliiiiil,comdat
	.globl	_ZL15flash_attn_tileILi64ELi64ELi8ELi4ELb1EEvPKcS1_S1_S1_S1_PKiPfP15HIP_vector_typeIfLj2EEffffjfiS5_IjLj3EEiiiiiiiiiiiliiliiiiil ; -- Begin function _ZL15flash_attn_tileILi64ELi64ELi8ELi4ELb1EEvPKcS1_S1_S1_S1_PKiPfP15HIP_vector_typeIfLj2EEffffjfiS5_IjLj3EEiiiiiiiiiiiliiliiiiil
	.p2align	8
	.type	_ZL15flash_attn_tileILi64ELi64ELi8ELi4ELb1EEvPKcS1_S1_S1_S1_PKiPfP15HIP_vector_typeIfLj2EEffffjfiS5_IjLj3EEiiiiiiiiiiiliiliiiiil,@function
_ZL15flash_attn_tileILi64ELi64ELi8ELi4ELb1EEvPKcS1_S1_S1_S1_PKiPfP15HIP_vector_typeIfLj2EEffffjfiS5_IjLj3EEiiiiiiiiiiiliiliiiiil: ; @_ZL15flash_attn_tileILi64ELi64ELi8ELi4ELb1EEvPKcS1_S1_S1_S1_PKiPfP15HIP_vector_typeIfLj2EEffffjfiS5_IjLj3EEiiiiiiiiiiiliiliiiiil
; %bb.0:
	s_add_u32 s0, s0, s7
	s_addc_u32 s1, s1, 0
	s_add_u32 s8, s4, 0xd0
	s_addc_u32 s9, s5, 0
	s_getpc_b64 s[4:5]
	s_add_u32 s4, s4, _ZL14no_device_codePKciS0_iS0_@rel32@lo+4
	s_addc_u32 s5, s5, _ZL14no_device_codePKciS0_iS0_@rel32@hi+12
	s_mov_b32 s32, 0
	s_swappc_b64 s[30:31], s[4:5]
	.section	.rodata,"a",@progbits
	.p2align	6, 0x0
	.amdhsa_kernel _ZL15flash_attn_tileILi64ELi64ELi8ELi4ELb1EEvPKcS1_S1_S1_S1_PKiPfP15HIP_vector_typeIfLj2EEffffjfiS5_IjLj3EEiiiiiiiiiiiliiliiiiil
		.amdhsa_group_segment_fixed_size 0
		.amdhsa_private_segment_fixed_size 16
		.amdhsa_kernarg_size 464
		.amdhsa_user_sgpr_count 6
		.amdhsa_user_sgpr_private_segment_buffer 1
		.amdhsa_user_sgpr_dispatch_ptr 0
		.amdhsa_user_sgpr_queue_ptr 0
		.amdhsa_user_sgpr_kernarg_segment_ptr 1
		.amdhsa_user_sgpr_dispatch_id 0
		.amdhsa_user_sgpr_flat_scratch_init 0
		.amdhsa_user_sgpr_private_segment_size 0
		.amdhsa_wavefront_size32 1
		.amdhsa_uses_dynamic_stack 0
		.amdhsa_system_sgpr_private_segment_wavefront_offset 1
		.amdhsa_system_sgpr_workgroup_id_x 1
		.amdhsa_system_sgpr_workgroup_id_y 0
		.amdhsa_system_sgpr_workgroup_id_z 0
		.amdhsa_system_sgpr_workgroup_info 0
		.amdhsa_system_vgpr_workitem_id 0
		.amdhsa_next_free_vgpr 40
		.amdhsa_next_free_sgpr 34
		.amdhsa_reserve_vcc 1
		.amdhsa_reserve_flat_scratch 0
		.amdhsa_float_round_mode_32 0
		.amdhsa_float_round_mode_16_64 0
		.amdhsa_float_denorm_mode_32 3
		.amdhsa_float_denorm_mode_16_64 3
		.amdhsa_dx10_clamp 1
		.amdhsa_ieee_mode 1
		.amdhsa_fp16_overflow 0
		.amdhsa_workgroup_processor_mode 1
		.amdhsa_memory_ordered 1
		.amdhsa_forward_progress 1
		.amdhsa_shared_vgpr_count 0
		.amdhsa_exception_fp_ieee_invalid_op 0
		.amdhsa_exception_fp_denorm_src 0
		.amdhsa_exception_fp_ieee_div_zero 0
		.amdhsa_exception_fp_ieee_overflow 0
		.amdhsa_exception_fp_ieee_underflow 0
		.amdhsa_exception_fp_ieee_inexact 0
		.amdhsa_exception_int_div_zero 0
	.end_amdhsa_kernel
	.section	.text._ZL15flash_attn_tileILi64ELi64ELi8ELi4ELb1EEvPKcS1_S1_S1_S1_PKiPfP15HIP_vector_typeIfLj2EEffffjfiS5_IjLj3EEiiiiiiiiiiiliiliiiiil,"axG",@progbits,_ZL15flash_attn_tileILi64ELi64ELi8ELi4ELb1EEvPKcS1_S1_S1_S1_PKiPfP15HIP_vector_typeIfLj2EEffffjfiS5_IjLj3EEiiiiiiiiiiiliiliiiiil,comdat
.Lfunc_end79:
	.size	_ZL15flash_attn_tileILi64ELi64ELi8ELi4ELb1EEvPKcS1_S1_S1_S1_PKiPfP15HIP_vector_typeIfLj2EEffffjfiS5_IjLj3EEiiiiiiiiiiiliiliiiiil, .Lfunc_end79-_ZL15flash_attn_tileILi64ELi64ELi8ELi4ELb1EEvPKcS1_S1_S1_S1_PKiPfP15HIP_vector_typeIfLj2EEffffjfiS5_IjLj3EEiiiiiiiiiiiliiliiiiil
                                        ; -- End function
	.set _ZL15flash_attn_tileILi64ELi64ELi8ELi4ELb1EEvPKcS1_S1_S1_S1_PKiPfP15HIP_vector_typeIfLj2EEffffjfiS5_IjLj3EEiiiiiiiiiiiliiliiiiil.num_vgpr, max(0, .L_ZL14no_device_codePKciS0_iS0_.num_vgpr)
	.set _ZL15flash_attn_tileILi64ELi64ELi8ELi4ELb1EEvPKcS1_S1_S1_S1_PKiPfP15HIP_vector_typeIfLj2EEffffjfiS5_IjLj3EEiiiiiiiiiiiliiliiiiil.num_agpr, max(0, .L_ZL14no_device_codePKciS0_iS0_.num_agpr)
	.set _ZL15flash_attn_tileILi64ELi64ELi8ELi4ELb1EEvPKcS1_S1_S1_S1_PKiPfP15HIP_vector_typeIfLj2EEffffjfiS5_IjLj3EEiiiiiiiiiiiliiliiiiil.numbered_sgpr, max(33, .L_ZL14no_device_codePKciS0_iS0_.numbered_sgpr)
	.set _ZL15flash_attn_tileILi64ELi64ELi8ELi4ELb1EEvPKcS1_S1_S1_S1_PKiPfP15HIP_vector_typeIfLj2EEffffjfiS5_IjLj3EEiiiiiiiiiiiliiliiiiil.num_named_barrier, max(0, .L_ZL14no_device_codePKciS0_iS0_.num_named_barrier)
	.set _ZL15flash_attn_tileILi64ELi64ELi8ELi4ELb1EEvPKcS1_S1_S1_S1_PKiPfP15HIP_vector_typeIfLj2EEffffjfiS5_IjLj3EEiiiiiiiiiiiliiliiiiil.private_seg_size, 0+max(.L_ZL14no_device_codePKciS0_iS0_.private_seg_size)
	.set _ZL15flash_attn_tileILi64ELi64ELi8ELi4ELb1EEvPKcS1_S1_S1_S1_PKiPfP15HIP_vector_typeIfLj2EEffffjfiS5_IjLj3EEiiiiiiiiiiiliiliiiiil.uses_vcc, or(1, .L_ZL14no_device_codePKciS0_iS0_.uses_vcc)
	.set _ZL15flash_attn_tileILi64ELi64ELi8ELi4ELb1EEvPKcS1_S1_S1_S1_PKiPfP15HIP_vector_typeIfLj2EEffffjfiS5_IjLj3EEiiiiiiiiiiiliiliiiiil.uses_flat_scratch, or(0, .L_ZL14no_device_codePKciS0_iS0_.uses_flat_scratch)
	.set _ZL15flash_attn_tileILi64ELi64ELi8ELi4ELb1EEvPKcS1_S1_S1_S1_PKiPfP15HIP_vector_typeIfLj2EEffffjfiS5_IjLj3EEiiiiiiiiiiiliiliiiiil.has_dyn_sized_stack, or(0, .L_ZL14no_device_codePKciS0_iS0_.has_dyn_sized_stack)
	.set _ZL15flash_attn_tileILi64ELi64ELi8ELi4ELb1EEvPKcS1_S1_S1_S1_PKiPfP15HIP_vector_typeIfLj2EEffffjfiS5_IjLj3EEiiiiiiiiiiiliiliiiiil.has_recursion, or(0, .L_ZL14no_device_codePKciS0_iS0_.has_recursion)
	.set _ZL15flash_attn_tileILi64ELi64ELi8ELi4ELb1EEvPKcS1_S1_S1_S1_PKiPfP15HIP_vector_typeIfLj2EEffffjfiS5_IjLj3EEiiiiiiiiiiiliiliiiiil.has_indirect_call, or(0, .L_ZL14no_device_codePKciS0_iS0_.has_indirect_call)
	.section	.AMDGPU.csdata,"",@progbits
; Kernel info:
; codeLenInByte = 48
; TotalNumSgprs: 36
; NumVgprs: 40
; ScratchSize: 16
; MemoryBound: 0
; FloatMode: 240
; IeeeMode: 1
; LDSByteSize: 0 bytes/workgroup (compile time only)
; SGPRBlocks: 0
; VGPRBlocks: 4
; NumSGPRsForWavesPerEU: 36
; NumVGPRsForWavesPerEU: 40
; Occupancy: 16
; WaveLimiterHint : 1
; COMPUTE_PGM_RSRC2:SCRATCH_EN: 1
; COMPUTE_PGM_RSRC2:USER_SGPR: 6
; COMPUTE_PGM_RSRC2:TRAP_HANDLER: 0
; COMPUTE_PGM_RSRC2:TGID_X_EN: 1
; COMPUTE_PGM_RSRC2:TGID_Y_EN: 0
; COMPUTE_PGM_RSRC2:TGID_Z_EN: 0
; COMPUTE_PGM_RSRC2:TIDIG_COMP_CNT: 0
	.section	.text._ZL15flash_attn_tileILi64ELi64ELi4ELi4ELb1EEvPKcS1_S1_S1_S1_PKiPfP15HIP_vector_typeIfLj2EEffffjfiS5_IjLj3EEiiiiiiiiiiiliiliiiiil,"axG",@progbits,_ZL15flash_attn_tileILi64ELi64ELi4ELi4ELb1EEvPKcS1_S1_S1_S1_PKiPfP15HIP_vector_typeIfLj2EEffffjfiS5_IjLj3EEiiiiiiiiiiiliiliiiiil,comdat
	.globl	_ZL15flash_attn_tileILi64ELi64ELi4ELi4ELb1EEvPKcS1_S1_S1_S1_PKiPfP15HIP_vector_typeIfLj2EEffffjfiS5_IjLj3EEiiiiiiiiiiiliiliiiiil ; -- Begin function _ZL15flash_attn_tileILi64ELi64ELi4ELi4ELb1EEvPKcS1_S1_S1_S1_PKiPfP15HIP_vector_typeIfLj2EEffffjfiS5_IjLj3EEiiiiiiiiiiiliiliiiiil
	.p2align	8
	.type	_ZL15flash_attn_tileILi64ELi64ELi4ELi4ELb1EEvPKcS1_S1_S1_S1_PKiPfP15HIP_vector_typeIfLj2EEffffjfiS5_IjLj3EEiiiiiiiiiiiliiliiiiil,@function
_ZL15flash_attn_tileILi64ELi64ELi4ELi4ELb1EEvPKcS1_S1_S1_S1_PKiPfP15HIP_vector_typeIfLj2EEffffjfiS5_IjLj3EEiiiiiiiiiiiliiliiiiil: ; @_ZL15flash_attn_tileILi64ELi64ELi4ELi4ELb1EEvPKcS1_S1_S1_S1_PKiPfP15HIP_vector_typeIfLj2EEffffjfiS5_IjLj3EEiiiiiiiiiiiliiliiiiil
; %bb.0:
	s_add_u32 s0, s0, s7
	s_addc_u32 s1, s1, 0
	s_add_u32 s8, s4, 0xd0
	s_addc_u32 s9, s5, 0
	s_getpc_b64 s[4:5]
	s_add_u32 s4, s4, _ZL14no_device_codePKciS0_iS0_@rel32@lo+4
	s_addc_u32 s5, s5, _ZL14no_device_codePKciS0_iS0_@rel32@hi+12
	s_mov_b32 s32, 0
	s_swappc_b64 s[30:31], s[4:5]
	.section	.rodata,"a",@progbits
	.p2align	6, 0x0
	.amdhsa_kernel _ZL15flash_attn_tileILi64ELi64ELi4ELi4ELb1EEvPKcS1_S1_S1_S1_PKiPfP15HIP_vector_typeIfLj2EEffffjfiS5_IjLj3EEiiiiiiiiiiiliiliiiiil
		.amdhsa_group_segment_fixed_size 0
		.amdhsa_private_segment_fixed_size 16
		.amdhsa_kernarg_size 464
		.amdhsa_user_sgpr_count 6
		.amdhsa_user_sgpr_private_segment_buffer 1
		.amdhsa_user_sgpr_dispatch_ptr 0
		.amdhsa_user_sgpr_queue_ptr 0
		.amdhsa_user_sgpr_kernarg_segment_ptr 1
		.amdhsa_user_sgpr_dispatch_id 0
		.amdhsa_user_sgpr_flat_scratch_init 0
		.amdhsa_user_sgpr_private_segment_size 0
		.amdhsa_wavefront_size32 1
		.amdhsa_uses_dynamic_stack 0
		.amdhsa_system_sgpr_private_segment_wavefront_offset 1
		.amdhsa_system_sgpr_workgroup_id_x 1
		.amdhsa_system_sgpr_workgroup_id_y 0
		.amdhsa_system_sgpr_workgroup_id_z 0
		.amdhsa_system_sgpr_workgroup_info 0
		.amdhsa_system_vgpr_workitem_id 0
		.amdhsa_next_free_vgpr 40
		.amdhsa_next_free_sgpr 34
		.amdhsa_reserve_vcc 1
		.amdhsa_reserve_flat_scratch 0
		.amdhsa_float_round_mode_32 0
		.amdhsa_float_round_mode_16_64 0
		.amdhsa_float_denorm_mode_32 3
		.amdhsa_float_denorm_mode_16_64 3
		.amdhsa_dx10_clamp 1
		.amdhsa_ieee_mode 1
		.amdhsa_fp16_overflow 0
		.amdhsa_workgroup_processor_mode 1
		.amdhsa_memory_ordered 1
		.amdhsa_forward_progress 1
		.amdhsa_shared_vgpr_count 0
		.amdhsa_exception_fp_ieee_invalid_op 0
		.amdhsa_exception_fp_denorm_src 0
		.amdhsa_exception_fp_ieee_div_zero 0
		.amdhsa_exception_fp_ieee_overflow 0
		.amdhsa_exception_fp_ieee_underflow 0
		.amdhsa_exception_fp_ieee_inexact 0
		.amdhsa_exception_int_div_zero 0
	.end_amdhsa_kernel
	.section	.text._ZL15flash_attn_tileILi64ELi64ELi4ELi4ELb1EEvPKcS1_S1_S1_S1_PKiPfP15HIP_vector_typeIfLj2EEffffjfiS5_IjLj3EEiiiiiiiiiiiliiliiiiil,"axG",@progbits,_ZL15flash_attn_tileILi64ELi64ELi4ELi4ELb1EEvPKcS1_S1_S1_S1_PKiPfP15HIP_vector_typeIfLj2EEffffjfiS5_IjLj3EEiiiiiiiiiiiliiliiiiil,comdat
.Lfunc_end80:
	.size	_ZL15flash_attn_tileILi64ELi64ELi4ELi4ELb1EEvPKcS1_S1_S1_S1_PKiPfP15HIP_vector_typeIfLj2EEffffjfiS5_IjLj3EEiiiiiiiiiiiliiliiiiil, .Lfunc_end80-_ZL15flash_attn_tileILi64ELi64ELi4ELi4ELb1EEvPKcS1_S1_S1_S1_PKiPfP15HIP_vector_typeIfLj2EEffffjfiS5_IjLj3EEiiiiiiiiiiiliiliiiiil
                                        ; -- End function
	.set _ZL15flash_attn_tileILi64ELi64ELi4ELi4ELb1EEvPKcS1_S1_S1_S1_PKiPfP15HIP_vector_typeIfLj2EEffffjfiS5_IjLj3EEiiiiiiiiiiiliiliiiiil.num_vgpr, max(0, .L_ZL14no_device_codePKciS0_iS0_.num_vgpr)
	.set _ZL15flash_attn_tileILi64ELi64ELi4ELi4ELb1EEvPKcS1_S1_S1_S1_PKiPfP15HIP_vector_typeIfLj2EEffffjfiS5_IjLj3EEiiiiiiiiiiiliiliiiiil.num_agpr, max(0, .L_ZL14no_device_codePKciS0_iS0_.num_agpr)
	.set _ZL15flash_attn_tileILi64ELi64ELi4ELi4ELb1EEvPKcS1_S1_S1_S1_PKiPfP15HIP_vector_typeIfLj2EEffffjfiS5_IjLj3EEiiiiiiiiiiiliiliiiiil.numbered_sgpr, max(33, .L_ZL14no_device_codePKciS0_iS0_.numbered_sgpr)
	.set _ZL15flash_attn_tileILi64ELi64ELi4ELi4ELb1EEvPKcS1_S1_S1_S1_PKiPfP15HIP_vector_typeIfLj2EEffffjfiS5_IjLj3EEiiiiiiiiiiiliiliiiiil.num_named_barrier, max(0, .L_ZL14no_device_codePKciS0_iS0_.num_named_barrier)
	.set _ZL15flash_attn_tileILi64ELi64ELi4ELi4ELb1EEvPKcS1_S1_S1_S1_PKiPfP15HIP_vector_typeIfLj2EEffffjfiS5_IjLj3EEiiiiiiiiiiiliiliiiiil.private_seg_size, 0+max(.L_ZL14no_device_codePKciS0_iS0_.private_seg_size)
	.set _ZL15flash_attn_tileILi64ELi64ELi4ELi4ELb1EEvPKcS1_S1_S1_S1_PKiPfP15HIP_vector_typeIfLj2EEffffjfiS5_IjLj3EEiiiiiiiiiiiliiliiiiil.uses_vcc, or(1, .L_ZL14no_device_codePKciS0_iS0_.uses_vcc)
	.set _ZL15flash_attn_tileILi64ELi64ELi4ELi4ELb1EEvPKcS1_S1_S1_S1_PKiPfP15HIP_vector_typeIfLj2EEffffjfiS5_IjLj3EEiiiiiiiiiiiliiliiiiil.uses_flat_scratch, or(0, .L_ZL14no_device_codePKciS0_iS0_.uses_flat_scratch)
	.set _ZL15flash_attn_tileILi64ELi64ELi4ELi4ELb1EEvPKcS1_S1_S1_S1_PKiPfP15HIP_vector_typeIfLj2EEffffjfiS5_IjLj3EEiiiiiiiiiiiliiliiiiil.has_dyn_sized_stack, or(0, .L_ZL14no_device_codePKciS0_iS0_.has_dyn_sized_stack)
	.set _ZL15flash_attn_tileILi64ELi64ELi4ELi4ELb1EEvPKcS1_S1_S1_S1_PKiPfP15HIP_vector_typeIfLj2EEffffjfiS5_IjLj3EEiiiiiiiiiiiliiliiiiil.has_recursion, or(0, .L_ZL14no_device_codePKciS0_iS0_.has_recursion)
	.set _ZL15flash_attn_tileILi64ELi64ELi4ELi4ELb1EEvPKcS1_S1_S1_S1_PKiPfP15HIP_vector_typeIfLj2EEffffjfiS5_IjLj3EEiiiiiiiiiiiliiliiiiil.has_indirect_call, or(0, .L_ZL14no_device_codePKciS0_iS0_.has_indirect_call)
	.section	.AMDGPU.csdata,"",@progbits
; Kernel info:
; codeLenInByte = 48
; TotalNumSgprs: 36
; NumVgprs: 40
; ScratchSize: 16
; MemoryBound: 0
; FloatMode: 240
; IeeeMode: 1
; LDSByteSize: 0 bytes/workgroup (compile time only)
; SGPRBlocks: 0
; VGPRBlocks: 4
; NumSGPRsForWavesPerEU: 36
; NumVGPRsForWavesPerEU: 40
; Occupancy: 16
; WaveLimiterHint : 1
; COMPUTE_PGM_RSRC2:SCRATCH_EN: 1
; COMPUTE_PGM_RSRC2:USER_SGPR: 6
; COMPUTE_PGM_RSRC2:TRAP_HANDLER: 0
; COMPUTE_PGM_RSRC2:TGID_X_EN: 1
; COMPUTE_PGM_RSRC2:TGID_Y_EN: 0
; COMPUTE_PGM_RSRC2:TGID_Z_EN: 0
; COMPUTE_PGM_RSRC2:TIDIG_COMP_CNT: 0
	.section	.text._ZL15flash_attn_tileILi64ELi64ELi2ELi4ELb1EEvPKcS1_S1_S1_S1_PKiPfP15HIP_vector_typeIfLj2EEffffjfiS5_IjLj3EEiiiiiiiiiiiliiliiiiil,"axG",@progbits,_ZL15flash_attn_tileILi64ELi64ELi2ELi4ELb1EEvPKcS1_S1_S1_S1_PKiPfP15HIP_vector_typeIfLj2EEffffjfiS5_IjLj3EEiiiiiiiiiiiliiliiiiil,comdat
	.globl	_ZL15flash_attn_tileILi64ELi64ELi2ELi4ELb1EEvPKcS1_S1_S1_S1_PKiPfP15HIP_vector_typeIfLj2EEffffjfiS5_IjLj3EEiiiiiiiiiiiliiliiiiil ; -- Begin function _ZL15flash_attn_tileILi64ELi64ELi2ELi4ELb1EEvPKcS1_S1_S1_S1_PKiPfP15HIP_vector_typeIfLj2EEffffjfiS5_IjLj3EEiiiiiiiiiiiliiliiiiil
	.p2align	8
	.type	_ZL15flash_attn_tileILi64ELi64ELi2ELi4ELb1EEvPKcS1_S1_S1_S1_PKiPfP15HIP_vector_typeIfLj2EEffffjfiS5_IjLj3EEiiiiiiiiiiiliiliiiiil,@function
_ZL15flash_attn_tileILi64ELi64ELi2ELi4ELb1EEvPKcS1_S1_S1_S1_PKiPfP15HIP_vector_typeIfLj2EEffffjfiS5_IjLj3EEiiiiiiiiiiiliiliiiiil: ; @_ZL15flash_attn_tileILi64ELi64ELi2ELi4ELb1EEvPKcS1_S1_S1_S1_PKiPfP15HIP_vector_typeIfLj2EEffffjfiS5_IjLj3EEiiiiiiiiiiiliiliiiiil
; %bb.0:
	s_add_u32 s0, s0, s7
	s_addc_u32 s1, s1, 0
	s_add_u32 s8, s4, 0xd0
	s_addc_u32 s9, s5, 0
	s_getpc_b64 s[4:5]
	s_add_u32 s4, s4, _ZL14no_device_codePKciS0_iS0_@rel32@lo+4
	s_addc_u32 s5, s5, _ZL14no_device_codePKciS0_iS0_@rel32@hi+12
	s_mov_b32 s32, 0
	s_swappc_b64 s[30:31], s[4:5]
	.section	.rodata,"a",@progbits
	.p2align	6, 0x0
	.amdhsa_kernel _ZL15flash_attn_tileILi64ELi64ELi2ELi4ELb1EEvPKcS1_S1_S1_S1_PKiPfP15HIP_vector_typeIfLj2EEffffjfiS5_IjLj3EEiiiiiiiiiiiliiliiiiil
		.amdhsa_group_segment_fixed_size 0
		.amdhsa_private_segment_fixed_size 16
		.amdhsa_kernarg_size 464
		.amdhsa_user_sgpr_count 6
		.amdhsa_user_sgpr_private_segment_buffer 1
		.amdhsa_user_sgpr_dispatch_ptr 0
		.amdhsa_user_sgpr_queue_ptr 0
		.amdhsa_user_sgpr_kernarg_segment_ptr 1
		.amdhsa_user_sgpr_dispatch_id 0
		.amdhsa_user_sgpr_flat_scratch_init 0
		.amdhsa_user_sgpr_private_segment_size 0
		.amdhsa_wavefront_size32 1
		.amdhsa_uses_dynamic_stack 0
		.amdhsa_system_sgpr_private_segment_wavefront_offset 1
		.amdhsa_system_sgpr_workgroup_id_x 1
		.amdhsa_system_sgpr_workgroup_id_y 0
		.amdhsa_system_sgpr_workgroup_id_z 0
		.amdhsa_system_sgpr_workgroup_info 0
		.amdhsa_system_vgpr_workitem_id 0
		.amdhsa_next_free_vgpr 40
		.amdhsa_next_free_sgpr 34
		.amdhsa_reserve_vcc 1
		.amdhsa_reserve_flat_scratch 0
		.amdhsa_float_round_mode_32 0
		.amdhsa_float_round_mode_16_64 0
		.amdhsa_float_denorm_mode_32 3
		.amdhsa_float_denorm_mode_16_64 3
		.amdhsa_dx10_clamp 1
		.amdhsa_ieee_mode 1
		.amdhsa_fp16_overflow 0
		.amdhsa_workgroup_processor_mode 1
		.amdhsa_memory_ordered 1
		.amdhsa_forward_progress 1
		.amdhsa_shared_vgpr_count 0
		.amdhsa_exception_fp_ieee_invalid_op 0
		.amdhsa_exception_fp_denorm_src 0
		.amdhsa_exception_fp_ieee_div_zero 0
		.amdhsa_exception_fp_ieee_overflow 0
		.amdhsa_exception_fp_ieee_underflow 0
		.amdhsa_exception_fp_ieee_inexact 0
		.amdhsa_exception_int_div_zero 0
	.end_amdhsa_kernel
	.section	.text._ZL15flash_attn_tileILi64ELi64ELi2ELi4ELb1EEvPKcS1_S1_S1_S1_PKiPfP15HIP_vector_typeIfLj2EEffffjfiS5_IjLj3EEiiiiiiiiiiiliiliiiiil,"axG",@progbits,_ZL15flash_attn_tileILi64ELi64ELi2ELi4ELb1EEvPKcS1_S1_S1_S1_PKiPfP15HIP_vector_typeIfLj2EEffffjfiS5_IjLj3EEiiiiiiiiiiiliiliiiiil,comdat
.Lfunc_end81:
	.size	_ZL15flash_attn_tileILi64ELi64ELi2ELi4ELb1EEvPKcS1_S1_S1_S1_PKiPfP15HIP_vector_typeIfLj2EEffffjfiS5_IjLj3EEiiiiiiiiiiiliiliiiiil, .Lfunc_end81-_ZL15flash_attn_tileILi64ELi64ELi2ELi4ELb1EEvPKcS1_S1_S1_S1_PKiPfP15HIP_vector_typeIfLj2EEffffjfiS5_IjLj3EEiiiiiiiiiiiliiliiiiil
                                        ; -- End function
	.set _ZL15flash_attn_tileILi64ELi64ELi2ELi4ELb1EEvPKcS1_S1_S1_S1_PKiPfP15HIP_vector_typeIfLj2EEffffjfiS5_IjLj3EEiiiiiiiiiiiliiliiiiil.num_vgpr, max(0, .L_ZL14no_device_codePKciS0_iS0_.num_vgpr)
	.set _ZL15flash_attn_tileILi64ELi64ELi2ELi4ELb1EEvPKcS1_S1_S1_S1_PKiPfP15HIP_vector_typeIfLj2EEffffjfiS5_IjLj3EEiiiiiiiiiiiliiliiiiil.num_agpr, max(0, .L_ZL14no_device_codePKciS0_iS0_.num_agpr)
	.set _ZL15flash_attn_tileILi64ELi64ELi2ELi4ELb1EEvPKcS1_S1_S1_S1_PKiPfP15HIP_vector_typeIfLj2EEffffjfiS5_IjLj3EEiiiiiiiiiiiliiliiiiil.numbered_sgpr, max(33, .L_ZL14no_device_codePKciS0_iS0_.numbered_sgpr)
	.set _ZL15flash_attn_tileILi64ELi64ELi2ELi4ELb1EEvPKcS1_S1_S1_S1_PKiPfP15HIP_vector_typeIfLj2EEffffjfiS5_IjLj3EEiiiiiiiiiiiliiliiiiil.num_named_barrier, max(0, .L_ZL14no_device_codePKciS0_iS0_.num_named_barrier)
	.set _ZL15flash_attn_tileILi64ELi64ELi2ELi4ELb1EEvPKcS1_S1_S1_S1_PKiPfP15HIP_vector_typeIfLj2EEffffjfiS5_IjLj3EEiiiiiiiiiiiliiliiiiil.private_seg_size, 0+max(.L_ZL14no_device_codePKciS0_iS0_.private_seg_size)
	.set _ZL15flash_attn_tileILi64ELi64ELi2ELi4ELb1EEvPKcS1_S1_S1_S1_PKiPfP15HIP_vector_typeIfLj2EEffffjfiS5_IjLj3EEiiiiiiiiiiiliiliiiiil.uses_vcc, or(1, .L_ZL14no_device_codePKciS0_iS0_.uses_vcc)
	.set _ZL15flash_attn_tileILi64ELi64ELi2ELi4ELb1EEvPKcS1_S1_S1_S1_PKiPfP15HIP_vector_typeIfLj2EEffffjfiS5_IjLj3EEiiiiiiiiiiiliiliiiiil.uses_flat_scratch, or(0, .L_ZL14no_device_codePKciS0_iS0_.uses_flat_scratch)
	.set _ZL15flash_attn_tileILi64ELi64ELi2ELi4ELb1EEvPKcS1_S1_S1_S1_PKiPfP15HIP_vector_typeIfLj2EEffffjfiS5_IjLj3EEiiiiiiiiiiiliiliiiiil.has_dyn_sized_stack, or(0, .L_ZL14no_device_codePKciS0_iS0_.has_dyn_sized_stack)
	.set _ZL15flash_attn_tileILi64ELi64ELi2ELi4ELb1EEvPKcS1_S1_S1_S1_PKiPfP15HIP_vector_typeIfLj2EEffffjfiS5_IjLj3EEiiiiiiiiiiiliiliiiiil.has_recursion, or(0, .L_ZL14no_device_codePKciS0_iS0_.has_recursion)
	.set _ZL15flash_attn_tileILi64ELi64ELi2ELi4ELb1EEvPKcS1_S1_S1_S1_PKiPfP15HIP_vector_typeIfLj2EEffffjfiS5_IjLj3EEiiiiiiiiiiiliiliiiiil.has_indirect_call, or(0, .L_ZL14no_device_codePKciS0_iS0_.has_indirect_call)
	.section	.AMDGPU.csdata,"",@progbits
; Kernel info:
; codeLenInByte = 48
; TotalNumSgprs: 36
; NumVgprs: 40
; ScratchSize: 16
; MemoryBound: 0
; FloatMode: 240
; IeeeMode: 1
; LDSByteSize: 0 bytes/workgroup (compile time only)
; SGPRBlocks: 0
; VGPRBlocks: 4
; NumSGPRsForWavesPerEU: 36
; NumVGPRsForWavesPerEU: 40
; Occupancy: 16
; WaveLimiterHint : 1
; COMPUTE_PGM_RSRC2:SCRATCH_EN: 1
; COMPUTE_PGM_RSRC2:USER_SGPR: 6
; COMPUTE_PGM_RSRC2:TRAP_HANDLER: 0
; COMPUTE_PGM_RSRC2:TGID_X_EN: 1
; COMPUTE_PGM_RSRC2:TGID_Y_EN: 0
; COMPUTE_PGM_RSRC2:TGID_Z_EN: 0
; COMPUTE_PGM_RSRC2:TIDIG_COMP_CNT: 0
	.section	.text._ZL15flash_attn_tileILi64ELi64ELi1ELi4ELb1EEvPKcS1_S1_S1_S1_PKiPfP15HIP_vector_typeIfLj2EEffffjfiS5_IjLj3EEiiiiiiiiiiiliiliiiiil,"axG",@progbits,_ZL15flash_attn_tileILi64ELi64ELi1ELi4ELb1EEvPKcS1_S1_S1_S1_PKiPfP15HIP_vector_typeIfLj2EEffffjfiS5_IjLj3EEiiiiiiiiiiiliiliiiiil,comdat
	.globl	_ZL15flash_attn_tileILi64ELi64ELi1ELi4ELb1EEvPKcS1_S1_S1_S1_PKiPfP15HIP_vector_typeIfLj2EEffffjfiS5_IjLj3EEiiiiiiiiiiiliiliiiiil ; -- Begin function _ZL15flash_attn_tileILi64ELi64ELi1ELi4ELb1EEvPKcS1_S1_S1_S1_PKiPfP15HIP_vector_typeIfLj2EEffffjfiS5_IjLj3EEiiiiiiiiiiiliiliiiiil
	.p2align	8
	.type	_ZL15flash_attn_tileILi64ELi64ELi1ELi4ELb1EEvPKcS1_S1_S1_S1_PKiPfP15HIP_vector_typeIfLj2EEffffjfiS5_IjLj3EEiiiiiiiiiiiliiliiiiil,@function
_ZL15flash_attn_tileILi64ELi64ELi1ELi4ELb1EEvPKcS1_S1_S1_S1_PKiPfP15HIP_vector_typeIfLj2EEffffjfiS5_IjLj3EEiiiiiiiiiiiliiliiiiil: ; @_ZL15flash_attn_tileILi64ELi64ELi1ELi4ELb1EEvPKcS1_S1_S1_S1_PKiPfP15HIP_vector_typeIfLj2EEffffjfiS5_IjLj3EEiiiiiiiiiiiliiliiiiil
; %bb.0:
	s_add_u32 s0, s0, s7
	s_addc_u32 s1, s1, 0
	s_add_u32 s8, s4, 0xd0
	s_addc_u32 s9, s5, 0
	s_getpc_b64 s[4:5]
	s_add_u32 s4, s4, _ZL14no_device_codePKciS0_iS0_@rel32@lo+4
	s_addc_u32 s5, s5, _ZL14no_device_codePKciS0_iS0_@rel32@hi+12
	s_mov_b32 s32, 0
	s_swappc_b64 s[30:31], s[4:5]
	.section	.rodata,"a",@progbits
	.p2align	6, 0x0
	.amdhsa_kernel _ZL15flash_attn_tileILi64ELi64ELi1ELi4ELb1EEvPKcS1_S1_S1_S1_PKiPfP15HIP_vector_typeIfLj2EEffffjfiS5_IjLj3EEiiiiiiiiiiiliiliiiiil
		.amdhsa_group_segment_fixed_size 0
		.amdhsa_private_segment_fixed_size 16
		.amdhsa_kernarg_size 464
		.amdhsa_user_sgpr_count 6
		.amdhsa_user_sgpr_private_segment_buffer 1
		.amdhsa_user_sgpr_dispatch_ptr 0
		.amdhsa_user_sgpr_queue_ptr 0
		.amdhsa_user_sgpr_kernarg_segment_ptr 1
		.amdhsa_user_sgpr_dispatch_id 0
		.amdhsa_user_sgpr_flat_scratch_init 0
		.amdhsa_user_sgpr_private_segment_size 0
		.amdhsa_wavefront_size32 1
		.amdhsa_uses_dynamic_stack 0
		.amdhsa_system_sgpr_private_segment_wavefront_offset 1
		.amdhsa_system_sgpr_workgroup_id_x 1
		.amdhsa_system_sgpr_workgroup_id_y 0
		.amdhsa_system_sgpr_workgroup_id_z 0
		.amdhsa_system_sgpr_workgroup_info 0
		.amdhsa_system_vgpr_workitem_id 0
		.amdhsa_next_free_vgpr 40
		.amdhsa_next_free_sgpr 34
		.amdhsa_reserve_vcc 1
		.amdhsa_reserve_flat_scratch 0
		.amdhsa_float_round_mode_32 0
		.amdhsa_float_round_mode_16_64 0
		.amdhsa_float_denorm_mode_32 3
		.amdhsa_float_denorm_mode_16_64 3
		.amdhsa_dx10_clamp 1
		.amdhsa_ieee_mode 1
		.amdhsa_fp16_overflow 0
		.amdhsa_workgroup_processor_mode 1
		.amdhsa_memory_ordered 1
		.amdhsa_forward_progress 1
		.amdhsa_shared_vgpr_count 0
		.amdhsa_exception_fp_ieee_invalid_op 0
		.amdhsa_exception_fp_denorm_src 0
		.amdhsa_exception_fp_ieee_div_zero 0
		.amdhsa_exception_fp_ieee_overflow 0
		.amdhsa_exception_fp_ieee_underflow 0
		.amdhsa_exception_fp_ieee_inexact 0
		.amdhsa_exception_int_div_zero 0
	.end_amdhsa_kernel
	.section	.text._ZL15flash_attn_tileILi64ELi64ELi1ELi4ELb1EEvPKcS1_S1_S1_S1_PKiPfP15HIP_vector_typeIfLj2EEffffjfiS5_IjLj3EEiiiiiiiiiiiliiliiiiil,"axG",@progbits,_ZL15flash_attn_tileILi64ELi64ELi1ELi4ELb1EEvPKcS1_S1_S1_S1_PKiPfP15HIP_vector_typeIfLj2EEffffjfiS5_IjLj3EEiiiiiiiiiiiliiliiiiil,comdat
.Lfunc_end82:
	.size	_ZL15flash_attn_tileILi64ELi64ELi1ELi4ELb1EEvPKcS1_S1_S1_S1_PKiPfP15HIP_vector_typeIfLj2EEffffjfiS5_IjLj3EEiiiiiiiiiiiliiliiiiil, .Lfunc_end82-_ZL15flash_attn_tileILi64ELi64ELi1ELi4ELb1EEvPKcS1_S1_S1_S1_PKiPfP15HIP_vector_typeIfLj2EEffffjfiS5_IjLj3EEiiiiiiiiiiiliiliiiiil
                                        ; -- End function
	.set _ZL15flash_attn_tileILi64ELi64ELi1ELi4ELb1EEvPKcS1_S1_S1_S1_PKiPfP15HIP_vector_typeIfLj2EEffffjfiS5_IjLj3EEiiiiiiiiiiiliiliiiiil.num_vgpr, max(0, .L_ZL14no_device_codePKciS0_iS0_.num_vgpr)
	.set _ZL15flash_attn_tileILi64ELi64ELi1ELi4ELb1EEvPKcS1_S1_S1_S1_PKiPfP15HIP_vector_typeIfLj2EEffffjfiS5_IjLj3EEiiiiiiiiiiiliiliiiiil.num_agpr, max(0, .L_ZL14no_device_codePKciS0_iS0_.num_agpr)
	.set _ZL15flash_attn_tileILi64ELi64ELi1ELi4ELb1EEvPKcS1_S1_S1_S1_PKiPfP15HIP_vector_typeIfLj2EEffffjfiS5_IjLj3EEiiiiiiiiiiiliiliiiiil.numbered_sgpr, max(33, .L_ZL14no_device_codePKciS0_iS0_.numbered_sgpr)
	.set _ZL15flash_attn_tileILi64ELi64ELi1ELi4ELb1EEvPKcS1_S1_S1_S1_PKiPfP15HIP_vector_typeIfLj2EEffffjfiS5_IjLj3EEiiiiiiiiiiiliiliiiiil.num_named_barrier, max(0, .L_ZL14no_device_codePKciS0_iS0_.num_named_barrier)
	.set _ZL15flash_attn_tileILi64ELi64ELi1ELi4ELb1EEvPKcS1_S1_S1_S1_PKiPfP15HIP_vector_typeIfLj2EEffffjfiS5_IjLj3EEiiiiiiiiiiiliiliiiiil.private_seg_size, 0+max(.L_ZL14no_device_codePKciS0_iS0_.private_seg_size)
	.set _ZL15flash_attn_tileILi64ELi64ELi1ELi4ELb1EEvPKcS1_S1_S1_S1_PKiPfP15HIP_vector_typeIfLj2EEffffjfiS5_IjLj3EEiiiiiiiiiiiliiliiiiil.uses_vcc, or(1, .L_ZL14no_device_codePKciS0_iS0_.uses_vcc)
	.set _ZL15flash_attn_tileILi64ELi64ELi1ELi4ELb1EEvPKcS1_S1_S1_S1_PKiPfP15HIP_vector_typeIfLj2EEffffjfiS5_IjLj3EEiiiiiiiiiiiliiliiiiil.uses_flat_scratch, or(0, .L_ZL14no_device_codePKciS0_iS0_.uses_flat_scratch)
	.set _ZL15flash_attn_tileILi64ELi64ELi1ELi4ELb1EEvPKcS1_S1_S1_S1_PKiPfP15HIP_vector_typeIfLj2EEffffjfiS5_IjLj3EEiiiiiiiiiiiliiliiiiil.has_dyn_sized_stack, or(0, .L_ZL14no_device_codePKciS0_iS0_.has_dyn_sized_stack)
	.set _ZL15flash_attn_tileILi64ELi64ELi1ELi4ELb1EEvPKcS1_S1_S1_S1_PKiPfP15HIP_vector_typeIfLj2EEffffjfiS5_IjLj3EEiiiiiiiiiiiliiliiiiil.has_recursion, or(0, .L_ZL14no_device_codePKciS0_iS0_.has_recursion)
	.set _ZL15flash_attn_tileILi64ELi64ELi1ELi4ELb1EEvPKcS1_S1_S1_S1_PKiPfP15HIP_vector_typeIfLj2EEffffjfiS5_IjLj3EEiiiiiiiiiiiliiliiiiil.has_indirect_call, or(0, .L_ZL14no_device_codePKciS0_iS0_.has_indirect_call)
	.section	.AMDGPU.csdata,"",@progbits
; Kernel info:
; codeLenInByte = 48
; TotalNumSgprs: 36
; NumVgprs: 40
; ScratchSize: 16
; MemoryBound: 0
; FloatMode: 240
; IeeeMode: 1
; LDSByteSize: 0 bytes/workgroup (compile time only)
; SGPRBlocks: 0
; VGPRBlocks: 4
; NumSGPRsForWavesPerEU: 36
; NumVGPRsForWavesPerEU: 40
; Occupancy: 16
; WaveLimiterHint : 1
; COMPUTE_PGM_RSRC2:SCRATCH_EN: 1
; COMPUTE_PGM_RSRC2:USER_SGPR: 6
; COMPUTE_PGM_RSRC2:TRAP_HANDLER: 0
; COMPUTE_PGM_RSRC2:TGID_X_EN: 1
; COMPUTE_PGM_RSRC2:TGID_Y_EN: 0
; COMPUTE_PGM_RSRC2:TGID_Z_EN: 0
; COMPUTE_PGM_RSRC2:TIDIG_COMP_CNT: 0
	.section	.text._ZL15flash_attn_tileILi64ELi64ELi32ELi2ELb1EEvPKcS1_S1_S1_S1_PKiPfP15HIP_vector_typeIfLj2EEffffjfiS5_IjLj3EEiiiiiiiiiiiliiliiiiil,"axG",@progbits,_ZL15flash_attn_tileILi64ELi64ELi32ELi2ELb1EEvPKcS1_S1_S1_S1_PKiPfP15HIP_vector_typeIfLj2EEffffjfiS5_IjLj3EEiiiiiiiiiiiliiliiiiil,comdat
	.globl	_ZL15flash_attn_tileILi64ELi64ELi32ELi2ELb1EEvPKcS1_S1_S1_S1_PKiPfP15HIP_vector_typeIfLj2EEffffjfiS5_IjLj3EEiiiiiiiiiiiliiliiiiil ; -- Begin function _ZL15flash_attn_tileILi64ELi64ELi32ELi2ELb1EEvPKcS1_S1_S1_S1_PKiPfP15HIP_vector_typeIfLj2EEffffjfiS5_IjLj3EEiiiiiiiiiiiliiliiiiil
	.p2align	8
	.type	_ZL15flash_attn_tileILi64ELi64ELi32ELi2ELb1EEvPKcS1_S1_S1_S1_PKiPfP15HIP_vector_typeIfLj2EEffffjfiS5_IjLj3EEiiiiiiiiiiiliiliiiiil,@function
_ZL15flash_attn_tileILi64ELi64ELi32ELi2ELb1EEvPKcS1_S1_S1_S1_PKiPfP15HIP_vector_typeIfLj2EEffffjfiS5_IjLj3EEiiiiiiiiiiiliiliiiiil: ; @_ZL15flash_attn_tileILi64ELi64ELi32ELi2ELb1EEvPKcS1_S1_S1_S1_PKiPfP15HIP_vector_typeIfLj2EEffffjfiS5_IjLj3EEiiiiiiiiiiiliiliiiiil
; %bb.0:
	s_add_u32 s0, s0, s7
	s_addc_u32 s1, s1, 0
	s_add_u32 s8, s4, 0xd0
	s_addc_u32 s9, s5, 0
	s_getpc_b64 s[4:5]
	s_add_u32 s4, s4, _ZL14no_device_codePKciS0_iS0_@rel32@lo+4
	s_addc_u32 s5, s5, _ZL14no_device_codePKciS0_iS0_@rel32@hi+12
	s_mov_b32 s32, 0
	s_swappc_b64 s[30:31], s[4:5]
	.section	.rodata,"a",@progbits
	.p2align	6, 0x0
	.amdhsa_kernel _ZL15flash_attn_tileILi64ELi64ELi32ELi2ELb1EEvPKcS1_S1_S1_S1_PKiPfP15HIP_vector_typeIfLj2EEffffjfiS5_IjLj3EEiiiiiiiiiiiliiliiiiil
		.amdhsa_group_segment_fixed_size 0
		.amdhsa_private_segment_fixed_size 16
		.amdhsa_kernarg_size 464
		.amdhsa_user_sgpr_count 6
		.amdhsa_user_sgpr_private_segment_buffer 1
		.amdhsa_user_sgpr_dispatch_ptr 0
		.amdhsa_user_sgpr_queue_ptr 0
		.amdhsa_user_sgpr_kernarg_segment_ptr 1
		.amdhsa_user_sgpr_dispatch_id 0
		.amdhsa_user_sgpr_flat_scratch_init 0
		.amdhsa_user_sgpr_private_segment_size 0
		.amdhsa_wavefront_size32 1
		.amdhsa_uses_dynamic_stack 0
		.amdhsa_system_sgpr_private_segment_wavefront_offset 1
		.amdhsa_system_sgpr_workgroup_id_x 1
		.amdhsa_system_sgpr_workgroup_id_y 0
		.amdhsa_system_sgpr_workgroup_id_z 0
		.amdhsa_system_sgpr_workgroup_info 0
		.amdhsa_system_vgpr_workitem_id 0
		.amdhsa_next_free_vgpr 40
		.amdhsa_next_free_sgpr 34
		.amdhsa_reserve_vcc 1
		.amdhsa_reserve_flat_scratch 0
		.amdhsa_float_round_mode_32 0
		.amdhsa_float_round_mode_16_64 0
		.amdhsa_float_denorm_mode_32 3
		.amdhsa_float_denorm_mode_16_64 3
		.amdhsa_dx10_clamp 1
		.amdhsa_ieee_mode 1
		.amdhsa_fp16_overflow 0
		.amdhsa_workgroup_processor_mode 1
		.amdhsa_memory_ordered 1
		.amdhsa_forward_progress 1
		.amdhsa_shared_vgpr_count 0
		.amdhsa_exception_fp_ieee_invalid_op 0
		.amdhsa_exception_fp_denorm_src 0
		.amdhsa_exception_fp_ieee_div_zero 0
		.amdhsa_exception_fp_ieee_overflow 0
		.amdhsa_exception_fp_ieee_underflow 0
		.amdhsa_exception_fp_ieee_inexact 0
		.amdhsa_exception_int_div_zero 0
	.end_amdhsa_kernel
	.section	.text._ZL15flash_attn_tileILi64ELi64ELi32ELi2ELb1EEvPKcS1_S1_S1_S1_PKiPfP15HIP_vector_typeIfLj2EEffffjfiS5_IjLj3EEiiiiiiiiiiiliiliiiiil,"axG",@progbits,_ZL15flash_attn_tileILi64ELi64ELi32ELi2ELb1EEvPKcS1_S1_S1_S1_PKiPfP15HIP_vector_typeIfLj2EEffffjfiS5_IjLj3EEiiiiiiiiiiiliiliiiiil,comdat
.Lfunc_end83:
	.size	_ZL15flash_attn_tileILi64ELi64ELi32ELi2ELb1EEvPKcS1_S1_S1_S1_PKiPfP15HIP_vector_typeIfLj2EEffffjfiS5_IjLj3EEiiiiiiiiiiiliiliiiiil, .Lfunc_end83-_ZL15flash_attn_tileILi64ELi64ELi32ELi2ELb1EEvPKcS1_S1_S1_S1_PKiPfP15HIP_vector_typeIfLj2EEffffjfiS5_IjLj3EEiiiiiiiiiiiliiliiiiil
                                        ; -- End function
	.set _ZL15flash_attn_tileILi64ELi64ELi32ELi2ELb1EEvPKcS1_S1_S1_S1_PKiPfP15HIP_vector_typeIfLj2EEffffjfiS5_IjLj3EEiiiiiiiiiiiliiliiiiil.num_vgpr, max(0, .L_ZL14no_device_codePKciS0_iS0_.num_vgpr)
	.set _ZL15flash_attn_tileILi64ELi64ELi32ELi2ELb1EEvPKcS1_S1_S1_S1_PKiPfP15HIP_vector_typeIfLj2EEffffjfiS5_IjLj3EEiiiiiiiiiiiliiliiiiil.num_agpr, max(0, .L_ZL14no_device_codePKciS0_iS0_.num_agpr)
	.set _ZL15flash_attn_tileILi64ELi64ELi32ELi2ELb1EEvPKcS1_S1_S1_S1_PKiPfP15HIP_vector_typeIfLj2EEffffjfiS5_IjLj3EEiiiiiiiiiiiliiliiiiil.numbered_sgpr, max(33, .L_ZL14no_device_codePKciS0_iS0_.numbered_sgpr)
	.set _ZL15flash_attn_tileILi64ELi64ELi32ELi2ELb1EEvPKcS1_S1_S1_S1_PKiPfP15HIP_vector_typeIfLj2EEffffjfiS5_IjLj3EEiiiiiiiiiiiliiliiiiil.num_named_barrier, max(0, .L_ZL14no_device_codePKciS0_iS0_.num_named_barrier)
	.set _ZL15flash_attn_tileILi64ELi64ELi32ELi2ELb1EEvPKcS1_S1_S1_S1_PKiPfP15HIP_vector_typeIfLj2EEffffjfiS5_IjLj3EEiiiiiiiiiiiliiliiiiil.private_seg_size, 0+max(.L_ZL14no_device_codePKciS0_iS0_.private_seg_size)
	.set _ZL15flash_attn_tileILi64ELi64ELi32ELi2ELb1EEvPKcS1_S1_S1_S1_PKiPfP15HIP_vector_typeIfLj2EEffffjfiS5_IjLj3EEiiiiiiiiiiiliiliiiiil.uses_vcc, or(1, .L_ZL14no_device_codePKciS0_iS0_.uses_vcc)
	.set _ZL15flash_attn_tileILi64ELi64ELi32ELi2ELb1EEvPKcS1_S1_S1_S1_PKiPfP15HIP_vector_typeIfLj2EEffffjfiS5_IjLj3EEiiiiiiiiiiiliiliiiiil.uses_flat_scratch, or(0, .L_ZL14no_device_codePKciS0_iS0_.uses_flat_scratch)
	.set _ZL15flash_attn_tileILi64ELi64ELi32ELi2ELb1EEvPKcS1_S1_S1_S1_PKiPfP15HIP_vector_typeIfLj2EEffffjfiS5_IjLj3EEiiiiiiiiiiiliiliiiiil.has_dyn_sized_stack, or(0, .L_ZL14no_device_codePKciS0_iS0_.has_dyn_sized_stack)
	.set _ZL15flash_attn_tileILi64ELi64ELi32ELi2ELb1EEvPKcS1_S1_S1_S1_PKiPfP15HIP_vector_typeIfLj2EEffffjfiS5_IjLj3EEiiiiiiiiiiiliiliiiiil.has_recursion, or(0, .L_ZL14no_device_codePKciS0_iS0_.has_recursion)
	.set _ZL15flash_attn_tileILi64ELi64ELi32ELi2ELb1EEvPKcS1_S1_S1_S1_PKiPfP15HIP_vector_typeIfLj2EEffffjfiS5_IjLj3EEiiiiiiiiiiiliiliiiiil.has_indirect_call, or(0, .L_ZL14no_device_codePKciS0_iS0_.has_indirect_call)
	.section	.AMDGPU.csdata,"",@progbits
; Kernel info:
; codeLenInByte = 48
; TotalNumSgprs: 36
; NumVgprs: 40
; ScratchSize: 16
; MemoryBound: 0
; FloatMode: 240
; IeeeMode: 1
; LDSByteSize: 0 bytes/workgroup (compile time only)
; SGPRBlocks: 0
; VGPRBlocks: 4
; NumSGPRsForWavesPerEU: 36
; NumVGPRsForWavesPerEU: 40
; Occupancy: 16
; WaveLimiterHint : 1
; COMPUTE_PGM_RSRC2:SCRATCH_EN: 1
; COMPUTE_PGM_RSRC2:USER_SGPR: 6
; COMPUTE_PGM_RSRC2:TRAP_HANDLER: 0
; COMPUTE_PGM_RSRC2:TGID_X_EN: 1
; COMPUTE_PGM_RSRC2:TGID_Y_EN: 0
; COMPUTE_PGM_RSRC2:TGID_Z_EN: 0
; COMPUTE_PGM_RSRC2:TIDIG_COMP_CNT: 0
	.section	.text._ZL15flash_attn_tileILi64ELi64ELi16ELi2ELb1EEvPKcS1_S1_S1_S1_PKiPfP15HIP_vector_typeIfLj2EEffffjfiS5_IjLj3EEiiiiiiiiiiiliiliiiiil,"axG",@progbits,_ZL15flash_attn_tileILi64ELi64ELi16ELi2ELb1EEvPKcS1_S1_S1_S1_PKiPfP15HIP_vector_typeIfLj2EEffffjfiS5_IjLj3EEiiiiiiiiiiiliiliiiiil,comdat
	.globl	_ZL15flash_attn_tileILi64ELi64ELi16ELi2ELb1EEvPKcS1_S1_S1_S1_PKiPfP15HIP_vector_typeIfLj2EEffffjfiS5_IjLj3EEiiiiiiiiiiiliiliiiiil ; -- Begin function _ZL15flash_attn_tileILi64ELi64ELi16ELi2ELb1EEvPKcS1_S1_S1_S1_PKiPfP15HIP_vector_typeIfLj2EEffffjfiS5_IjLj3EEiiiiiiiiiiiliiliiiiil
	.p2align	8
	.type	_ZL15flash_attn_tileILi64ELi64ELi16ELi2ELb1EEvPKcS1_S1_S1_S1_PKiPfP15HIP_vector_typeIfLj2EEffffjfiS5_IjLj3EEiiiiiiiiiiiliiliiiiil,@function
_ZL15flash_attn_tileILi64ELi64ELi16ELi2ELb1EEvPKcS1_S1_S1_S1_PKiPfP15HIP_vector_typeIfLj2EEffffjfiS5_IjLj3EEiiiiiiiiiiiliiliiiiil: ; @_ZL15flash_attn_tileILi64ELi64ELi16ELi2ELb1EEvPKcS1_S1_S1_S1_PKiPfP15HIP_vector_typeIfLj2EEffffjfiS5_IjLj3EEiiiiiiiiiiiliiliiiiil
; %bb.0:
	s_add_u32 s0, s0, s7
	s_addc_u32 s1, s1, 0
	s_add_u32 s8, s4, 0xd0
	s_addc_u32 s9, s5, 0
	s_getpc_b64 s[4:5]
	s_add_u32 s4, s4, _ZL14no_device_codePKciS0_iS0_@rel32@lo+4
	s_addc_u32 s5, s5, _ZL14no_device_codePKciS0_iS0_@rel32@hi+12
	s_mov_b32 s32, 0
	s_swappc_b64 s[30:31], s[4:5]
	.section	.rodata,"a",@progbits
	.p2align	6, 0x0
	.amdhsa_kernel _ZL15flash_attn_tileILi64ELi64ELi16ELi2ELb1EEvPKcS1_S1_S1_S1_PKiPfP15HIP_vector_typeIfLj2EEffffjfiS5_IjLj3EEiiiiiiiiiiiliiliiiiil
		.amdhsa_group_segment_fixed_size 0
		.amdhsa_private_segment_fixed_size 16
		.amdhsa_kernarg_size 464
		.amdhsa_user_sgpr_count 6
		.amdhsa_user_sgpr_private_segment_buffer 1
		.amdhsa_user_sgpr_dispatch_ptr 0
		.amdhsa_user_sgpr_queue_ptr 0
		.amdhsa_user_sgpr_kernarg_segment_ptr 1
		.amdhsa_user_sgpr_dispatch_id 0
		.amdhsa_user_sgpr_flat_scratch_init 0
		.amdhsa_user_sgpr_private_segment_size 0
		.amdhsa_wavefront_size32 1
		.amdhsa_uses_dynamic_stack 0
		.amdhsa_system_sgpr_private_segment_wavefront_offset 1
		.amdhsa_system_sgpr_workgroup_id_x 1
		.amdhsa_system_sgpr_workgroup_id_y 0
		.amdhsa_system_sgpr_workgroup_id_z 0
		.amdhsa_system_sgpr_workgroup_info 0
		.amdhsa_system_vgpr_workitem_id 0
		.amdhsa_next_free_vgpr 40
		.amdhsa_next_free_sgpr 34
		.amdhsa_reserve_vcc 1
		.amdhsa_reserve_flat_scratch 0
		.amdhsa_float_round_mode_32 0
		.amdhsa_float_round_mode_16_64 0
		.amdhsa_float_denorm_mode_32 3
		.amdhsa_float_denorm_mode_16_64 3
		.amdhsa_dx10_clamp 1
		.amdhsa_ieee_mode 1
		.amdhsa_fp16_overflow 0
		.amdhsa_workgroup_processor_mode 1
		.amdhsa_memory_ordered 1
		.amdhsa_forward_progress 1
		.amdhsa_shared_vgpr_count 0
		.amdhsa_exception_fp_ieee_invalid_op 0
		.amdhsa_exception_fp_denorm_src 0
		.amdhsa_exception_fp_ieee_div_zero 0
		.amdhsa_exception_fp_ieee_overflow 0
		.amdhsa_exception_fp_ieee_underflow 0
		.amdhsa_exception_fp_ieee_inexact 0
		.amdhsa_exception_int_div_zero 0
	.end_amdhsa_kernel
	.section	.text._ZL15flash_attn_tileILi64ELi64ELi16ELi2ELb1EEvPKcS1_S1_S1_S1_PKiPfP15HIP_vector_typeIfLj2EEffffjfiS5_IjLj3EEiiiiiiiiiiiliiliiiiil,"axG",@progbits,_ZL15flash_attn_tileILi64ELi64ELi16ELi2ELb1EEvPKcS1_S1_S1_S1_PKiPfP15HIP_vector_typeIfLj2EEffffjfiS5_IjLj3EEiiiiiiiiiiiliiliiiiil,comdat
.Lfunc_end84:
	.size	_ZL15flash_attn_tileILi64ELi64ELi16ELi2ELb1EEvPKcS1_S1_S1_S1_PKiPfP15HIP_vector_typeIfLj2EEffffjfiS5_IjLj3EEiiiiiiiiiiiliiliiiiil, .Lfunc_end84-_ZL15flash_attn_tileILi64ELi64ELi16ELi2ELb1EEvPKcS1_S1_S1_S1_PKiPfP15HIP_vector_typeIfLj2EEffffjfiS5_IjLj3EEiiiiiiiiiiiliiliiiiil
                                        ; -- End function
	.set _ZL15flash_attn_tileILi64ELi64ELi16ELi2ELb1EEvPKcS1_S1_S1_S1_PKiPfP15HIP_vector_typeIfLj2EEffffjfiS5_IjLj3EEiiiiiiiiiiiliiliiiiil.num_vgpr, max(0, .L_ZL14no_device_codePKciS0_iS0_.num_vgpr)
	.set _ZL15flash_attn_tileILi64ELi64ELi16ELi2ELb1EEvPKcS1_S1_S1_S1_PKiPfP15HIP_vector_typeIfLj2EEffffjfiS5_IjLj3EEiiiiiiiiiiiliiliiiiil.num_agpr, max(0, .L_ZL14no_device_codePKciS0_iS0_.num_agpr)
	.set _ZL15flash_attn_tileILi64ELi64ELi16ELi2ELb1EEvPKcS1_S1_S1_S1_PKiPfP15HIP_vector_typeIfLj2EEffffjfiS5_IjLj3EEiiiiiiiiiiiliiliiiiil.numbered_sgpr, max(33, .L_ZL14no_device_codePKciS0_iS0_.numbered_sgpr)
	.set _ZL15flash_attn_tileILi64ELi64ELi16ELi2ELb1EEvPKcS1_S1_S1_S1_PKiPfP15HIP_vector_typeIfLj2EEffffjfiS5_IjLj3EEiiiiiiiiiiiliiliiiiil.num_named_barrier, max(0, .L_ZL14no_device_codePKciS0_iS0_.num_named_barrier)
	.set _ZL15flash_attn_tileILi64ELi64ELi16ELi2ELb1EEvPKcS1_S1_S1_S1_PKiPfP15HIP_vector_typeIfLj2EEffffjfiS5_IjLj3EEiiiiiiiiiiiliiliiiiil.private_seg_size, 0+max(.L_ZL14no_device_codePKciS0_iS0_.private_seg_size)
	.set _ZL15flash_attn_tileILi64ELi64ELi16ELi2ELb1EEvPKcS1_S1_S1_S1_PKiPfP15HIP_vector_typeIfLj2EEffffjfiS5_IjLj3EEiiiiiiiiiiiliiliiiiil.uses_vcc, or(1, .L_ZL14no_device_codePKciS0_iS0_.uses_vcc)
	.set _ZL15flash_attn_tileILi64ELi64ELi16ELi2ELb1EEvPKcS1_S1_S1_S1_PKiPfP15HIP_vector_typeIfLj2EEffffjfiS5_IjLj3EEiiiiiiiiiiiliiliiiiil.uses_flat_scratch, or(0, .L_ZL14no_device_codePKciS0_iS0_.uses_flat_scratch)
	.set _ZL15flash_attn_tileILi64ELi64ELi16ELi2ELb1EEvPKcS1_S1_S1_S1_PKiPfP15HIP_vector_typeIfLj2EEffffjfiS5_IjLj3EEiiiiiiiiiiiliiliiiiil.has_dyn_sized_stack, or(0, .L_ZL14no_device_codePKciS0_iS0_.has_dyn_sized_stack)
	.set _ZL15flash_attn_tileILi64ELi64ELi16ELi2ELb1EEvPKcS1_S1_S1_S1_PKiPfP15HIP_vector_typeIfLj2EEffffjfiS5_IjLj3EEiiiiiiiiiiiliiliiiiil.has_recursion, or(0, .L_ZL14no_device_codePKciS0_iS0_.has_recursion)
	.set _ZL15flash_attn_tileILi64ELi64ELi16ELi2ELb1EEvPKcS1_S1_S1_S1_PKiPfP15HIP_vector_typeIfLj2EEffffjfiS5_IjLj3EEiiiiiiiiiiiliiliiiiil.has_indirect_call, or(0, .L_ZL14no_device_codePKciS0_iS0_.has_indirect_call)
	.section	.AMDGPU.csdata,"",@progbits
; Kernel info:
; codeLenInByte = 48
; TotalNumSgprs: 36
; NumVgprs: 40
; ScratchSize: 16
; MemoryBound: 0
; FloatMode: 240
; IeeeMode: 1
; LDSByteSize: 0 bytes/workgroup (compile time only)
; SGPRBlocks: 0
; VGPRBlocks: 4
; NumSGPRsForWavesPerEU: 36
; NumVGPRsForWavesPerEU: 40
; Occupancy: 16
; WaveLimiterHint : 1
; COMPUTE_PGM_RSRC2:SCRATCH_EN: 1
; COMPUTE_PGM_RSRC2:USER_SGPR: 6
; COMPUTE_PGM_RSRC2:TRAP_HANDLER: 0
; COMPUTE_PGM_RSRC2:TGID_X_EN: 1
; COMPUTE_PGM_RSRC2:TGID_Y_EN: 0
; COMPUTE_PGM_RSRC2:TGID_Z_EN: 0
; COMPUTE_PGM_RSRC2:TIDIG_COMP_CNT: 0
	.section	.text._ZL15flash_attn_tileILi64ELi64ELi8ELi2ELb1EEvPKcS1_S1_S1_S1_PKiPfP15HIP_vector_typeIfLj2EEffffjfiS5_IjLj3EEiiiiiiiiiiiliiliiiiil,"axG",@progbits,_ZL15flash_attn_tileILi64ELi64ELi8ELi2ELb1EEvPKcS1_S1_S1_S1_PKiPfP15HIP_vector_typeIfLj2EEffffjfiS5_IjLj3EEiiiiiiiiiiiliiliiiiil,comdat
	.globl	_ZL15flash_attn_tileILi64ELi64ELi8ELi2ELb1EEvPKcS1_S1_S1_S1_PKiPfP15HIP_vector_typeIfLj2EEffffjfiS5_IjLj3EEiiiiiiiiiiiliiliiiiil ; -- Begin function _ZL15flash_attn_tileILi64ELi64ELi8ELi2ELb1EEvPKcS1_S1_S1_S1_PKiPfP15HIP_vector_typeIfLj2EEffffjfiS5_IjLj3EEiiiiiiiiiiiliiliiiiil
	.p2align	8
	.type	_ZL15flash_attn_tileILi64ELi64ELi8ELi2ELb1EEvPKcS1_S1_S1_S1_PKiPfP15HIP_vector_typeIfLj2EEffffjfiS5_IjLj3EEiiiiiiiiiiiliiliiiiil,@function
_ZL15flash_attn_tileILi64ELi64ELi8ELi2ELb1EEvPKcS1_S1_S1_S1_PKiPfP15HIP_vector_typeIfLj2EEffffjfiS5_IjLj3EEiiiiiiiiiiiliiliiiiil: ; @_ZL15flash_attn_tileILi64ELi64ELi8ELi2ELb1EEvPKcS1_S1_S1_S1_PKiPfP15HIP_vector_typeIfLj2EEffffjfiS5_IjLj3EEiiiiiiiiiiiliiliiiiil
; %bb.0:
	s_add_u32 s0, s0, s7
	s_addc_u32 s1, s1, 0
	s_add_u32 s8, s4, 0xd0
	s_addc_u32 s9, s5, 0
	s_getpc_b64 s[4:5]
	s_add_u32 s4, s4, _ZL14no_device_codePKciS0_iS0_@rel32@lo+4
	s_addc_u32 s5, s5, _ZL14no_device_codePKciS0_iS0_@rel32@hi+12
	s_mov_b32 s32, 0
	s_swappc_b64 s[30:31], s[4:5]
	.section	.rodata,"a",@progbits
	.p2align	6, 0x0
	.amdhsa_kernel _ZL15flash_attn_tileILi64ELi64ELi8ELi2ELb1EEvPKcS1_S1_S1_S1_PKiPfP15HIP_vector_typeIfLj2EEffffjfiS5_IjLj3EEiiiiiiiiiiiliiliiiiil
		.amdhsa_group_segment_fixed_size 0
		.amdhsa_private_segment_fixed_size 16
		.amdhsa_kernarg_size 464
		.amdhsa_user_sgpr_count 6
		.amdhsa_user_sgpr_private_segment_buffer 1
		.amdhsa_user_sgpr_dispatch_ptr 0
		.amdhsa_user_sgpr_queue_ptr 0
		.amdhsa_user_sgpr_kernarg_segment_ptr 1
		.amdhsa_user_sgpr_dispatch_id 0
		.amdhsa_user_sgpr_flat_scratch_init 0
		.amdhsa_user_sgpr_private_segment_size 0
		.amdhsa_wavefront_size32 1
		.amdhsa_uses_dynamic_stack 0
		.amdhsa_system_sgpr_private_segment_wavefront_offset 1
		.amdhsa_system_sgpr_workgroup_id_x 1
		.amdhsa_system_sgpr_workgroup_id_y 0
		.amdhsa_system_sgpr_workgroup_id_z 0
		.amdhsa_system_sgpr_workgroup_info 0
		.amdhsa_system_vgpr_workitem_id 0
		.amdhsa_next_free_vgpr 40
		.amdhsa_next_free_sgpr 34
		.amdhsa_reserve_vcc 1
		.amdhsa_reserve_flat_scratch 0
		.amdhsa_float_round_mode_32 0
		.amdhsa_float_round_mode_16_64 0
		.amdhsa_float_denorm_mode_32 3
		.amdhsa_float_denorm_mode_16_64 3
		.amdhsa_dx10_clamp 1
		.amdhsa_ieee_mode 1
		.amdhsa_fp16_overflow 0
		.amdhsa_workgroup_processor_mode 1
		.amdhsa_memory_ordered 1
		.amdhsa_forward_progress 1
		.amdhsa_shared_vgpr_count 0
		.amdhsa_exception_fp_ieee_invalid_op 0
		.amdhsa_exception_fp_denorm_src 0
		.amdhsa_exception_fp_ieee_div_zero 0
		.amdhsa_exception_fp_ieee_overflow 0
		.amdhsa_exception_fp_ieee_underflow 0
		.amdhsa_exception_fp_ieee_inexact 0
		.amdhsa_exception_int_div_zero 0
	.end_amdhsa_kernel
	.section	.text._ZL15flash_attn_tileILi64ELi64ELi8ELi2ELb1EEvPKcS1_S1_S1_S1_PKiPfP15HIP_vector_typeIfLj2EEffffjfiS5_IjLj3EEiiiiiiiiiiiliiliiiiil,"axG",@progbits,_ZL15flash_attn_tileILi64ELi64ELi8ELi2ELb1EEvPKcS1_S1_S1_S1_PKiPfP15HIP_vector_typeIfLj2EEffffjfiS5_IjLj3EEiiiiiiiiiiiliiliiiiil,comdat
.Lfunc_end85:
	.size	_ZL15flash_attn_tileILi64ELi64ELi8ELi2ELb1EEvPKcS1_S1_S1_S1_PKiPfP15HIP_vector_typeIfLj2EEffffjfiS5_IjLj3EEiiiiiiiiiiiliiliiiiil, .Lfunc_end85-_ZL15flash_attn_tileILi64ELi64ELi8ELi2ELb1EEvPKcS1_S1_S1_S1_PKiPfP15HIP_vector_typeIfLj2EEffffjfiS5_IjLj3EEiiiiiiiiiiiliiliiiiil
                                        ; -- End function
	.set _ZL15flash_attn_tileILi64ELi64ELi8ELi2ELb1EEvPKcS1_S1_S1_S1_PKiPfP15HIP_vector_typeIfLj2EEffffjfiS5_IjLj3EEiiiiiiiiiiiliiliiiiil.num_vgpr, max(0, .L_ZL14no_device_codePKciS0_iS0_.num_vgpr)
	.set _ZL15flash_attn_tileILi64ELi64ELi8ELi2ELb1EEvPKcS1_S1_S1_S1_PKiPfP15HIP_vector_typeIfLj2EEffffjfiS5_IjLj3EEiiiiiiiiiiiliiliiiiil.num_agpr, max(0, .L_ZL14no_device_codePKciS0_iS0_.num_agpr)
	.set _ZL15flash_attn_tileILi64ELi64ELi8ELi2ELb1EEvPKcS1_S1_S1_S1_PKiPfP15HIP_vector_typeIfLj2EEffffjfiS5_IjLj3EEiiiiiiiiiiiliiliiiiil.numbered_sgpr, max(33, .L_ZL14no_device_codePKciS0_iS0_.numbered_sgpr)
	.set _ZL15flash_attn_tileILi64ELi64ELi8ELi2ELb1EEvPKcS1_S1_S1_S1_PKiPfP15HIP_vector_typeIfLj2EEffffjfiS5_IjLj3EEiiiiiiiiiiiliiliiiiil.num_named_barrier, max(0, .L_ZL14no_device_codePKciS0_iS0_.num_named_barrier)
	.set _ZL15flash_attn_tileILi64ELi64ELi8ELi2ELb1EEvPKcS1_S1_S1_S1_PKiPfP15HIP_vector_typeIfLj2EEffffjfiS5_IjLj3EEiiiiiiiiiiiliiliiiiil.private_seg_size, 0+max(.L_ZL14no_device_codePKciS0_iS0_.private_seg_size)
	.set _ZL15flash_attn_tileILi64ELi64ELi8ELi2ELb1EEvPKcS1_S1_S1_S1_PKiPfP15HIP_vector_typeIfLj2EEffffjfiS5_IjLj3EEiiiiiiiiiiiliiliiiiil.uses_vcc, or(1, .L_ZL14no_device_codePKciS0_iS0_.uses_vcc)
	.set _ZL15flash_attn_tileILi64ELi64ELi8ELi2ELb1EEvPKcS1_S1_S1_S1_PKiPfP15HIP_vector_typeIfLj2EEffffjfiS5_IjLj3EEiiiiiiiiiiiliiliiiiil.uses_flat_scratch, or(0, .L_ZL14no_device_codePKciS0_iS0_.uses_flat_scratch)
	.set _ZL15flash_attn_tileILi64ELi64ELi8ELi2ELb1EEvPKcS1_S1_S1_S1_PKiPfP15HIP_vector_typeIfLj2EEffffjfiS5_IjLj3EEiiiiiiiiiiiliiliiiiil.has_dyn_sized_stack, or(0, .L_ZL14no_device_codePKciS0_iS0_.has_dyn_sized_stack)
	.set _ZL15flash_attn_tileILi64ELi64ELi8ELi2ELb1EEvPKcS1_S1_S1_S1_PKiPfP15HIP_vector_typeIfLj2EEffffjfiS5_IjLj3EEiiiiiiiiiiiliiliiiiil.has_recursion, or(0, .L_ZL14no_device_codePKciS0_iS0_.has_recursion)
	.set _ZL15flash_attn_tileILi64ELi64ELi8ELi2ELb1EEvPKcS1_S1_S1_S1_PKiPfP15HIP_vector_typeIfLj2EEffffjfiS5_IjLj3EEiiiiiiiiiiiliiliiiiil.has_indirect_call, or(0, .L_ZL14no_device_codePKciS0_iS0_.has_indirect_call)
	.section	.AMDGPU.csdata,"",@progbits
; Kernel info:
; codeLenInByte = 48
; TotalNumSgprs: 36
; NumVgprs: 40
; ScratchSize: 16
; MemoryBound: 0
; FloatMode: 240
; IeeeMode: 1
; LDSByteSize: 0 bytes/workgroup (compile time only)
; SGPRBlocks: 0
; VGPRBlocks: 4
; NumSGPRsForWavesPerEU: 36
; NumVGPRsForWavesPerEU: 40
; Occupancy: 16
; WaveLimiterHint : 1
; COMPUTE_PGM_RSRC2:SCRATCH_EN: 1
; COMPUTE_PGM_RSRC2:USER_SGPR: 6
; COMPUTE_PGM_RSRC2:TRAP_HANDLER: 0
; COMPUTE_PGM_RSRC2:TGID_X_EN: 1
; COMPUTE_PGM_RSRC2:TGID_Y_EN: 0
; COMPUTE_PGM_RSRC2:TGID_Z_EN: 0
; COMPUTE_PGM_RSRC2:TIDIG_COMP_CNT: 0
	.section	.text._ZL15flash_attn_tileILi64ELi64ELi4ELi2ELb1EEvPKcS1_S1_S1_S1_PKiPfP15HIP_vector_typeIfLj2EEffffjfiS5_IjLj3EEiiiiiiiiiiiliiliiiiil,"axG",@progbits,_ZL15flash_attn_tileILi64ELi64ELi4ELi2ELb1EEvPKcS1_S1_S1_S1_PKiPfP15HIP_vector_typeIfLj2EEffffjfiS5_IjLj3EEiiiiiiiiiiiliiliiiiil,comdat
	.globl	_ZL15flash_attn_tileILi64ELi64ELi4ELi2ELb1EEvPKcS1_S1_S1_S1_PKiPfP15HIP_vector_typeIfLj2EEffffjfiS5_IjLj3EEiiiiiiiiiiiliiliiiiil ; -- Begin function _ZL15flash_attn_tileILi64ELi64ELi4ELi2ELb1EEvPKcS1_S1_S1_S1_PKiPfP15HIP_vector_typeIfLj2EEffffjfiS5_IjLj3EEiiiiiiiiiiiliiliiiiil
	.p2align	8
	.type	_ZL15flash_attn_tileILi64ELi64ELi4ELi2ELb1EEvPKcS1_S1_S1_S1_PKiPfP15HIP_vector_typeIfLj2EEffffjfiS5_IjLj3EEiiiiiiiiiiiliiliiiiil,@function
_ZL15flash_attn_tileILi64ELi64ELi4ELi2ELb1EEvPKcS1_S1_S1_S1_PKiPfP15HIP_vector_typeIfLj2EEffffjfiS5_IjLj3EEiiiiiiiiiiiliiliiiiil: ; @_ZL15flash_attn_tileILi64ELi64ELi4ELi2ELb1EEvPKcS1_S1_S1_S1_PKiPfP15HIP_vector_typeIfLj2EEffffjfiS5_IjLj3EEiiiiiiiiiiiliiliiiiil
; %bb.0:
	s_add_u32 s0, s0, s7
	s_addc_u32 s1, s1, 0
	s_add_u32 s8, s4, 0xd0
	s_addc_u32 s9, s5, 0
	s_getpc_b64 s[4:5]
	s_add_u32 s4, s4, _ZL14no_device_codePKciS0_iS0_@rel32@lo+4
	s_addc_u32 s5, s5, _ZL14no_device_codePKciS0_iS0_@rel32@hi+12
	s_mov_b32 s32, 0
	s_swappc_b64 s[30:31], s[4:5]
	.section	.rodata,"a",@progbits
	.p2align	6, 0x0
	.amdhsa_kernel _ZL15flash_attn_tileILi64ELi64ELi4ELi2ELb1EEvPKcS1_S1_S1_S1_PKiPfP15HIP_vector_typeIfLj2EEffffjfiS5_IjLj3EEiiiiiiiiiiiliiliiiiil
		.amdhsa_group_segment_fixed_size 0
		.amdhsa_private_segment_fixed_size 16
		.amdhsa_kernarg_size 464
		.amdhsa_user_sgpr_count 6
		.amdhsa_user_sgpr_private_segment_buffer 1
		.amdhsa_user_sgpr_dispatch_ptr 0
		.amdhsa_user_sgpr_queue_ptr 0
		.amdhsa_user_sgpr_kernarg_segment_ptr 1
		.amdhsa_user_sgpr_dispatch_id 0
		.amdhsa_user_sgpr_flat_scratch_init 0
		.amdhsa_user_sgpr_private_segment_size 0
		.amdhsa_wavefront_size32 1
		.amdhsa_uses_dynamic_stack 0
		.amdhsa_system_sgpr_private_segment_wavefront_offset 1
		.amdhsa_system_sgpr_workgroup_id_x 1
		.amdhsa_system_sgpr_workgroup_id_y 0
		.amdhsa_system_sgpr_workgroup_id_z 0
		.amdhsa_system_sgpr_workgroup_info 0
		.amdhsa_system_vgpr_workitem_id 0
		.amdhsa_next_free_vgpr 40
		.amdhsa_next_free_sgpr 34
		.amdhsa_reserve_vcc 1
		.amdhsa_reserve_flat_scratch 0
		.amdhsa_float_round_mode_32 0
		.amdhsa_float_round_mode_16_64 0
		.amdhsa_float_denorm_mode_32 3
		.amdhsa_float_denorm_mode_16_64 3
		.amdhsa_dx10_clamp 1
		.amdhsa_ieee_mode 1
		.amdhsa_fp16_overflow 0
		.amdhsa_workgroup_processor_mode 1
		.amdhsa_memory_ordered 1
		.amdhsa_forward_progress 1
		.amdhsa_shared_vgpr_count 0
		.amdhsa_exception_fp_ieee_invalid_op 0
		.amdhsa_exception_fp_denorm_src 0
		.amdhsa_exception_fp_ieee_div_zero 0
		.amdhsa_exception_fp_ieee_overflow 0
		.amdhsa_exception_fp_ieee_underflow 0
		.amdhsa_exception_fp_ieee_inexact 0
		.amdhsa_exception_int_div_zero 0
	.end_amdhsa_kernel
	.section	.text._ZL15flash_attn_tileILi64ELi64ELi4ELi2ELb1EEvPKcS1_S1_S1_S1_PKiPfP15HIP_vector_typeIfLj2EEffffjfiS5_IjLj3EEiiiiiiiiiiiliiliiiiil,"axG",@progbits,_ZL15flash_attn_tileILi64ELi64ELi4ELi2ELb1EEvPKcS1_S1_S1_S1_PKiPfP15HIP_vector_typeIfLj2EEffffjfiS5_IjLj3EEiiiiiiiiiiiliiliiiiil,comdat
.Lfunc_end86:
	.size	_ZL15flash_attn_tileILi64ELi64ELi4ELi2ELb1EEvPKcS1_S1_S1_S1_PKiPfP15HIP_vector_typeIfLj2EEffffjfiS5_IjLj3EEiiiiiiiiiiiliiliiiiil, .Lfunc_end86-_ZL15flash_attn_tileILi64ELi64ELi4ELi2ELb1EEvPKcS1_S1_S1_S1_PKiPfP15HIP_vector_typeIfLj2EEffffjfiS5_IjLj3EEiiiiiiiiiiiliiliiiiil
                                        ; -- End function
	.set _ZL15flash_attn_tileILi64ELi64ELi4ELi2ELb1EEvPKcS1_S1_S1_S1_PKiPfP15HIP_vector_typeIfLj2EEffffjfiS5_IjLj3EEiiiiiiiiiiiliiliiiiil.num_vgpr, max(0, .L_ZL14no_device_codePKciS0_iS0_.num_vgpr)
	.set _ZL15flash_attn_tileILi64ELi64ELi4ELi2ELb1EEvPKcS1_S1_S1_S1_PKiPfP15HIP_vector_typeIfLj2EEffffjfiS5_IjLj3EEiiiiiiiiiiiliiliiiiil.num_agpr, max(0, .L_ZL14no_device_codePKciS0_iS0_.num_agpr)
	.set _ZL15flash_attn_tileILi64ELi64ELi4ELi2ELb1EEvPKcS1_S1_S1_S1_PKiPfP15HIP_vector_typeIfLj2EEffffjfiS5_IjLj3EEiiiiiiiiiiiliiliiiiil.numbered_sgpr, max(33, .L_ZL14no_device_codePKciS0_iS0_.numbered_sgpr)
	.set _ZL15flash_attn_tileILi64ELi64ELi4ELi2ELb1EEvPKcS1_S1_S1_S1_PKiPfP15HIP_vector_typeIfLj2EEffffjfiS5_IjLj3EEiiiiiiiiiiiliiliiiiil.num_named_barrier, max(0, .L_ZL14no_device_codePKciS0_iS0_.num_named_barrier)
	.set _ZL15flash_attn_tileILi64ELi64ELi4ELi2ELb1EEvPKcS1_S1_S1_S1_PKiPfP15HIP_vector_typeIfLj2EEffffjfiS5_IjLj3EEiiiiiiiiiiiliiliiiiil.private_seg_size, 0+max(.L_ZL14no_device_codePKciS0_iS0_.private_seg_size)
	.set _ZL15flash_attn_tileILi64ELi64ELi4ELi2ELb1EEvPKcS1_S1_S1_S1_PKiPfP15HIP_vector_typeIfLj2EEffffjfiS5_IjLj3EEiiiiiiiiiiiliiliiiiil.uses_vcc, or(1, .L_ZL14no_device_codePKciS0_iS0_.uses_vcc)
	.set _ZL15flash_attn_tileILi64ELi64ELi4ELi2ELb1EEvPKcS1_S1_S1_S1_PKiPfP15HIP_vector_typeIfLj2EEffffjfiS5_IjLj3EEiiiiiiiiiiiliiliiiiil.uses_flat_scratch, or(0, .L_ZL14no_device_codePKciS0_iS0_.uses_flat_scratch)
	.set _ZL15flash_attn_tileILi64ELi64ELi4ELi2ELb1EEvPKcS1_S1_S1_S1_PKiPfP15HIP_vector_typeIfLj2EEffffjfiS5_IjLj3EEiiiiiiiiiiiliiliiiiil.has_dyn_sized_stack, or(0, .L_ZL14no_device_codePKciS0_iS0_.has_dyn_sized_stack)
	.set _ZL15flash_attn_tileILi64ELi64ELi4ELi2ELb1EEvPKcS1_S1_S1_S1_PKiPfP15HIP_vector_typeIfLj2EEffffjfiS5_IjLj3EEiiiiiiiiiiiliiliiiiil.has_recursion, or(0, .L_ZL14no_device_codePKciS0_iS0_.has_recursion)
	.set _ZL15flash_attn_tileILi64ELi64ELi4ELi2ELb1EEvPKcS1_S1_S1_S1_PKiPfP15HIP_vector_typeIfLj2EEffffjfiS5_IjLj3EEiiiiiiiiiiiliiliiiiil.has_indirect_call, or(0, .L_ZL14no_device_codePKciS0_iS0_.has_indirect_call)
	.section	.AMDGPU.csdata,"",@progbits
; Kernel info:
; codeLenInByte = 48
; TotalNumSgprs: 36
; NumVgprs: 40
; ScratchSize: 16
; MemoryBound: 0
; FloatMode: 240
; IeeeMode: 1
; LDSByteSize: 0 bytes/workgroup (compile time only)
; SGPRBlocks: 0
; VGPRBlocks: 4
; NumSGPRsForWavesPerEU: 36
; NumVGPRsForWavesPerEU: 40
; Occupancy: 16
; WaveLimiterHint : 1
; COMPUTE_PGM_RSRC2:SCRATCH_EN: 1
; COMPUTE_PGM_RSRC2:USER_SGPR: 6
; COMPUTE_PGM_RSRC2:TRAP_HANDLER: 0
; COMPUTE_PGM_RSRC2:TGID_X_EN: 1
; COMPUTE_PGM_RSRC2:TGID_Y_EN: 0
; COMPUTE_PGM_RSRC2:TGID_Z_EN: 0
; COMPUTE_PGM_RSRC2:TIDIG_COMP_CNT: 0
	.section	.text._ZL15flash_attn_tileILi64ELi64ELi2ELi2ELb1EEvPKcS1_S1_S1_S1_PKiPfP15HIP_vector_typeIfLj2EEffffjfiS5_IjLj3EEiiiiiiiiiiiliiliiiiil,"axG",@progbits,_ZL15flash_attn_tileILi64ELi64ELi2ELi2ELb1EEvPKcS1_S1_S1_S1_PKiPfP15HIP_vector_typeIfLj2EEffffjfiS5_IjLj3EEiiiiiiiiiiiliiliiiiil,comdat
	.globl	_ZL15flash_attn_tileILi64ELi64ELi2ELi2ELb1EEvPKcS1_S1_S1_S1_PKiPfP15HIP_vector_typeIfLj2EEffffjfiS5_IjLj3EEiiiiiiiiiiiliiliiiiil ; -- Begin function _ZL15flash_attn_tileILi64ELi64ELi2ELi2ELb1EEvPKcS1_S1_S1_S1_PKiPfP15HIP_vector_typeIfLj2EEffffjfiS5_IjLj3EEiiiiiiiiiiiliiliiiiil
	.p2align	8
	.type	_ZL15flash_attn_tileILi64ELi64ELi2ELi2ELb1EEvPKcS1_S1_S1_S1_PKiPfP15HIP_vector_typeIfLj2EEffffjfiS5_IjLj3EEiiiiiiiiiiiliiliiiiil,@function
_ZL15flash_attn_tileILi64ELi64ELi2ELi2ELb1EEvPKcS1_S1_S1_S1_PKiPfP15HIP_vector_typeIfLj2EEffffjfiS5_IjLj3EEiiiiiiiiiiiliiliiiiil: ; @_ZL15flash_attn_tileILi64ELi64ELi2ELi2ELb1EEvPKcS1_S1_S1_S1_PKiPfP15HIP_vector_typeIfLj2EEffffjfiS5_IjLj3EEiiiiiiiiiiiliiliiiiil
; %bb.0:
	s_add_u32 s0, s0, s7
	s_addc_u32 s1, s1, 0
	s_add_u32 s8, s4, 0xd0
	s_addc_u32 s9, s5, 0
	s_getpc_b64 s[4:5]
	s_add_u32 s4, s4, _ZL14no_device_codePKciS0_iS0_@rel32@lo+4
	s_addc_u32 s5, s5, _ZL14no_device_codePKciS0_iS0_@rel32@hi+12
	s_mov_b32 s32, 0
	s_swappc_b64 s[30:31], s[4:5]
	.section	.rodata,"a",@progbits
	.p2align	6, 0x0
	.amdhsa_kernel _ZL15flash_attn_tileILi64ELi64ELi2ELi2ELb1EEvPKcS1_S1_S1_S1_PKiPfP15HIP_vector_typeIfLj2EEffffjfiS5_IjLj3EEiiiiiiiiiiiliiliiiiil
		.amdhsa_group_segment_fixed_size 0
		.amdhsa_private_segment_fixed_size 16
		.amdhsa_kernarg_size 464
		.amdhsa_user_sgpr_count 6
		.amdhsa_user_sgpr_private_segment_buffer 1
		.amdhsa_user_sgpr_dispatch_ptr 0
		.amdhsa_user_sgpr_queue_ptr 0
		.amdhsa_user_sgpr_kernarg_segment_ptr 1
		.amdhsa_user_sgpr_dispatch_id 0
		.amdhsa_user_sgpr_flat_scratch_init 0
		.amdhsa_user_sgpr_private_segment_size 0
		.amdhsa_wavefront_size32 1
		.amdhsa_uses_dynamic_stack 0
		.amdhsa_system_sgpr_private_segment_wavefront_offset 1
		.amdhsa_system_sgpr_workgroup_id_x 1
		.amdhsa_system_sgpr_workgroup_id_y 0
		.amdhsa_system_sgpr_workgroup_id_z 0
		.amdhsa_system_sgpr_workgroup_info 0
		.amdhsa_system_vgpr_workitem_id 0
		.amdhsa_next_free_vgpr 40
		.amdhsa_next_free_sgpr 34
		.amdhsa_reserve_vcc 1
		.amdhsa_reserve_flat_scratch 0
		.amdhsa_float_round_mode_32 0
		.amdhsa_float_round_mode_16_64 0
		.amdhsa_float_denorm_mode_32 3
		.amdhsa_float_denorm_mode_16_64 3
		.amdhsa_dx10_clamp 1
		.amdhsa_ieee_mode 1
		.amdhsa_fp16_overflow 0
		.amdhsa_workgroup_processor_mode 1
		.amdhsa_memory_ordered 1
		.amdhsa_forward_progress 1
		.amdhsa_shared_vgpr_count 0
		.amdhsa_exception_fp_ieee_invalid_op 0
		.amdhsa_exception_fp_denorm_src 0
		.amdhsa_exception_fp_ieee_div_zero 0
		.amdhsa_exception_fp_ieee_overflow 0
		.amdhsa_exception_fp_ieee_underflow 0
		.amdhsa_exception_fp_ieee_inexact 0
		.amdhsa_exception_int_div_zero 0
	.end_amdhsa_kernel
	.section	.text._ZL15flash_attn_tileILi64ELi64ELi2ELi2ELb1EEvPKcS1_S1_S1_S1_PKiPfP15HIP_vector_typeIfLj2EEffffjfiS5_IjLj3EEiiiiiiiiiiiliiliiiiil,"axG",@progbits,_ZL15flash_attn_tileILi64ELi64ELi2ELi2ELb1EEvPKcS1_S1_S1_S1_PKiPfP15HIP_vector_typeIfLj2EEffffjfiS5_IjLj3EEiiiiiiiiiiiliiliiiiil,comdat
.Lfunc_end87:
	.size	_ZL15flash_attn_tileILi64ELi64ELi2ELi2ELb1EEvPKcS1_S1_S1_S1_PKiPfP15HIP_vector_typeIfLj2EEffffjfiS5_IjLj3EEiiiiiiiiiiiliiliiiiil, .Lfunc_end87-_ZL15flash_attn_tileILi64ELi64ELi2ELi2ELb1EEvPKcS1_S1_S1_S1_PKiPfP15HIP_vector_typeIfLj2EEffffjfiS5_IjLj3EEiiiiiiiiiiiliiliiiiil
                                        ; -- End function
	.set _ZL15flash_attn_tileILi64ELi64ELi2ELi2ELb1EEvPKcS1_S1_S1_S1_PKiPfP15HIP_vector_typeIfLj2EEffffjfiS5_IjLj3EEiiiiiiiiiiiliiliiiiil.num_vgpr, max(0, .L_ZL14no_device_codePKciS0_iS0_.num_vgpr)
	.set _ZL15flash_attn_tileILi64ELi64ELi2ELi2ELb1EEvPKcS1_S1_S1_S1_PKiPfP15HIP_vector_typeIfLj2EEffffjfiS5_IjLj3EEiiiiiiiiiiiliiliiiiil.num_agpr, max(0, .L_ZL14no_device_codePKciS0_iS0_.num_agpr)
	.set _ZL15flash_attn_tileILi64ELi64ELi2ELi2ELb1EEvPKcS1_S1_S1_S1_PKiPfP15HIP_vector_typeIfLj2EEffffjfiS5_IjLj3EEiiiiiiiiiiiliiliiiiil.numbered_sgpr, max(33, .L_ZL14no_device_codePKciS0_iS0_.numbered_sgpr)
	.set _ZL15flash_attn_tileILi64ELi64ELi2ELi2ELb1EEvPKcS1_S1_S1_S1_PKiPfP15HIP_vector_typeIfLj2EEffffjfiS5_IjLj3EEiiiiiiiiiiiliiliiiiil.num_named_barrier, max(0, .L_ZL14no_device_codePKciS0_iS0_.num_named_barrier)
	.set _ZL15flash_attn_tileILi64ELi64ELi2ELi2ELb1EEvPKcS1_S1_S1_S1_PKiPfP15HIP_vector_typeIfLj2EEffffjfiS5_IjLj3EEiiiiiiiiiiiliiliiiiil.private_seg_size, 0+max(.L_ZL14no_device_codePKciS0_iS0_.private_seg_size)
	.set _ZL15flash_attn_tileILi64ELi64ELi2ELi2ELb1EEvPKcS1_S1_S1_S1_PKiPfP15HIP_vector_typeIfLj2EEffffjfiS5_IjLj3EEiiiiiiiiiiiliiliiiiil.uses_vcc, or(1, .L_ZL14no_device_codePKciS0_iS0_.uses_vcc)
	.set _ZL15flash_attn_tileILi64ELi64ELi2ELi2ELb1EEvPKcS1_S1_S1_S1_PKiPfP15HIP_vector_typeIfLj2EEffffjfiS5_IjLj3EEiiiiiiiiiiiliiliiiiil.uses_flat_scratch, or(0, .L_ZL14no_device_codePKciS0_iS0_.uses_flat_scratch)
	.set _ZL15flash_attn_tileILi64ELi64ELi2ELi2ELb1EEvPKcS1_S1_S1_S1_PKiPfP15HIP_vector_typeIfLj2EEffffjfiS5_IjLj3EEiiiiiiiiiiiliiliiiiil.has_dyn_sized_stack, or(0, .L_ZL14no_device_codePKciS0_iS0_.has_dyn_sized_stack)
	.set _ZL15flash_attn_tileILi64ELi64ELi2ELi2ELb1EEvPKcS1_S1_S1_S1_PKiPfP15HIP_vector_typeIfLj2EEffffjfiS5_IjLj3EEiiiiiiiiiiiliiliiiiil.has_recursion, or(0, .L_ZL14no_device_codePKciS0_iS0_.has_recursion)
	.set _ZL15flash_attn_tileILi64ELi64ELi2ELi2ELb1EEvPKcS1_S1_S1_S1_PKiPfP15HIP_vector_typeIfLj2EEffffjfiS5_IjLj3EEiiiiiiiiiiiliiliiiiil.has_indirect_call, or(0, .L_ZL14no_device_codePKciS0_iS0_.has_indirect_call)
	.section	.AMDGPU.csdata,"",@progbits
; Kernel info:
; codeLenInByte = 48
; TotalNumSgprs: 36
; NumVgprs: 40
; ScratchSize: 16
; MemoryBound: 0
; FloatMode: 240
; IeeeMode: 1
; LDSByteSize: 0 bytes/workgroup (compile time only)
; SGPRBlocks: 0
; VGPRBlocks: 4
; NumSGPRsForWavesPerEU: 36
; NumVGPRsForWavesPerEU: 40
; Occupancy: 16
; WaveLimiterHint : 1
; COMPUTE_PGM_RSRC2:SCRATCH_EN: 1
; COMPUTE_PGM_RSRC2:USER_SGPR: 6
; COMPUTE_PGM_RSRC2:TRAP_HANDLER: 0
; COMPUTE_PGM_RSRC2:TGID_X_EN: 1
; COMPUTE_PGM_RSRC2:TGID_Y_EN: 0
; COMPUTE_PGM_RSRC2:TGID_Z_EN: 0
; COMPUTE_PGM_RSRC2:TIDIG_COMP_CNT: 0
	.section	.text._ZL15flash_attn_tileILi64ELi64ELi1ELi2ELb1EEvPKcS1_S1_S1_S1_PKiPfP15HIP_vector_typeIfLj2EEffffjfiS5_IjLj3EEiiiiiiiiiiiliiliiiiil,"axG",@progbits,_ZL15flash_attn_tileILi64ELi64ELi1ELi2ELb1EEvPKcS1_S1_S1_S1_PKiPfP15HIP_vector_typeIfLj2EEffffjfiS5_IjLj3EEiiiiiiiiiiiliiliiiiil,comdat
	.globl	_ZL15flash_attn_tileILi64ELi64ELi1ELi2ELb1EEvPKcS1_S1_S1_S1_PKiPfP15HIP_vector_typeIfLj2EEffffjfiS5_IjLj3EEiiiiiiiiiiiliiliiiiil ; -- Begin function _ZL15flash_attn_tileILi64ELi64ELi1ELi2ELb1EEvPKcS1_S1_S1_S1_PKiPfP15HIP_vector_typeIfLj2EEffffjfiS5_IjLj3EEiiiiiiiiiiiliiliiiiil
	.p2align	8
	.type	_ZL15flash_attn_tileILi64ELi64ELi1ELi2ELb1EEvPKcS1_S1_S1_S1_PKiPfP15HIP_vector_typeIfLj2EEffffjfiS5_IjLj3EEiiiiiiiiiiiliiliiiiil,@function
_ZL15flash_attn_tileILi64ELi64ELi1ELi2ELb1EEvPKcS1_S1_S1_S1_PKiPfP15HIP_vector_typeIfLj2EEffffjfiS5_IjLj3EEiiiiiiiiiiiliiliiiiil: ; @_ZL15flash_attn_tileILi64ELi64ELi1ELi2ELb1EEvPKcS1_S1_S1_S1_PKiPfP15HIP_vector_typeIfLj2EEffffjfiS5_IjLj3EEiiiiiiiiiiiliiliiiiil
; %bb.0:
	s_add_u32 s0, s0, s7
	s_addc_u32 s1, s1, 0
	s_add_u32 s8, s4, 0xd0
	s_addc_u32 s9, s5, 0
	s_getpc_b64 s[4:5]
	s_add_u32 s4, s4, _ZL14no_device_codePKciS0_iS0_@rel32@lo+4
	s_addc_u32 s5, s5, _ZL14no_device_codePKciS0_iS0_@rel32@hi+12
	s_mov_b32 s32, 0
	s_swappc_b64 s[30:31], s[4:5]
	.section	.rodata,"a",@progbits
	.p2align	6, 0x0
	.amdhsa_kernel _ZL15flash_attn_tileILi64ELi64ELi1ELi2ELb1EEvPKcS1_S1_S1_S1_PKiPfP15HIP_vector_typeIfLj2EEffffjfiS5_IjLj3EEiiiiiiiiiiiliiliiiiil
		.amdhsa_group_segment_fixed_size 0
		.amdhsa_private_segment_fixed_size 16
		.amdhsa_kernarg_size 464
		.amdhsa_user_sgpr_count 6
		.amdhsa_user_sgpr_private_segment_buffer 1
		.amdhsa_user_sgpr_dispatch_ptr 0
		.amdhsa_user_sgpr_queue_ptr 0
		.amdhsa_user_sgpr_kernarg_segment_ptr 1
		.amdhsa_user_sgpr_dispatch_id 0
		.amdhsa_user_sgpr_flat_scratch_init 0
		.amdhsa_user_sgpr_private_segment_size 0
		.amdhsa_wavefront_size32 1
		.amdhsa_uses_dynamic_stack 0
		.amdhsa_system_sgpr_private_segment_wavefront_offset 1
		.amdhsa_system_sgpr_workgroup_id_x 1
		.amdhsa_system_sgpr_workgroup_id_y 0
		.amdhsa_system_sgpr_workgroup_id_z 0
		.amdhsa_system_sgpr_workgroup_info 0
		.amdhsa_system_vgpr_workitem_id 0
		.amdhsa_next_free_vgpr 40
		.amdhsa_next_free_sgpr 34
		.amdhsa_reserve_vcc 1
		.amdhsa_reserve_flat_scratch 0
		.amdhsa_float_round_mode_32 0
		.amdhsa_float_round_mode_16_64 0
		.amdhsa_float_denorm_mode_32 3
		.amdhsa_float_denorm_mode_16_64 3
		.amdhsa_dx10_clamp 1
		.amdhsa_ieee_mode 1
		.amdhsa_fp16_overflow 0
		.amdhsa_workgroup_processor_mode 1
		.amdhsa_memory_ordered 1
		.amdhsa_forward_progress 1
		.amdhsa_shared_vgpr_count 0
		.amdhsa_exception_fp_ieee_invalid_op 0
		.amdhsa_exception_fp_denorm_src 0
		.amdhsa_exception_fp_ieee_div_zero 0
		.amdhsa_exception_fp_ieee_overflow 0
		.amdhsa_exception_fp_ieee_underflow 0
		.amdhsa_exception_fp_ieee_inexact 0
		.amdhsa_exception_int_div_zero 0
	.end_amdhsa_kernel
	.section	.text._ZL15flash_attn_tileILi64ELi64ELi1ELi2ELb1EEvPKcS1_S1_S1_S1_PKiPfP15HIP_vector_typeIfLj2EEffffjfiS5_IjLj3EEiiiiiiiiiiiliiliiiiil,"axG",@progbits,_ZL15flash_attn_tileILi64ELi64ELi1ELi2ELb1EEvPKcS1_S1_S1_S1_PKiPfP15HIP_vector_typeIfLj2EEffffjfiS5_IjLj3EEiiiiiiiiiiiliiliiiiil,comdat
.Lfunc_end88:
	.size	_ZL15flash_attn_tileILi64ELi64ELi1ELi2ELb1EEvPKcS1_S1_S1_S1_PKiPfP15HIP_vector_typeIfLj2EEffffjfiS5_IjLj3EEiiiiiiiiiiiliiliiiiil, .Lfunc_end88-_ZL15flash_attn_tileILi64ELi64ELi1ELi2ELb1EEvPKcS1_S1_S1_S1_PKiPfP15HIP_vector_typeIfLj2EEffffjfiS5_IjLj3EEiiiiiiiiiiiliiliiiiil
                                        ; -- End function
	.set _ZL15flash_attn_tileILi64ELi64ELi1ELi2ELb1EEvPKcS1_S1_S1_S1_PKiPfP15HIP_vector_typeIfLj2EEffffjfiS5_IjLj3EEiiiiiiiiiiiliiliiiiil.num_vgpr, max(0, .L_ZL14no_device_codePKciS0_iS0_.num_vgpr)
	.set _ZL15flash_attn_tileILi64ELi64ELi1ELi2ELb1EEvPKcS1_S1_S1_S1_PKiPfP15HIP_vector_typeIfLj2EEffffjfiS5_IjLj3EEiiiiiiiiiiiliiliiiiil.num_agpr, max(0, .L_ZL14no_device_codePKciS0_iS0_.num_agpr)
	.set _ZL15flash_attn_tileILi64ELi64ELi1ELi2ELb1EEvPKcS1_S1_S1_S1_PKiPfP15HIP_vector_typeIfLj2EEffffjfiS5_IjLj3EEiiiiiiiiiiiliiliiiiil.numbered_sgpr, max(33, .L_ZL14no_device_codePKciS0_iS0_.numbered_sgpr)
	.set _ZL15flash_attn_tileILi64ELi64ELi1ELi2ELb1EEvPKcS1_S1_S1_S1_PKiPfP15HIP_vector_typeIfLj2EEffffjfiS5_IjLj3EEiiiiiiiiiiiliiliiiiil.num_named_barrier, max(0, .L_ZL14no_device_codePKciS0_iS0_.num_named_barrier)
	.set _ZL15flash_attn_tileILi64ELi64ELi1ELi2ELb1EEvPKcS1_S1_S1_S1_PKiPfP15HIP_vector_typeIfLj2EEffffjfiS5_IjLj3EEiiiiiiiiiiiliiliiiiil.private_seg_size, 0+max(.L_ZL14no_device_codePKciS0_iS0_.private_seg_size)
	.set _ZL15flash_attn_tileILi64ELi64ELi1ELi2ELb1EEvPKcS1_S1_S1_S1_PKiPfP15HIP_vector_typeIfLj2EEffffjfiS5_IjLj3EEiiiiiiiiiiiliiliiiiil.uses_vcc, or(1, .L_ZL14no_device_codePKciS0_iS0_.uses_vcc)
	.set _ZL15flash_attn_tileILi64ELi64ELi1ELi2ELb1EEvPKcS1_S1_S1_S1_PKiPfP15HIP_vector_typeIfLj2EEffffjfiS5_IjLj3EEiiiiiiiiiiiliiliiiiil.uses_flat_scratch, or(0, .L_ZL14no_device_codePKciS0_iS0_.uses_flat_scratch)
	.set _ZL15flash_attn_tileILi64ELi64ELi1ELi2ELb1EEvPKcS1_S1_S1_S1_PKiPfP15HIP_vector_typeIfLj2EEffffjfiS5_IjLj3EEiiiiiiiiiiiliiliiiiil.has_dyn_sized_stack, or(0, .L_ZL14no_device_codePKciS0_iS0_.has_dyn_sized_stack)
	.set _ZL15flash_attn_tileILi64ELi64ELi1ELi2ELb1EEvPKcS1_S1_S1_S1_PKiPfP15HIP_vector_typeIfLj2EEffffjfiS5_IjLj3EEiiiiiiiiiiiliiliiiiil.has_recursion, or(0, .L_ZL14no_device_codePKciS0_iS0_.has_recursion)
	.set _ZL15flash_attn_tileILi64ELi64ELi1ELi2ELb1EEvPKcS1_S1_S1_S1_PKiPfP15HIP_vector_typeIfLj2EEffffjfiS5_IjLj3EEiiiiiiiiiiiliiliiiiil.has_indirect_call, or(0, .L_ZL14no_device_codePKciS0_iS0_.has_indirect_call)
	.section	.AMDGPU.csdata,"",@progbits
; Kernel info:
; codeLenInByte = 48
; TotalNumSgprs: 36
; NumVgprs: 40
; ScratchSize: 16
; MemoryBound: 0
; FloatMode: 240
; IeeeMode: 1
; LDSByteSize: 0 bytes/workgroup (compile time only)
; SGPRBlocks: 0
; VGPRBlocks: 4
; NumSGPRsForWavesPerEU: 36
; NumVGPRsForWavesPerEU: 40
; Occupancy: 16
; WaveLimiterHint : 1
; COMPUTE_PGM_RSRC2:SCRATCH_EN: 1
; COMPUTE_PGM_RSRC2:USER_SGPR: 6
; COMPUTE_PGM_RSRC2:TRAP_HANDLER: 0
; COMPUTE_PGM_RSRC2:TGID_X_EN: 1
; COMPUTE_PGM_RSRC2:TGID_Y_EN: 0
; COMPUTE_PGM_RSRC2:TGID_Z_EN: 0
; COMPUTE_PGM_RSRC2:TIDIG_COMP_CNT: 0
	.section	.text._ZL15flash_attn_tileILi64ELi64ELi64ELi1ELb1EEvPKcS1_S1_S1_S1_PKiPfP15HIP_vector_typeIfLj2EEffffjfiS5_IjLj3EEiiiiiiiiiiiliiliiiiil,"axG",@progbits,_ZL15flash_attn_tileILi64ELi64ELi64ELi1ELb1EEvPKcS1_S1_S1_S1_PKiPfP15HIP_vector_typeIfLj2EEffffjfiS5_IjLj3EEiiiiiiiiiiiliiliiiiil,comdat
	.globl	_ZL15flash_attn_tileILi64ELi64ELi64ELi1ELb1EEvPKcS1_S1_S1_S1_PKiPfP15HIP_vector_typeIfLj2EEffffjfiS5_IjLj3EEiiiiiiiiiiiliiliiiiil ; -- Begin function _ZL15flash_attn_tileILi64ELi64ELi64ELi1ELb1EEvPKcS1_S1_S1_S1_PKiPfP15HIP_vector_typeIfLj2EEffffjfiS5_IjLj3EEiiiiiiiiiiiliiliiiiil
	.p2align	8
	.type	_ZL15flash_attn_tileILi64ELi64ELi64ELi1ELb1EEvPKcS1_S1_S1_S1_PKiPfP15HIP_vector_typeIfLj2EEffffjfiS5_IjLj3EEiiiiiiiiiiiliiliiiiil,@function
_ZL15flash_attn_tileILi64ELi64ELi64ELi1ELb1EEvPKcS1_S1_S1_S1_PKiPfP15HIP_vector_typeIfLj2EEffffjfiS5_IjLj3EEiiiiiiiiiiiliiliiiiil: ; @_ZL15flash_attn_tileILi64ELi64ELi64ELi1ELb1EEvPKcS1_S1_S1_S1_PKiPfP15HIP_vector_typeIfLj2EEffffjfiS5_IjLj3EEiiiiiiiiiiiliiliiiiil
; %bb.0:
	s_add_u32 s0, s0, s7
	s_addc_u32 s1, s1, 0
	s_add_u32 s8, s4, 0xd0
	s_addc_u32 s9, s5, 0
	s_getpc_b64 s[4:5]
	s_add_u32 s4, s4, _ZL14no_device_codePKciS0_iS0_@rel32@lo+4
	s_addc_u32 s5, s5, _ZL14no_device_codePKciS0_iS0_@rel32@hi+12
	s_mov_b32 s32, 0
	s_swappc_b64 s[30:31], s[4:5]
	.section	.rodata,"a",@progbits
	.p2align	6, 0x0
	.amdhsa_kernel _ZL15flash_attn_tileILi64ELi64ELi64ELi1ELb1EEvPKcS1_S1_S1_S1_PKiPfP15HIP_vector_typeIfLj2EEffffjfiS5_IjLj3EEiiiiiiiiiiiliiliiiiil
		.amdhsa_group_segment_fixed_size 0
		.amdhsa_private_segment_fixed_size 16
		.amdhsa_kernarg_size 464
		.amdhsa_user_sgpr_count 6
		.amdhsa_user_sgpr_private_segment_buffer 1
		.amdhsa_user_sgpr_dispatch_ptr 0
		.amdhsa_user_sgpr_queue_ptr 0
		.amdhsa_user_sgpr_kernarg_segment_ptr 1
		.amdhsa_user_sgpr_dispatch_id 0
		.amdhsa_user_sgpr_flat_scratch_init 0
		.amdhsa_user_sgpr_private_segment_size 0
		.amdhsa_wavefront_size32 1
		.amdhsa_uses_dynamic_stack 0
		.amdhsa_system_sgpr_private_segment_wavefront_offset 1
		.amdhsa_system_sgpr_workgroup_id_x 1
		.amdhsa_system_sgpr_workgroup_id_y 0
		.amdhsa_system_sgpr_workgroup_id_z 0
		.amdhsa_system_sgpr_workgroup_info 0
		.amdhsa_system_vgpr_workitem_id 0
		.amdhsa_next_free_vgpr 40
		.amdhsa_next_free_sgpr 34
		.amdhsa_reserve_vcc 1
		.amdhsa_reserve_flat_scratch 0
		.amdhsa_float_round_mode_32 0
		.amdhsa_float_round_mode_16_64 0
		.amdhsa_float_denorm_mode_32 3
		.amdhsa_float_denorm_mode_16_64 3
		.amdhsa_dx10_clamp 1
		.amdhsa_ieee_mode 1
		.amdhsa_fp16_overflow 0
		.amdhsa_workgroup_processor_mode 1
		.amdhsa_memory_ordered 1
		.amdhsa_forward_progress 1
		.amdhsa_shared_vgpr_count 0
		.amdhsa_exception_fp_ieee_invalid_op 0
		.amdhsa_exception_fp_denorm_src 0
		.amdhsa_exception_fp_ieee_div_zero 0
		.amdhsa_exception_fp_ieee_overflow 0
		.amdhsa_exception_fp_ieee_underflow 0
		.amdhsa_exception_fp_ieee_inexact 0
		.amdhsa_exception_int_div_zero 0
	.end_amdhsa_kernel
	.section	.text._ZL15flash_attn_tileILi64ELi64ELi64ELi1ELb1EEvPKcS1_S1_S1_S1_PKiPfP15HIP_vector_typeIfLj2EEffffjfiS5_IjLj3EEiiiiiiiiiiiliiliiiiil,"axG",@progbits,_ZL15flash_attn_tileILi64ELi64ELi64ELi1ELb1EEvPKcS1_S1_S1_S1_PKiPfP15HIP_vector_typeIfLj2EEffffjfiS5_IjLj3EEiiiiiiiiiiiliiliiiiil,comdat
.Lfunc_end89:
	.size	_ZL15flash_attn_tileILi64ELi64ELi64ELi1ELb1EEvPKcS1_S1_S1_S1_PKiPfP15HIP_vector_typeIfLj2EEffffjfiS5_IjLj3EEiiiiiiiiiiiliiliiiiil, .Lfunc_end89-_ZL15flash_attn_tileILi64ELi64ELi64ELi1ELb1EEvPKcS1_S1_S1_S1_PKiPfP15HIP_vector_typeIfLj2EEffffjfiS5_IjLj3EEiiiiiiiiiiiliiliiiiil
                                        ; -- End function
	.set _ZL15flash_attn_tileILi64ELi64ELi64ELi1ELb1EEvPKcS1_S1_S1_S1_PKiPfP15HIP_vector_typeIfLj2EEffffjfiS5_IjLj3EEiiiiiiiiiiiliiliiiiil.num_vgpr, max(0, .L_ZL14no_device_codePKciS0_iS0_.num_vgpr)
	.set _ZL15flash_attn_tileILi64ELi64ELi64ELi1ELb1EEvPKcS1_S1_S1_S1_PKiPfP15HIP_vector_typeIfLj2EEffffjfiS5_IjLj3EEiiiiiiiiiiiliiliiiiil.num_agpr, max(0, .L_ZL14no_device_codePKciS0_iS0_.num_agpr)
	.set _ZL15flash_attn_tileILi64ELi64ELi64ELi1ELb1EEvPKcS1_S1_S1_S1_PKiPfP15HIP_vector_typeIfLj2EEffffjfiS5_IjLj3EEiiiiiiiiiiiliiliiiiil.numbered_sgpr, max(33, .L_ZL14no_device_codePKciS0_iS0_.numbered_sgpr)
	.set _ZL15flash_attn_tileILi64ELi64ELi64ELi1ELb1EEvPKcS1_S1_S1_S1_PKiPfP15HIP_vector_typeIfLj2EEffffjfiS5_IjLj3EEiiiiiiiiiiiliiliiiiil.num_named_barrier, max(0, .L_ZL14no_device_codePKciS0_iS0_.num_named_barrier)
	.set _ZL15flash_attn_tileILi64ELi64ELi64ELi1ELb1EEvPKcS1_S1_S1_S1_PKiPfP15HIP_vector_typeIfLj2EEffffjfiS5_IjLj3EEiiiiiiiiiiiliiliiiiil.private_seg_size, 0+max(.L_ZL14no_device_codePKciS0_iS0_.private_seg_size)
	.set _ZL15flash_attn_tileILi64ELi64ELi64ELi1ELb1EEvPKcS1_S1_S1_S1_PKiPfP15HIP_vector_typeIfLj2EEffffjfiS5_IjLj3EEiiiiiiiiiiiliiliiiiil.uses_vcc, or(1, .L_ZL14no_device_codePKciS0_iS0_.uses_vcc)
	.set _ZL15flash_attn_tileILi64ELi64ELi64ELi1ELb1EEvPKcS1_S1_S1_S1_PKiPfP15HIP_vector_typeIfLj2EEffffjfiS5_IjLj3EEiiiiiiiiiiiliiliiiiil.uses_flat_scratch, or(0, .L_ZL14no_device_codePKciS0_iS0_.uses_flat_scratch)
	.set _ZL15flash_attn_tileILi64ELi64ELi64ELi1ELb1EEvPKcS1_S1_S1_S1_PKiPfP15HIP_vector_typeIfLj2EEffffjfiS5_IjLj3EEiiiiiiiiiiiliiliiiiil.has_dyn_sized_stack, or(0, .L_ZL14no_device_codePKciS0_iS0_.has_dyn_sized_stack)
	.set _ZL15flash_attn_tileILi64ELi64ELi64ELi1ELb1EEvPKcS1_S1_S1_S1_PKiPfP15HIP_vector_typeIfLj2EEffffjfiS5_IjLj3EEiiiiiiiiiiiliiliiiiil.has_recursion, or(0, .L_ZL14no_device_codePKciS0_iS0_.has_recursion)
	.set _ZL15flash_attn_tileILi64ELi64ELi64ELi1ELb1EEvPKcS1_S1_S1_S1_PKiPfP15HIP_vector_typeIfLj2EEffffjfiS5_IjLj3EEiiiiiiiiiiiliiliiiiil.has_indirect_call, or(0, .L_ZL14no_device_codePKciS0_iS0_.has_indirect_call)
	.section	.AMDGPU.csdata,"",@progbits
; Kernel info:
; codeLenInByte = 48
; TotalNumSgprs: 36
; NumVgprs: 40
; ScratchSize: 16
; MemoryBound: 0
; FloatMode: 240
; IeeeMode: 1
; LDSByteSize: 0 bytes/workgroup (compile time only)
; SGPRBlocks: 0
; VGPRBlocks: 4
; NumSGPRsForWavesPerEU: 36
; NumVGPRsForWavesPerEU: 40
; Occupancy: 16
; WaveLimiterHint : 1
; COMPUTE_PGM_RSRC2:SCRATCH_EN: 1
; COMPUTE_PGM_RSRC2:USER_SGPR: 6
; COMPUTE_PGM_RSRC2:TRAP_HANDLER: 0
; COMPUTE_PGM_RSRC2:TGID_X_EN: 1
; COMPUTE_PGM_RSRC2:TGID_Y_EN: 0
; COMPUTE_PGM_RSRC2:TGID_Z_EN: 0
; COMPUTE_PGM_RSRC2:TIDIG_COMP_CNT: 0
	.section	.text._ZL15flash_attn_tileILi64ELi64ELi32ELi1ELb1EEvPKcS1_S1_S1_S1_PKiPfP15HIP_vector_typeIfLj2EEffffjfiS5_IjLj3EEiiiiiiiiiiiliiliiiiil,"axG",@progbits,_ZL15flash_attn_tileILi64ELi64ELi32ELi1ELb1EEvPKcS1_S1_S1_S1_PKiPfP15HIP_vector_typeIfLj2EEffffjfiS5_IjLj3EEiiiiiiiiiiiliiliiiiil,comdat
	.globl	_ZL15flash_attn_tileILi64ELi64ELi32ELi1ELb1EEvPKcS1_S1_S1_S1_PKiPfP15HIP_vector_typeIfLj2EEffffjfiS5_IjLj3EEiiiiiiiiiiiliiliiiiil ; -- Begin function _ZL15flash_attn_tileILi64ELi64ELi32ELi1ELb1EEvPKcS1_S1_S1_S1_PKiPfP15HIP_vector_typeIfLj2EEffffjfiS5_IjLj3EEiiiiiiiiiiiliiliiiiil
	.p2align	8
	.type	_ZL15flash_attn_tileILi64ELi64ELi32ELi1ELb1EEvPKcS1_S1_S1_S1_PKiPfP15HIP_vector_typeIfLj2EEffffjfiS5_IjLj3EEiiiiiiiiiiiliiliiiiil,@function
_ZL15flash_attn_tileILi64ELi64ELi32ELi1ELb1EEvPKcS1_S1_S1_S1_PKiPfP15HIP_vector_typeIfLj2EEffffjfiS5_IjLj3EEiiiiiiiiiiiliiliiiiil: ; @_ZL15flash_attn_tileILi64ELi64ELi32ELi1ELb1EEvPKcS1_S1_S1_S1_PKiPfP15HIP_vector_typeIfLj2EEffffjfiS5_IjLj3EEiiiiiiiiiiiliiliiiiil
; %bb.0:
	s_add_u32 s0, s0, s7
	s_addc_u32 s1, s1, 0
	s_add_u32 s8, s4, 0xd0
	s_addc_u32 s9, s5, 0
	s_getpc_b64 s[4:5]
	s_add_u32 s4, s4, _ZL14no_device_codePKciS0_iS0_@rel32@lo+4
	s_addc_u32 s5, s5, _ZL14no_device_codePKciS0_iS0_@rel32@hi+12
	s_mov_b32 s32, 0
	s_swappc_b64 s[30:31], s[4:5]
	.section	.rodata,"a",@progbits
	.p2align	6, 0x0
	.amdhsa_kernel _ZL15flash_attn_tileILi64ELi64ELi32ELi1ELb1EEvPKcS1_S1_S1_S1_PKiPfP15HIP_vector_typeIfLj2EEffffjfiS5_IjLj3EEiiiiiiiiiiiliiliiiiil
		.amdhsa_group_segment_fixed_size 0
		.amdhsa_private_segment_fixed_size 16
		.amdhsa_kernarg_size 464
		.amdhsa_user_sgpr_count 6
		.amdhsa_user_sgpr_private_segment_buffer 1
		.amdhsa_user_sgpr_dispatch_ptr 0
		.amdhsa_user_sgpr_queue_ptr 0
		.amdhsa_user_sgpr_kernarg_segment_ptr 1
		.amdhsa_user_sgpr_dispatch_id 0
		.amdhsa_user_sgpr_flat_scratch_init 0
		.amdhsa_user_sgpr_private_segment_size 0
		.amdhsa_wavefront_size32 1
		.amdhsa_uses_dynamic_stack 0
		.amdhsa_system_sgpr_private_segment_wavefront_offset 1
		.amdhsa_system_sgpr_workgroup_id_x 1
		.amdhsa_system_sgpr_workgroup_id_y 0
		.amdhsa_system_sgpr_workgroup_id_z 0
		.amdhsa_system_sgpr_workgroup_info 0
		.amdhsa_system_vgpr_workitem_id 0
		.amdhsa_next_free_vgpr 40
		.amdhsa_next_free_sgpr 34
		.amdhsa_reserve_vcc 1
		.amdhsa_reserve_flat_scratch 0
		.amdhsa_float_round_mode_32 0
		.amdhsa_float_round_mode_16_64 0
		.amdhsa_float_denorm_mode_32 3
		.amdhsa_float_denorm_mode_16_64 3
		.amdhsa_dx10_clamp 1
		.amdhsa_ieee_mode 1
		.amdhsa_fp16_overflow 0
		.amdhsa_workgroup_processor_mode 1
		.amdhsa_memory_ordered 1
		.amdhsa_forward_progress 1
		.amdhsa_shared_vgpr_count 0
		.amdhsa_exception_fp_ieee_invalid_op 0
		.amdhsa_exception_fp_denorm_src 0
		.amdhsa_exception_fp_ieee_div_zero 0
		.amdhsa_exception_fp_ieee_overflow 0
		.amdhsa_exception_fp_ieee_underflow 0
		.amdhsa_exception_fp_ieee_inexact 0
		.amdhsa_exception_int_div_zero 0
	.end_amdhsa_kernel
	.section	.text._ZL15flash_attn_tileILi64ELi64ELi32ELi1ELb1EEvPKcS1_S1_S1_S1_PKiPfP15HIP_vector_typeIfLj2EEffffjfiS5_IjLj3EEiiiiiiiiiiiliiliiiiil,"axG",@progbits,_ZL15flash_attn_tileILi64ELi64ELi32ELi1ELb1EEvPKcS1_S1_S1_S1_PKiPfP15HIP_vector_typeIfLj2EEffffjfiS5_IjLj3EEiiiiiiiiiiiliiliiiiil,comdat
.Lfunc_end90:
	.size	_ZL15flash_attn_tileILi64ELi64ELi32ELi1ELb1EEvPKcS1_S1_S1_S1_PKiPfP15HIP_vector_typeIfLj2EEffffjfiS5_IjLj3EEiiiiiiiiiiiliiliiiiil, .Lfunc_end90-_ZL15flash_attn_tileILi64ELi64ELi32ELi1ELb1EEvPKcS1_S1_S1_S1_PKiPfP15HIP_vector_typeIfLj2EEffffjfiS5_IjLj3EEiiiiiiiiiiiliiliiiiil
                                        ; -- End function
	.set _ZL15flash_attn_tileILi64ELi64ELi32ELi1ELb1EEvPKcS1_S1_S1_S1_PKiPfP15HIP_vector_typeIfLj2EEffffjfiS5_IjLj3EEiiiiiiiiiiiliiliiiiil.num_vgpr, max(0, .L_ZL14no_device_codePKciS0_iS0_.num_vgpr)
	.set _ZL15flash_attn_tileILi64ELi64ELi32ELi1ELb1EEvPKcS1_S1_S1_S1_PKiPfP15HIP_vector_typeIfLj2EEffffjfiS5_IjLj3EEiiiiiiiiiiiliiliiiiil.num_agpr, max(0, .L_ZL14no_device_codePKciS0_iS0_.num_agpr)
	.set _ZL15flash_attn_tileILi64ELi64ELi32ELi1ELb1EEvPKcS1_S1_S1_S1_PKiPfP15HIP_vector_typeIfLj2EEffffjfiS5_IjLj3EEiiiiiiiiiiiliiliiiiil.numbered_sgpr, max(33, .L_ZL14no_device_codePKciS0_iS0_.numbered_sgpr)
	.set _ZL15flash_attn_tileILi64ELi64ELi32ELi1ELb1EEvPKcS1_S1_S1_S1_PKiPfP15HIP_vector_typeIfLj2EEffffjfiS5_IjLj3EEiiiiiiiiiiiliiliiiiil.num_named_barrier, max(0, .L_ZL14no_device_codePKciS0_iS0_.num_named_barrier)
	.set _ZL15flash_attn_tileILi64ELi64ELi32ELi1ELb1EEvPKcS1_S1_S1_S1_PKiPfP15HIP_vector_typeIfLj2EEffffjfiS5_IjLj3EEiiiiiiiiiiiliiliiiiil.private_seg_size, 0+max(.L_ZL14no_device_codePKciS0_iS0_.private_seg_size)
	.set _ZL15flash_attn_tileILi64ELi64ELi32ELi1ELb1EEvPKcS1_S1_S1_S1_PKiPfP15HIP_vector_typeIfLj2EEffffjfiS5_IjLj3EEiiiiiiiiiiiliiliiiiil.uses_vcc, or(1, .L_ZL14no_device_codePKciS0_iS0_.uses_vcc)
	.set _ZL15flash_attn_tileILi64ELi64ELi32ELi1ELb1EEvPKcS1_S1_S1_S1_PKiPfP15HIP_vector_typeIfLj2EEffffjfiS5_IjLj3EEiiiiiiiiiiiliiliiiiil.uses_flat_scratch, or(0, .L_ZL14no_device_codePKciS0_iS0_.uses_flat_scratch)
	.set _ZL15flash_attn_tileILi64ELi64ELi32ELi1ELb1EEvPKcS1_S1_S1_S1_PKiPfP15HIP_vector_typeIfLj2EEffffjfiS5_IjLj3EEiiiiiiiiiiiliiliiiiil.has_dyn_sized_stack, or(0, .L_ZL14no_device_codePKciS0_iS0_.has_dyn_sized_stack)
	.set _ZL15flash_attn_tileILi64ELi64ELi32ELi1ELb1EEvPKcS1_S1_S1_S1_PKiPfP15HIP_vector_typeIfLj2EEffffjfiS5_IjLj3EEiiiiiiiiiiiliiliiiiil.has_recursion, or(0, .L_ZL14no_device_codePKciS0_iS0_.has_recursion)
	.set _ZL15flash_attn_tileILi64ELi64ELi32ELi1ELb1EEvPKcS1_S1_S1_S1_PKiPfP15HIP_vector_typeIfLj2EEffffjfiS5_IjLj3EEiiiiiiiiiiiliiliiiiil.has_indirect_call, or(0, .L_ZL14no_device_codePKciS0_iS0_.has_indirect_call)
	.section	.AMDGPU.csdata,"",@progbits
; Kernel info:
; codeLenInByte = 48
; TotalNumSgprs: 36
; NumVgprs: 40
; ScratchSize: 16
; MemoryBound: 0
; FloatMode: 240
; IeeeMode: 1
; LDSByteSize: 0 bytes/workgroup (compile time only)
; SGPRBlocks: 0
; VGPRBlocks: 4
; NumSGPRsForWavesPerEU: 36
; NumVGPRsForWavesPerEU: 40
; Occupancy: 16
; WaveLimiterHint : 1
; COMPUTE_PGM_RSRC2:SCRATCH_EN: 1
; COMPUTE_PGM_RSRC2:USER_SGPR: 6
; COMPUTE_PGM_RSRC2:TRAP_HANDLER: 0
; COMPUTE_PGM_RSRC2:TGID_X_EN: 1
; COMPUTE_PGM_RSRC2:TGID_Y_EN: 0
; COMPUTE_PGM_RSRC2:TGID_Z_EN: 0
; COMPUTE_PGM_RSRC2:TIDIG_COMP_CNT: 0
	.section	.text._ZL15flash_attn_tileILi64ELi64ELi16ELi1ELb1EEvPKcS1_S1_S1_S1_PKiPfP15HIP_vector_typeIfLj2EEffffjfiS5_IjLj3EEiiiiiiiiiiiliiliiiiil,"axG",@progbits,_ZL15flash_attn_tileILi64ELi64ELi16ELi1ELb1EEvPKcS1_S1_S1_S1_PKiPfP15HIP_vector_typeIfLj2EEffffjfiS5_IjLj3EEiiiiiiiiiiiliiliiiiil,comdat
	.globl	_ZL15flash_attn_tileILi64ELi64ELi16ELi1ELb1EEvPKcS1_S1_S1_S1_PKiPfP15HIP_vector_typeIfLj2EEffffjfiS5_IjLj3EEiiiiiiiiiiiliiliiiiil ; -- Begin function _ZL15flash_attn_tileILi64ELi64ELi16ELi1ELb1EEvPKcS1_S1_S1_S1_PKiPfP15HIP_vector_typeIfLj2EEffffjfiS5_IjLj3EEiiiiiiiiiiiliiliiiiil
	.p2align	8
	.type	_ZL15flash_attn_tileILi64ELi64ELi16ELi1ELb1EEvPKcS1_S1_S1_S1_PKiPfP15HIP_vector_typeIfLj2EEffffjfiS5_IjLj3EEiiiiiiiiiiiliiliiiiil,@function
_ZL15flash_attn_tileILi64ELi64ELi16ELi1ELb1EEvPKcS1_S1_S1_S1_PKiPfP15HIP_vector_typeIfLj2EEffffjfiS5_IjLj3EEiiiiiiiiiiiliiliiiiil: ; @_ZL15flash_attn_tileILi64ELi64ELi16ELi1ELb1EEvPKcS1_S1_S1_S1_PKiPfP15HIP_vector_typeIfLj2EEffffjfiS5_IjLj3EEiiiiiiiiiiiliiliiiiil
; %bb.0:
	s_add_u32 s0, s0, s7
	s_addc_u32 s1, s1, 0
	s_add_u32 s8, s4, 0xd0
	s_addc_u32 s9, s5, 0
	s_getpc_b64 s[4:5]
	s_add_u32 s4, s4, _ZL14no_device_codePKciS0_iS0_@rel32@lo+4
	s_addc_u32 s5, s5, _ZL14no_device_codePKciS0_iS0_@rel32@hi+12
	s_mov_b32 s32, 0
	s_swappc_b64 s[30:31], s[4:5]
	.section	.rodata,"a",@progbits
	.p2align	6, 0x0
	.amdhsa_kernel _ZL15flash_attn_tileILi64ELi64ELi16ELi1ELb1EEvPKcS1_S1_S1_S1_PKiPfP15HIP_vector_typeIfLj2EEffffjfiS5_IjLj3EEiiiiiiiiiiiliiliiiiil
		.amdhsa_group_segment_fixed_size 0
		.amdhsa_private_segment_fixed_size 16
		.amdhsa_kernarg_size 464
		.amdhsa_user_sgpr_count 6
		.amdhsa_user_sgpr_private_segment_buffer 1
		.amdhsa_user_sgpr_dispatch_ptr 0
		.amdhsa_user_sgpr_queue_ptr 0
		.amdhsa_user_sgpr_kernarg_segment_ptr 1
		.amdhsa_user_sgpr_dispatch_id 0
		.amdhsa_user_sgpr_flat_scratch_init 0
		.amdhsa_user_sgpr_private_segment_size 0
		.amdhsa_wavefront_size32 1
		.amdhsa_uses_dynamic_stack 0
		.amdhsa_system_sgpr_private_segment_wavefront_offset 1
		.amdhsa_system_sgpr_workgroup_id_x 1
		.amdhsa_system_sgpr_workgroup_id_y 0
		.amdhsa_system_sgpr_workgroup_id_z 0
		.amdhsa_system_sgpr_workgroup_info 0
		.amdhsa_system_vgpr_workitem_id 0
		.amdhsa_next_free_vgpr 40
		.amdhsa_next_free_sgpr 34
		.amdhsa_reserve_vcc 1
		.amdhsa_reserve_flat_scratch 0
		.amdhsa_float_round_mode_32 0
		.amdhsa_float_round_mode_16_64 0
		.amdhsa_float_denorm_mode_32 3
		.amdhsa_float_denorm_mode_16_64 3
		.amdhsa_dx10_clamp 1
		.amdhsa_ieee_mode 1
		.amdhsa_fp16_overflow 0
		.amdhsa_workgroup_processor_mode 1
		.amdhsa_memory_ordered 1
		.amdhsa_forward_progress 1
		.amdhsa_shared_vgpr_count 0
		.amdhsa_exception_fp_ieee_invalid_op 0
		.amdhsa_exception_fp_denorm_src 0
		.amdhsa_exception_fp_ieee_div_zero 0
		.amdhsa_exception_fp_ieee_overflow 0
		.amdhsa_exception_fp_ieee_underflow 0
		.amdhsa_exception_fp_ieee_inexact 0
		.amdhsa_exception_int_div_zero 0
	.end_amdhsa_kernel
	.section	.text._ZL15flash_attn_tileILi64ELi64ELi16ELi1ELb1EEvPKcS1_S1_S1_S1_PKiPfP15HIP_vector_typeIfLj2EEffffjfiS5_IjLj3EEiiiiiiiiiiiliiliiiiil,"axG",@progbits,_ZL15flash_attn_tileILi64ELi64ELi16ELi1ELb1EEvPKcS1_S1_S1_S1_PKiPfP15HIP_vector_typeIfLj2EEffffjfiS5_IjLj3EEiiiiiiiiiiiliiliiiiil,comdat
.Lfunc_end91:
	.size	_ZL15flash_attn_tileILi64ELi64ELi16ELi1ELb1EEvPKcS1_S1_S1_S1_PKiPfP15HIP_vector_typeIfLj2EEffffjfiS5_IjLj3EEiiiiiiiiiiiliiliiiiil, .Lfunc_end91-_ZL15flash_attn_tileILi64ELi64ELi16ELi1ELb1EEvPKcS1_S1_S1_S1_PKiPfP15HIP_vector_typeIfLj2EEffffjfiS5_IjLj3EEiiiiiiiiiiiliiliiiiil
                                        ; -- End function
	.set _ZL15flash_attn_tileILi64ELi64ELi16ELi1ELb1EEvPKcS1_S1_S1_S1_PKiPfP15HIP_vector_typeIfLj2EEffffjfiS5_IjLj3EEiiiiiiiiiiiliiliiiiil.num_vgpr, max(0, .L_ZL14no_device_codePKciS0_iS0_.num_vgpr)
	.set _ZL15flash_attn_tileILi64ELi64ELi16ELi1ELb1EEvPKcS1_S1_S1_S1_PKiPfP15HIP_vector_typeIfLj2EEffffjfiS5_IjLj3EEiiiiiiiiiiiliiliiiiil.num_agpr, max(0, .L_ZL14no_device_codePKciS0_iS0_.num_agpr)
	.set _ZL15flash_attn_tileILi64ELi64ELi16ELi1ELb1EEvPKcS1_S1_S1_S1_PKiPfP15HIP_vector_typeIfLj2EEffffjfiS5_IjLj3EEiiiiiiiiiiiliiliiiiil.numbered_sgpr, max(33, .L_ZL14no_device_codePKciS0_iS0_.numbered_sgpr)
	.set _ZL15flash_attn_tileILi64ELi64ELi16ELi1ELb1EEvPKcS1_S1_S1_S1_PKiPfP15HIP_vector_typeIfLj2EEffffjfiS5_IjLj3EEiiiiiiiiiiiliiliiiiil.num_named_barrier, max(0, .L_ZL14no_device_codePKciS0_iS0_.num_named_barrier)
	.set _ZL15flash_attn_tileILi64ELi64ELi16ELi1ELb1EEvPKcS1_S1_S1_S1_PKiPfP15HIP_vector_typeIfLj2EEffffjfiS5_IjLj3EEiiiiiiiiiiiliiliiiiil.private_seg_size, 0+max(.L_ZL14no_device_codePKciS0_iS0_.private_seg_size)
	.set _ZL15flash_attn_tileILi64ELi64ELi16ELi1ELb1EEvPKcS1_S1_S1_S1_PKiPfP15HIP_vector_typeIfLj2EEffffjfiS5_IjLj3EEiiiiiiiiiiiliiliiiiil.uses_vcc, or(1, .L_ZL14no_device_codePKciS0_iS0_.uses_vcc)
	.set _ZL15flash_attn_tileILi64ELi64ELi16ELi1ELb1EEvPKcS1_S1_S1_S1_PKiPfP15HIP_vector_typeIfLj2EEffffjfiS5_IjLj3EEiiiiiiiiiiiliiliiiiil.uses_flat_scratch, or(0, .L_ZL14no_device_codePKciS0_iS0_.uses_flat_scratch)
	.set _ZL15flash_attn_tileILi64ELi64ELi16ELi1ELb1EEvPKcS1_S1_S1_S1_PKiPfP15HIP_vector_typeIfLj2EEffffjfiS5_IjLj3EEiiiiiiiiiiiliiliiiiil.has_dyn_sized_stack, or(0, .L_ZL14no_device_codePKciS0_iS0_.has_dyn_sized_stack)
	.set _ZL15flash_attn_tileILi64ELi64ELi16ELi1ELb1EEvPKcS1_S1_S1_S1_PKiPfP15HIP_vector_typeIfLj2EEffffjfiS5_IjLj3EEiiiiiiiiiiiliiliiiiil.has_recursion, or(0, .L_ZL14no_device_codePKciS0_iS0_.has_recursion)
	.set _ZL15flash_attn_tileILi64ELi64ELi16ELi1ELb1EEvPKcS1_S1_S1_S1_PKiPfP15HIP_vector_typeIfLj2EEffffjfiS5_IjLj3EEiiiiiiiiiiiliiliiiiil.has_indirect_call, or(0, .L_ZL14no_device_codePKciS0_iS0_.has_indirect_call)
	.section	.AMDGPU.csdata,"",@progbits
; Kernel info:
; codeLenInByte = 48
; TotalNumSgprs: 36
; NumVgprs: 40
; ScratchSize: 16
; MemoryBound: 0
; FloatMode: 240
; IeeeMode: 1
; LDSByteSize: 0 bytes/workgroup (compile time only)
; SGPRBlocks: 0
; VGPRBlocks: 4
; NumSGPRsForWavesPerEU: 36
; NumVGPRsForWavesPerEU: 40
; Occupancy: 16
; WaveLimiterHint : 1
; COMPUTE_PGM_RSRC2:SCRATCH_EN: 1
; COMPUTE_PGM_RSRC2:USER_SGPR: 6
; COMPUTE_PGM_RSRC2:TRAP_HANDLER: 0
; COMPUTE_PGM_RSRC2:TGID_X_EN: 1
; COMPUTE_PGM_RSRC2:TGID_Y_EN: 0
; COMPUTE_PGM_RSRC2:TGID_Z_EN: 0
; COMPUTE_PGM_RSRC2:TIDIG_COMP_CNT: 0
	.section	.text._ZL15flash_attn_tileILi64ELi64ELi8ELi1ELb1EEvPKcS1_S1_S1_S1_PKiPfP15HIP_vector_typeIfLj2EEffffjfiS5_IjLj3EEiiiiiiiiiiiliiliiiiil,"axG",@progbits,_ZL15flash_attn_tileILi64ELi64ELi8ELi1ELb1EEvPKcS1_S1_S1_S1_PKiPfP15HIP_vector_typeIfLj2EEffffjfiS5_IjLj3EEiiiiiiiiiiiliiliiiiil,comdat
	.globl	_ZL15flash_attn_tileILi64ELi64ELi8ELi1ELb1EEvPKcS1_S1_S1_S1_PKiPfP15HIP_vector_typeIfLj2EEffffjfiS5_IjLj3EEiiiiiiiiiiiliiliiiiil ; -- Begin function _ZL15flash_attn_tileILi64ELi64ELi8ELi1ELb1EEvPKcS1_S1_S1_S1_PKiPfP15HIP_vector_typeIfLj2EEffffjfiS5_IjLj3EEiiiiiiiiiiiliiliiiiil
	.p2align	8
	.type	_ZL15flash_attn_tileILi64ELi64ELi8ELi1ELb1EEvPKcS1_S1_S1_S1_PKiPfP15HIP_vector_typeIfLj2EEffffjfiS5_IjLj3EEiiiiiiiiiiiliiliiiiil,@function
_ZL15flash_attn_tileILi64ELi64ELi8ELi1ELb1EEvPKcS1_S1_S1_S1_PKiPfP15HIP_vector_typeIfLj2EEffffjfiS5_IjLj3EEiiiiiiiiiiiliiliiiiil: ; @_ZL15flash_attn_tileILi64ELi64ELi8ELi1ELb1EEvPKcS1_S1_S1_S1_PKiPfP15HIP_vector_typeIfLj2EEffffjfiS5_IjLj3EEiiiiiiiiiiiliiliiiiil
; %bb.0:
	s_add_u32 s0, s0, s7
	s_addc_u32 s1, s1, 0
	s_add_u32 s8, s4, 0xd0
	s_addc_u32 s9, s5, 0
	s_getpc_b64 s[4:5]
	s_add_u32 s4, s4, _ZL14no_device_codePKciS0_iS0_@rel32@lo+4
	s_addc_u32 s5, s5, _ZL14no_device_codePKciS0_iS0_@rel32@hi+12
	s_mov_b32 s32, 0
	s_swappc_b64 s[30:31], s[4:5]
	.section	.rodata,"a",@progbits
	.p2align	6, 0x0
	.amdhsa_kernel _ZL15flash_attn_tileILi64ELi64ELi8ELi1ELb1EEvPKcS1_S1_S1_S1_PKiPfP15HIP_vector_typeIfLj2EEffffjfiS5_IjLj3EEiiiiiiiiiiiliiliiiiil
		.amdhsa_group_segment_fixed_size 0
		.amdhsa_private_segment_fixed_size 16
		.amdhsa_kernarg_size 464
		.amdhsa_user_sgpr_count 6
		.amdhsa_user_sgpr_private_segment_buffer 1
		.amdhsa_user_sgpr_dispatch_ptr 0
		.amdhsa_user_sgpr_queue_ptr 0
		.amdhsa_user_sgpr_kernarg_segment_ptr 1
		.amdhsa_user_sgpr_dispatch_id 0
		.amdhsa_user_sgpr_flat_scratch_init 0
		.amdhsa_user_sgpr_private_segment_size 0
		.amdhsa_wavefront_size32 1
		.amdhsa_uses_dynamic_stack 0
		.amdhsa_system_sgpr_private_segment_wavefront_offset 1
		.amdhsa_system_sgpr_workgroup_id_x 1
		.amdhsa_system_sgpr_workgroup_id_y 0
		.amdhsa_system_sgpr_workgroup_id_z 0
		.amdhsa_system_sgpr_workgroup_info 0
		.amdhsa_system_vgpr_workitem_id 0
		.amdhsa_next_free_vgpr 40
		.amdhsa_next_free_sgpr 34
		.amdhsa_reserve_vcc 1
		.amdhsa_reserve_flat_scratch 0
		.amdhsa_float_round_mode_32 0
		.amdhsa_float_round_mode_16_64 0
		.amdhsa_float_denorm_mode_32 3
		.amdhsa_float_denorm_mode_16_64 3
		.amdhsa_dx10_clamp 1
		.amdhsa_ieee_mode 1
		.amdhsa_fp16_overflow 0
		.amdhsa_workgroup_processor_mode 1
		.amdhsa_memory_ordered 1
		.amdhsa_forward_progress 1
		.amdhsa_shared_vgpr_count 0
		.amdhsa_exception_fp_ieee_invalid_op 0
		.amdhsa_exception_fp_denorm_src 0
		.amdhsa_exception_fp_ieee_div_zero 0
		.amdhsa_exception_fp_ieee_overflow 0
		.amdhsa_exception_fp_ieee_underflow 0
		.amdhsa_exception_fp_ieee_inexact 0
		.amdhsa_exception_int_div_zero 0
	.end_amdhsa_kernel
	.section	.text._ZL15flash_attn_tileILi64ELi64ELi8ELi1ELb1EEvPKcS1_S1_S1_S1_PKiPfP15HIP_vector_typeIfLj2EEffffjfiS5_IjLj3EEiiiiiiiiiiiliiliiiiil,"axG",@progbits,_ZL15flash_attn_tileILi64ELi64ELi8ELi1ELb1EEvPKcS1_S1_S1_S1_PKiPfP15HIP_vector_typeIfLj2EEffffjfiS5_IjLj3EEiiiiiiiiiiiliiliiiiil,comdat
.Lfunc_end92:
	.size	_ZL15flash_attn_tileILi64ELi64ELi8ELi1ELb1EEvPKcS1_S1_S1_S1_PKiPfP15HIP_vector_typeIfLj2EEffffjfiS5_IjLj3EEiiiiiiiiiiiliiliiiiil, .Lfunc_end92-_ZL15flash_attn_tileILi64ELi64ELi8ELi1ELb1EEvPKcS1_S1_S1_S1_PKiPfP15HIP_vector_typeIfLj2EEffffjfiS5_IjLj3EEiiiiiiiiiiiliiliiiiil
                                        ; -- End function
	.set _ZL15flash_attn_tileILi64ELi64ELi8ELi1ELb1EEvPKcS1_S1_S1_S1_PKiPfP15HIP_vector_typeIfLj2EEffffjfiS5_IjLj3EEiiiiiiiiiiiliiliiiiil.num_vgpr, max(0, .L_ZL14no_device_codePKciS0_iS0_.num_vgpr)
	.set _ZL15flash_attn_tileILi64ELi64ELi8ELi1ELb1EEvPKcS1_S1_S1_S1_PKiPfP15HIP_vector_typeIfLj2EEffffjfiS5_IjLj3EEiiiiiiiiiiiliiliiiiil.num_agpr, max(0, .L_ZL14no_device_codePKciS0_iS0_.num_agpr)
	.set _ZL15flash_attn_tileILi64ELi64ELi8ELi1ELb1EEvPKcS1_S1_S1_S1_PKiPfP15HIP_vector_typeIfLj2EEffffjfiS5_IjLj3EEiiiiiiiiiiiliiliiiiil.numbered_sgpr, max(33, .L_ZL14no_device_codePKciS0_iS0_.numbered_sgpr)
	.set _ZL15flash_attn_tileILi64ELi64ELi8ELi1ELb1EEvPKcS1_S1_S1_S1_PKiPfP15HIP_vector_typeIfLj2EEffffjfiS5_IjLj3EEiiiiiiiiiiiliiliiiiil.num_named_barrier, max(0, .L_ZL14no_device_codePKciS0_iS0_.num_named_barrier)
	.set _ZL15flash_attn_tileILi64ELi64ELi8ELi1ELb1EEvPKcS1_S1_S1_S1_PKiPfP15HIP_vector_typeIfLj2EEffffjfiS5_IjLj3EEiiiiiiiiiiiliiliiiiil.private_seg_size, 0+max(.L_ZL14no_device_codePKciS0_iS0_.private_seg_size)
	.set _ZL15flash_attn_tileILi64ELi64ELi8ELi1ELb1EEvPKcS1_S1_S1_S1_PKiPfP15HIP_vector_typeIfLj2EEffffjfiS5_IjLj3EEiiiiiiiiiiiliiliiiiil.uses_vcc, or(1, .L_ZL14no_device_codePKciS0_iS0_.uses_vcc)
	.set _ZL15flash_attn_tileILi64ELi64ELi8ELi1ELb1EEvPKcS1_S1_S1_S1_PKiPfP15HIP_vector_typeIfLj2EEffffjfiS5_IjLj3EEiiiiiiiiiiiliiliiiiil.uses_flat_scratch, or(0, .L_ZL14no_device_codePKciS0_iS0_.uses_flat_scratch)
	.set _ZL15flash_attn_tileILi64ELi64ELi8ELi1ELb1EEvPKcS1_S1_S1_S1_PKiPfP15HIP_vector_typeIfLj2EEffffjfiS5_IjLj3EEiiiiiiiiiiiliiliiiiil.has_dyn_sized_stack, or(0, .L_ZL14no_device_codePKciS0_iS0_.has_dyn_sized_stack)
	.set _ZL15flash_attn_tileILi64ELi64ELi8ELi1ELb1EEvPKcS1_S1_S1_S1_PKiPfP15HIP_vector_typeIfLj2EEffffjfiS5_IjLj3EEiiiiiiiiiiiliiliiiiil.has_recursion, or(0, .L_ZL14no_device_codePKciS0_iS0_.has_recursion)
	.set _ZL15flash_attn_tileILi64ELi64ELi8ELi1ELb1EEvPKcS1_S1_S1_S1_PKiPfP15HIP_vector_typeIfLj2EEffffjfiS5_IjLj3EEiiiiiiiiiiiliiliiiiil.has_indirect_call, or(0, .L_ZL14no_device_codePKciS0_iS0_.has_indirect_call)
	.section	.AMDGPU.csdata,"",@progbits
; Kernel info:
; codeLenInByte = 48
; TotalNumSgprs: 36
; NumVgprs: 40
; ScratchSize: 16
; MemoryBound: 0
; FloatMode: 240
; IeeeMode: 1
; LDSByteSize: 0 bytes/workgroup (compile time only)
; SGPRBlocks: 0
; VGPRBlocks: 4
; NumSGPRsForWavesPerEU: 36
; NumVGPRsForWavesPerEU: 40
; Occupancy: 16
; WaveLimiterHint : 1
; COMPUTE_PGM_RSRC2:SCRATCH_EN: 1
; COMPUTE_PGM_RSRC2:USER_SGPR: 6
; COMPUTE_PGM_RSRC2:TRAP_HANDLER: 0
; COMPUTE_PGM_RSRC2:TGID_X_EN: 1
; COMPUTE_PGM_RSRC2:TGID_Y_EN: 0
; COMPUTE_PGM_RSRC2:TGID_Z_EN: 0
; COMPUTE_PGM_RSRC2:TIDIG_COMP_CNT: 0
	.section	.text._ZL15flash_attn_tileILi64ELi64ELi4ELi1ELb1EEvPKcS1_S1_S1_S1_PKiPfP15HIP_vector_typeIfLj2EEffffjfiS5_IjLj3EEiiiiiiiiiiiliiliiiiil,"axG",@progbits,_ZL15flash_attn_tileILi64ELi64ELi4ELi1ELb1EEvPKcS1_S1_S1_S1_PKiPfP15HIP_vector_typeIfLj2EEffffjfiS5_IjLj3EEiiiiiiiiiiiliiliiiiil,comdat
	.globl	_ZL15flash_attn_tileILi64ELi64ELi4ELi1ELb1EEvPKcS1_S1_S1_S1_PKiPfP15HIP_vector_typeIfLj2EEffffjfiS5_IjLj3EEiiiiiiiiiiiliiliiiiil ; -- Begin function _ZL15flash_attn_tileILi64ELi64ELi4ELi1ELb1EEvPKcS1_S1_S1_S1_PKiPfP15HIP_vector_typeIfLj2EEffffjfiS5_IjLj3EEiiiiiiiiiiiliiliiiiil
	.p2align	8
	.type	_ZL15flash_attn_tileILi64ELi64ELi4ELi1ELb1EEvPKcS1_S1_S1_S1_PKiPfP15HIP_vector_typeIfLj2EEffffjfiS5_IjLj3EEiiiiiiiiiiiliiliiiiil,@function
_ZL15flash_attn_tileILi64ELi64ELi4ELi1ELb1EEvPKcS1_S1_S1_S1_PKiPfP15HIP_vector_typeIfLj2EEffffjfiS5_IjLj3EEiiiiiiiiiiiliiliiiiil: ; @_ZL15flash_attn_tileILi64ELi64ELi4ELi1ELb1EEvPKcS1_S1_S1_S1_PKiPfP15HIP_vector_typeIfLj2EEffffjfiS5_IjLj3EEiiiiiiiiiiiliiliiiiil
; %bb.0:
	s_add_u32 s0, s0, s7
	s_addc_u32 s1, s1, 0
	s_add_u32 s8, s4, 0xd0
	s_addc_u32 s9, s5, 0
	s_getpc_b64 s[4:5]
	s_add_u32 s4, s4, _ZL14no_device_codePKciS0_iS0_@rel32@lo+4
	s_addc_u32 s5, s5, _ZL14no_device_codePKciS0_iS0_@rel32@hi+12
	s_mov_b32 s32, 0
	s_swappc_b64 s[30:31], s[4:5]
	.section	.rodata,"a",@progbits
	.p2align	6, 0x0
	.amdhsa_kernel _ZL15flash_attn_tileILi64ELi64ELi4ELi1ELb1EEvPKcS1_S1_S1_S1_PKiPfP15HIP_vector_typeIfLj2EEffffjfiS5_IjLj3EEiiiiiiiiiiiliiliiiiil
		.amdhsa_group_segment_fixed_size 0
		.amdhsa_private_segment_fixed_size 16
		.amdhsa_kernarg_size 464
		.amdhsa_user_sgpr_count 6
		.amdhsa_user_sgpr_private_segment_buffer 1
		.amdhsa_user_sgpr_dispatch_ptr 0
		.amdhsa_user_sgpr_queue_ptr 0
		.amdhsa_user_sgpr_kernarg_segment_ptr 1
		.amdhsa_user_sgpr_dispatch_id 0
		.amdhsa_user_sgpr_flat_scratch_init 0
		.amdhsa_user_sgpr_private_segment_size 0
		.amdhsa_wavefront_size32 1
		.amdhsa_uses_dynamic_stack 0
		.amdhsa_system_sgpr_private_segment_wavefront_offset 1
		.amdhsa_system_sgpr_workgroup_id_x 1
		.amdhsa_system_sgpr_workgroup_id_y 0
		.amdhsa_system_sgpr_workgroup_id_z 0
		.amdhsa_system_sgpr_workgroup_info 0
		.amdhsa_system_vgpr_workitem_id 0
		.amdhsa_next_free_vgpr 40
		.amdhsa_next_free_sgpr 34
		.amdhsa_reserve_vcc 1
		.amdhsa_reserve_flat_scratch 0
		.amdhsa_float_round_mode_32 0
		.amdhsa_float_round_mode_16_64 0
		.amdhsa_float_denorm_mode_32 3
		.amdhsa_float_denorm_mode_16_64 3
		.amdhsa_dx10_clamp 1
		.amdhsa_ieee_mode 1
		.amdhsa_fp16_overflow 0
		.amdhsa_workgroup_processor_mode 1
		.amdhsa_memory_ordered 1
		.amdhsa_forward_progress 1
		.amdhsa_shared_vgpr_count 0
		.amdhsa_exception_fp_ieee_invalid_op 0
		.amdhsa_exception_fp_denorm_src 0
		.amdhsa_exception_fp_ieee_div_zero 0
		.amdhsa_exception_fp_ieee_overflow 0
		.amdhsa_exception_fp_ieee_underflow 0
		.amdhsa_exception_fp_ieee_inexact 0
		.amdhsa_exception_int_div_zero 0
	.end_amdhsa_kernel
	.section	.text._ZL15flash_attn_tileILi64ELi64ELi4ELi1ELb1EEvPKcS1_S1_S1_S1_PKiPfP15HIP_vector_typeIfLj2EEffffjfiS5_IjLj3EEiiiiiiiiiiiliiliiiiil,"axG",@progbits,_ZL15flash_attn_tileILi64ELi64ELi4ELi1ELb1EEvPKcS1_S1_S1_S1_PKiPfP15HIP_vector_typeIfLj2EEffffjfiS5_IjLj3EEiiiiiiiiiiiliiliiiiil,comdat
.Lfunc_end93:
	.size	_ZL15flash_attn_tileILi64ELi64ELi4ELi1ELb1EEvPKcS1_S1_S1_S1_PKiPfP15HIP_vector_typeIfLj2EEffffjfiS5_IjLj3EEiiiiiiiiiiiliiliiiiil, .Lfunc_end93-_ZL15flash_attn_tileILi64ELi64ELi4ELi1ELb1EEvPKcS1_S1_S1_S1_PKiPfP15HIP_vector_typeIfLj2EEffffjfiS5_IjLj3EEiiiiiiiiiiiliiliiiiil
                                        ; -- End function
	.set _ZL15flash_attn_tileILi64ELi64ELi4ELi1ELb1EEvPKcS1_S1_S1_S1_PKiPfP15HIP_vector_typeIfLj2EEffffjfiS5_IjLj3EEiiiiiiiiiiiliiliiiiil.num_vgpr, max(0, .L_ZL14no_device_codePKciS0_iS0_.num_vgpr)
	.set _ZL15flash_attn_tileILi64ELi64ELi4ELi1ELb1EEvPKcS1_S1_S1_S1_PKiPfP15HIP_vector_typeIfLj2EEffffjfiS5_IjLj3EEiiiiiiiiiiiliiliiiiil.num_agpr, max(0, .L_ZL14no_device_codePKciS0_iS0_.num_agpr)
	.set _ZL15flash_attn_tileILi64ELi64ELi4ELi1ELb1EEvPKcS1_S1_S1_S1_PKiPfP15HIP_vector_typeIfLj2EEffffjfiS5_IjLj3EEiiiiiiiiiiiliiliiiiil.numbered_sgpr, max(33, .L_ZL14no_device_codePKciS0_iS0_.numbered_sgpr)
	.set _ZL15flash_attn_tileILi64ELi64ELi4ELi1ELb1EEvPKcS1_S1_S1_S1_PKiPfP15HIP_vector_typeIfLj2EEffffjfiS5_IjLj3EEiiiiiiiiiiiliiliiiiil.num_named_barrier, max(0, .L_ZL14no_device_codePKciS0_iS0_.num_named_barrier)
	.set _ZL15flash_attn_tileILi64ELi64ELi4ELi1ELb1EEvPKcS1_S1_S1_S1_PKiPfP15HIP_vector_typeIfLj2EEffffjfiS5_IjLj3EEiiiiiiiiiiiliiliiiiil.private_seg_size, 0+max(.L_ZL14no_device_codePKciS0_iS0_.private_seg_size)
	.set _ZL15flash_attn_tileILi64ELi64ELi4ELi1ELb1EEvPKcS1_S1_S1_S1_PKiPfP15HIP_vector_typeIfLj2EEffffjfiS5_IjLj3EEiiiiiiiiiiiliiliiiiil.uses_vcc, or(1, .L_ZL14no_device_codePKciS0_iS0_.uses_vcc)
	.set _ZL15flash_attn_tileILi64ELi64ELi4ELi1ELb1EEvPKcS1_S1_S1_S1_PKiPfP15HIP_vector_typeIfLj2EEffffjfiS5_IjLj3EEiiiiiiiiiiiliiliiiiil.uses_flat_scratch, or(0, .L_ZL14no_device_codePKciS0_iS0_.uses_flat_scratch)
	.set _ZL15flash_attn_tileILi64ELi64ELi4ELi1ELb1EEvPKcS1_S1_S1_S1_PKiPfP15HIP_vector_typeIfLj2EEffffjfiS5_IjLj3EEiiiiiiiiiiiliiliiiiil.has_dyn_sized_stack, or(0, .L_ZL14no_device_codePKciS0_iS0_.has_dyn_sized_stack)
	.set _ZL15flash_attn_tileILi64ELi64ELi4ELi1ELb1EEvPKcS1_S1_S1_S1_PKiPfP15HIP_vector_typeIfLj2EEffffjfiS5_IjLj3EEiiiiiiiiiiiliiliiiiil.has_recursion, or(0, .L_ZL14no_device_codePKciS0_iS0_.has_recursion)
	.set _ZL15flash_attn_tileILi64ELi64ELi4ELi1ELb1EEvPKcS1_S1_S1_S1_PKiPfP15HIP_vector_typeIfLj2EEffffjfiS5_IjLj3EEiiiiiiiiiiiliiliiiiil.has_indirect_call, or(0, .L_ZL14no_device_codePKciS0_iS0_.has_indirect_call)
	.section	.AMDGPU.csdata,"",@progbits
; Kernel info:
; codeLenInByte = 48
; TotalNumSgprs: 36
; NumVgprs: 40
; ScratchSize: 16
; MemoryBound: 0
; FloatMode: 240
; IeeeMode: 1
; LDSByteSize: 0 bytes/workgroup (compile time only)
; SGPRBlocks: 0
; VGPRBlocks: 4
; NumSGPRsForWavesPerEU: 36
; NumVGPRsForWavesPerEU: 40
; Occupancy: 16
; WaveLimiterHint : 1
; COMPUTE_PGM_RSRC2:SCRATCH_EN: 1
; COMPUTE_PGM_RSRC2:USER_SGPR: 6
; COMPUTE_PGM_RSRC2:TRAP_HANDLER: 0
; COMPUTE_PGM_RSRC2:TGID_X_EN: 1
; COMPUTE_PGM_RSRC2:TGID_Y_EN: 0
; COMPUTE_PGM_RSRC2:TGID_Z_EN: 0
; COMPUTE_PGM_RSRC2:TIDIG_COMP_CNT: 0
	.section	.text._ZL15flash_attn_tileILi64ELi64ELi2ELi1ELb1EEvPKcS1_S1_S1_S1_PKiPfP15HIP_vector_typeIfLj2EEffffjfiS5_IjLj3EEiiiiiiiiiiiliiliiiiil,"axG",@progbits,_ZL15flash_attn_tileILi64ELi64ELi2ELi1ELb1EEvPKcS1_S1_S1_S1_PKiPfP15HIP_vector_typeIfLj2EEffffjfiS5_IjLj3EEiiiiiiiiiiiliiliiiiil,comdat
	.globl	_ZL15flash_attn_tileILi64ELi64ELi2ELi1ELb1EEvPKcS1_S1_S1_S1_PKiPfP15HIP_vector_typeIfLj2EEffffjfiS5_IjLj3EEiiiiiiiiiiiliiliiiiil ; -- Begin function _ZL15flash_attn_tileILi64ELi64ELi2ELi1ELb1EEvPKcS1_S1_S1_S1_PKiPfP15HIP_vector_typeIfLj2EEffffjfiS5_IjLj3EEiiiiiiiiiiiliiliiiiil
	.p2align	8
	.type	_ZL15flash_attn_tileILi64ELi64ELi2ELi1ELb1EEvPKcS1_S1_S1_S1_PKiPfP15HIP_vector_typeIfLj2EEffffjfiS5_IjLj3EEiiiiiiiiiiiliiliiiiil,@function
_ZL15flash_attn_tileILi64ELi64ELi2ELi1ELb1EEvPKcS1_S1_S1_S1_PKiPfP15HIP_vector_typeIfLj2EEffffjfiS5_IjLj3EEiiiiiiiiiiiliiliiiiil: ; @_ZL15flash_attn_tileILi64ELi64ELi2ELi1ELb1EEvPKcS1_S1_S1_S1_PKiPfP15HIP_vector_typeIfLj2EEffffjfiS5_IjLj3EEiiiiiiiiiiiliiliiiiil
; %bb.0:
	s_add_u32 s0, s0, s7
	s_addc_u32 s1, s1, 0
	s_add_u32 s8, s4, 0xd0
	s_addc_u32 s9, s5, 0
	s_getpc_b64 s[4:5]
	s_add_u32 s4, s4, _ZL14no_device_codePKciS0_iS0_@rel32@lo+4
	s_addc_u32 s5, s5, _ZL14no_device_codePKciS0_iS0_@rel32@hi+12
	s_mov_b32 s32, 0
	s_swappc_b64 s[30:31], s[4:5]
	.section	.rodata,"a",@progbits
	.p2align	6, 0x0
	.amdhsa_kernel _ZL15flash_attn_tileILi64ELi64ELi2ELi1ELb1EEvPKcS1_S1_S1_S1_PKiPfP15HIP_vector_typeIfLj2EEffffjfiS5_IjLj3EEiiiiiiiiiiiliiliiiiil
		.amdhsa_group_segment_fixed_size 0
		.amdhsa_private_segment_fixed_size 16
		.amdhsa_kernarg_size 464
		.amdhsa_user_sgpr_count 6
		.amdhsa_user_sgpr_private_segment_buffer 1
		.amdhsa_user_sgpr_dispatch_ptr 0
		.amdhsa_user_sgpr_queue_ptr 0
		.amdhsa_user_sgpr_kernarg_segment_ptr 1
		.amdhsa_user_sgpr_dispatch_id 0
		.amdhsa_user_sgpr_flat_scratch_init 0
		.amdhsa_user_sgpr_private_segment_size 0
		.amdhsa_wavefront_size32 1
		.amdhsa_uses_dynamic_stack 0
		.amdhsa_system_sgpr_private_segment_wavefront_offset 1
		.amdhsa_system_sgpr_workgroup_id_x 1
		.amdhsa_system_sgpr_workgroup_id_y 0
		.amdhsa_system_sgpr_workgroup_id_z 0
		.amdhsa_system_sgpr_workgroup_info 0
		.amdhsa_system_vgpr_workitem_id 0
		.amdhsa_next_free_vgpr 40
		.amdhsa_next_free_sgpr 34
		.amdhsa_reserve_vcc 1
		.amdhsa_reserve_flat_scratch 0
		.amdhsa_float_round_mode_32 0
		.amdhsa_float_round_mode_16_64 0
		.amdhsa_float_denorm_mode_32 3
		.amdhsa_float_denorm_mode_16_64 3
		.amdhsa_dx10_clamp 1
		.amdhsa_ieee_mode 1
		.amdhsa_fp16_overflow 0
		.amdhsa_workgroup_processor_mode 1
		.amdhsa_memory_ordered 1
		.amdhsa_forward_progress 1
		.amdhsa_shared_vgpr_count 0
		.amdhsa_exception_fp_ieee_invalid_op 0
		.amdhsa_exception_fp_denorm_src 0
		.amdhsa_exception_fp_ieee_div_zero 0
		.amdhsa_exception_fp_ieee_overflow 0
		.amdhsa_exception_fp_ieee_underflow 0
		.amdhsa_exception_fp_ieee_inexact 0
		.amdhsa_exception_int_div_zero 0
	.end_amdhsa_kernel
	.section	.text._ZL15flash_attn_tileILi64ELi64ELi2ELi1ELb1EEvPKcS1_S1_S1_S1_PKiPfP15HIP_vector_typeIfLj2EEffffjfiS5_IjLj3EEiiiiiiiiiiiliiliiiiil,"axG",@progbits,_ZL15flash_attn_tileILi64ELi64ELi2ELi1ELb1EEvPKcS1_S1_S1_S1_PKiPfP15HIP_vector_typeIfLj2EEffffjfiS5_IjLj3EEiiiiiiiiiiiliiliiiiil,comdat
.Lfunc_end94:
	.size	_ZL15flash_attn_tileILi64ELi64ELi2ELi1ELb1EEvPKcS1_S1_S1_S1_PKiPfP15HIP_vector_typeIfLj2EEffffjfiS5_IjLj3EEiiiiiiiiiiiliiliiiiil, .Lfunc_end94-_ZL15flash_attn_tileILi64ELi64ELi2ELi1ELb1EEvPKcS1_S1_S1_S1_PKiPfP15HIP_vector_typeIfLj2EEffffjfiS5_IjLj3EEiiiiiiiiiiiliiliiiiil
                                        ; -- End function
	.set _ZL15flash_attn_tileILi64ELi64ELi2ELi1ELb1EEvPKcS1_S1_S1_S1_PKiPfP15HIP_vector_typeIfLj2EEffffjfiS5_IjLj3EEiiiiiiiiiiiliiliiiiil.num_vgpr, max(0, .L_ZL14no_device_codePKciS0_iS0_.num_vgpr)
	.set _ZL15flash_attn_tileILi64ELi64ELi2ELi1ELb1EEvPKcS1_S1_S1_S1_PKiPfP15HIP_vector_typeIfLj2EEffffjfiS5_IjLj3EEiiiiiiiiiiiliiliiiiil.num_agpr, max(0, .L_ZL14no_device_codePKciS0_iS0_.num_agpr)
	.set _ZL15flash_attn_tileILi64ELi64ELi2ELi1ELb1EEvPKcS1_S1_S1_S1_PKiPfP15HIP_vector_typeIfLj2EEffffjfiS5_IjLj3EEiiiiiiiiiiiliiliiiiil.numbered_sgpr, max(33, .L_ZL14no_device_codePKciS0_iS0_.numbered_sgpr)
	.set _ZL15flash_attn_tileILi64ELi64ELi2ELi1ELb1EEvPKcS1_S1_S1_S1_PKiPfP15HIP_vector_typeIfLj2EEffffjfiS5_IjLj3EEiiiiiiiiiiiliiliiiiil.num_named_barrier, max(0, .L_ZL14no_device_codePKciS0_iS0_.num_named_barrier)
	.set _ZL15flash_attn_tileILi64ELi64ELi2ELi1ELb1EEvPKcS1_S1_S1_S1_PKiPfP15HIP_vector_typeIfLj2EEffffjfiS5_IjLj3EEiiiiiiiiiiiliiliiiiil.private_seg_size, 0+max(.L_ZL14no_device_codePKciS0_iS0_.private_seg_size)
	.set _ZL15flash_attn_tileILi64ELi64ELi2ELi1ELb1EEvPKcS1_S1_S1_S1_PKiPfP15HIP_vector_typeIfLj2EEffffjfiS5_IjLj3EEiiiiiiiiiiiliiliiiiil.uses_vcc, or(1, .L_ZL14no_device_codePKciS0_iS0_.uses_vcc)
	.set _ZL15flash_attn_tileILi64ELi64ELi2ELi1ELb1EEvPKcS1_S1_S1_S1_PKiPfP15HIP_vector_typeIfLj2EEffffjfiS5_IjLj3EEiiiiiiiiiiiliiliiiiil.uses_flat_scratch, or(0, .L_ZL14no_device_codePKciS0_iS0_.uses_flat_scratch)
	.set _ZL15flash_attn_tileILi64ELi64ELi2ELi1ELb1EEvPKcS1_S1_S1_S1_PKiPfP15HIP_vector_typeIfLj2EEffffjfiS5_IjLj3EEiiiiiiiiiiiliiliiiiil.has_dyn_sized_stack, or(0, .L_ZL14no_device_codePKciS0_iS0_.has_dyn_sized_stack)
	.set _ZL15flash_attn_tileILi64ELi64ELi2ELi1ELb1EEvPKcS1_S1_S1_S1_PKiPfP15HIP_vector_typeIfLj2EEffffjfiS5_IjLj3EEiiiiiiiiiiiliiliiiiil.has_recursion, or(0, .L_ZL14no_device_codePKciS0_iS0_.has_recursion)
	.set _ZL15flash_attn_tileILi64ELi64ELi2ELi1ELb1EEvPKcS1_S1_S1_S1_PKiPfP15HIP_vector_typeIfLj2EEffffjfiS5_IjLj3EEiiiiiiiiiiiliiliiiiil.has_indirect_call, or(0, .L_ZL14no_device_codePKciS0_iS0_.has_indirect_call)
	.section	.AMDGPU.csdata,"",@progbits
; Kernel info:
; codeLenInByte = 48
; TotalNumSgprs: 36
; NumVgprs: 40
; ScratchSize: 16
; MemoryBound: 0
; FloatMode: 240
; IeeeMode: 1
; LDSByteSize: 0 bytes/workgroup (compile time only)
; SGPRBlocks: 0
; VGPRBlocks: 4
; NumSGPRsForWavesPerEU: 36
; NumVGPRsForWavesPerEU: 40
; Occupancy: 16
; WaveLimiterHint : 1
; COMPUTE_PGM_RSRC2:SCRATCH_EN: 1
; COMPUTE_PGM_RSRC2:USER_SGPR: 6
; COMPUTE_PGM_RSRC2:TRAP_HANDLER: 0
; COMPUTE_PGM_RSRC2:TGID_X_EN: 1
; COMPUTE_PGM_RSRC2:TGID_Y_EN: 0
; COMPUTE_PGM_RSRC2:TGID_Z_EN: 0
; COMPUTE_PGM_RSRC2:TIDIG_COMP_CNT: 0
	.text
	.p2alignl 6, 3214868480
	.fill 48, 4, 3214868480
	.section	.AMDGPU.gpr_maximums,"",@progbits
	.set amdgpu.max_num_vgpr, 40
	.set amdgpu.max_num_agpr, 0
	.set amdgpu.max_num_sgpr, 34
	.text
	.type	.str.3,@object                  ; @.str.3
	.section	.rodata.str1.1,"aMS",@progbits,1
.str.3:
	.asciz	"/root/src/amdgpu-assembly/repos/ggml-org__llama.cpp/ggml/src/ggml-cuda/template-instances/../fattn-tile.cuh"
	.size	.str.3, 108

	.type	__FUNCTION__._ZL15flash_attn_tileILi64ELi64ELi8ELi8ELb1EEvPKcS1_S1_S1_S1_PKiPfP15HIP_vector_typeIfLj2EEffffjfiS5_IjLj3EEiiiiiiiiiiiliiliiiiil,@object ; @__FUNCTION__._ZL15flash_attn_tileILi64ELi64ELi8ELi8ELb1EEvPKcS1_S1_S1_S1_PKiPfP15HIP_vector_typeIfLj2EEffffjfiS5_IjLj3EEiiiiiiiiiiiliiliiiiil
__FUNCTION__._ZL15flash_attn_tileILi64ELi64ELi8ELi8ELb1EEvPKcS1_S1_S1_S1_PKiPfP15HIP_vector_typeIfLj2EEffffjfiS5_IjLj3EEiiiiiiiiiiiliiliiiiil:
	.asciz	"flash_attn_tile"
	.size	__FUNCTION__._ZL15flash_attn_tileILi64ELi64ELi8ELi8ELb1EEvPKcS1_S1_S1_S1_PKiPfP15HIP_vector_typeIfLj2EEffffjfiS5_IjLj3EEiiiiiiiiiiiliiliiiiil, 16

	.type	.str.5,@object                  ; @.str.5
.str.5:
	.asciz	"%s:%d: ERROR: HIP kernel %s has no device code compatible with HIP arch %d.\n"
	.size	.str.5, 77

	.type	__hip_cuid_43bb2c7c77ed35a7,@object ; @__hip_cuid_43bb2c7c77ed35a7
	.section	.bss,"aw",@nobits
	.globl	__hip_cuid_43bb2c7c77ed35a7
__hip_cuid_43bb2c7c77ed35a7:
	.byte	0                               ; 0x0
	.size	__hip_cuid_43bb2c7c77ed35a7, 1

	.ident	"AMD clang version 22.0.0git (https://github.com/RadeonOpenCompute/llvm-project roc-7.2.4 26084 f58b06dce1f9c15707c5f808fd002e18c2accf7e)"
	.section	".note.GNU-stack","",@progbits
	.addrsig
	.addrsig_sym __hip_cuid_43bb2c7c77ed35a7
	.amdgpu_metadata
---
amdhsa.kernels:
  - .args:
      - .address_space:  global
        .offset:         0
        .size:           8
        .value_kind:     global_buffer
      - .address_space:  global
        .offset:         8
        .size:           8
        .value_kind:     global_buffer
      - .address_space:  global
        .offset:         16
        .size:           8
        .value_kind:     global_buffer
      - .address_space:  global
        .offset:         24
        .size:           8
        .value_kind:     global_buffer
      - .address_space:  global
        .offset:         32
        .size:           8
        .value_kind:     global_buffer
      - .address_space:  global
        .offset:         40
        .size:           8
        .value_kind:     global_buffer
      - .address_space:  global
        .offset:         48
        .size:           8
        .value_kind:     global_buffer
      - .address_space:  global
        .offset:         56
        .size:           8
        .value_kind:     global_buffer
      - .offset:         64
        .size:           4
        .value_kind:     by_value
      - .offset:         68
        .size:           4
        .value_kind:     by_value
      - .offset:         72
        .size:           4
        .value_kind:     by_value
      - .offset:         76
        .size:           4
        .value_kind:     by_value
      - .offset:         80
        .size:           4
        .value_kind:     by_value
      - .offset:         84
        .size:           4
        .value_kind:     by_value
      - .offset:         88
        .size:           4
        .value_kind:     by_value
      - .offset:         92
        .size:           12
        .value_kind:     by_value
      - .offset:         104
        .size:           4
        .value_kind:     by_value
      - .offset:         108
        .size:           4
        .value_kind:     by_value
      - .offset:         112
        .size:           4
        .value_kind:     by_value
      - .offset:         116
        .size:           4
        .value_kind:     by_value
      - .offset:         120
        .size:           4
        .value_kind:     by_value
      - .offset:         124
        .size:           4
        .value_kind:     by_value
      - .offset:         128
        .size:           4
        .value_kind:     by_value
      - .offset:         132
        .size:           4
        .value_kind:     by_value
      - .offset:         136
        .size:           4
        .value_kind:     by_value
      - .offset:         140
        .size:           4
        .value_kind:     by_value
      - .offset:         144
        .size:           4
        .value_kind:     by_value
      - .offset:         152
        .size:           8
        .value_kind:     by_value
      - .offset:         160
        .size:           4
        .value_kind:     by_value
      - .offset:         164
        .size:           4
        .value_kind:     by_value
      - .offset:         168
        .size:           8
        .value_kind:     by_value
      - .offset:         176
        .size:           4
        .value_kind:     by_value
      - .offset:         180
        .size:           4
        .value_kind:     by_value
      - .offset:         184
        .size:           4
        .value_kind:     by_value
      - .offset:         188
        .size:           4
        .value_kind:     by_value
      - .offset:         192
        .size:           4
        .value_kind:     by_value
      - .offset:         200
        .size:           8
        .value_kind:     by_value
      - .offset:         208
        .size:           4
        .value_kind:     hidden_block_count_x
      - .offset:         212
        .size:           4
        .value_kind:     hidden_block_count_y
      - .offset:         216
        .size:           4
        .value_kind:     hidden_block_count_z
      - .offset:         220
        .size:           2
        .value_kind:     hidden_group_size_x
      - .offset:         222
        .size:           2
        .value_kind:     hidden_group_size_y
      - .offset:         224
        .size:           2
        .value_kind:     hidden_group_size_z
      - .offset:         226
        .size:           2
        .value_kind:     hidden_remainder_x
      - .offset:         228
        .size:           2
        .value_kind:     hidden_remainder_y
      - .offset:         230
        .size:           2
        .value_kind:     hidden_remainder_z
      - .offset:         248
        .size:           8
        .value_kind:     hidden_global_offset_x
      - .offset:         256
        .size:           8
        .value_kind:     hidden_global_offset_y
      - .offset:         264
        .size:           8
        .value_kind:     hidden_global_offset_z
      - .offset:         272
        .size:           2
        .value_kind:     hidden_grid_dims
    .group_segment_fixed_size: 25600
    .kernarg_segment_align: 8
    .kernarg_segment_size: 464
    .language:       OpenCL C
    .language_version:
      - 2
      - 0
    .max_flat_workgroup_size: 128
    .name:           _ZL15flash_attn_tileILi64ELi64ELi8ELi8ELb0EEvPKcS1_S1_S1_S1_PKiPfP15HIP_vector_typeIfLj2EEffffjfiS5_IjLj3EEiiiiiiiiiiiliiliiiiil
    .private_segment_fixed_size: 108
    .sgpr_count:     58
    .sgpr_spill_count: 0
    .symbol:         _ZL15flash_attn_tileILi64ELi64ELi8ELi8ELb0EEvPKcS1_S1_S1_S1_PKiPfP15HIP_vector_typeIfLj2EEffffjfiS5_IjLj3EEiiiiiiiiiiiliiliiiiil.kd
    .uniform_work_group_size: 1
    .uses_dynamic_stack: false
    .vgpr_count:     192
    .vgpr_spill_count: 26
    .wavefront_size: 32
    .workgroup_processor_mode: 1
  - .args:
      - .actual_access:  read_only
        .address_space:  global
        .offset:         0
        .size:           8
        .value_kind:     global_buffer
      - .actual_access:  write_only
        .address_space:  global
        .offset:         8
        .size:           8
        .value_kind:     global_buffer
      - .offset:         16
        .size:           4
        .value_kind:     by_value
      - .offset:         20
        .size:           4
        .value_kind:     by_value
      - .offset:         24
        .size:           4
        .value_kind:     by_value
      - .offset:         32
        .size:           4
        .value_kind:     hidden_block_count_x
      - .offset:         36
        .size:           4
        .value_kind:     hidden_block_count_y
      - .offset:         40
        .size:           4
        .value_kind:     hidden_block_count_z
      - .offset:         44
        .size:           2
        .value_kind:     hidden_group_size_x
      - .offset:         46
        .size:           2
        .value_kind:     hidden_group_size_y
      - .offset:         48
        .size:           2
        .value_kind:     hidden_group_size_z
      - .offset:         50
        .size:           2
        .value_kind:     hidden_remainder_x
      - .offset:         52
        .size:           2
        .value_kind:     hidden_remainder_y
      - .offset:         54
        .size:           2
        .value_kind:     hidden_remainder_z
      - .offset:         72
        .size:           8
        .value_kind:     hidden_global_offset_x
      - .offset:         80
        .size:           8
        .value_kind:     hidden_global_offset_y
      - .offset:         88
        .size:           8
        .value_kind:     hidden_global_offset_z
      - .offset:         96
        .size:           2
        .value_kind:     hidden_grid_dims
    .group_segment_fixed_size: 128
    .kernarg_segment_align: 8
    .kernarg_segment_size: 288
    .language:       OpenCL C
    .language_version:
      - 2
      - 0
    .max_flat_workgroup_size: 128
    .name:           _ZL25flash_attn_mask_to_KV_maxILi8EEvPK7__half2Piiii
    .private_segment_fixed_size: 0
    .sgpr_count:     29
    .sgpr_spill_count: 0
    .symbol:         _ZL25flash_attn_mask_to_KV_maxILi8EEvPK7__half2Piiii.kd
    .uniform_work_group_size: 1
    .uses_dynamic_stack: false
    .vgpr_count:     10
    .vgpr_spill_count: 0
    .wavefront_size: 32
    .workgroup_processor_mode: 1
  - .args:
      - .address_space:  global
        .offset:         0
        .size:           8
        .value_kind:     global_buffer
      - .address_space:  global
        .offset:         8
        .size:           8
        .value_kind:     global_buffer
      - .offset:         16
        .size:           4
        .value_kind:     by_value
      - .offset:         20
        .size:           4
        .value_kind:     by_value
      - .offset:         24
        .size:           4
        .value_kind:     by_value
      - .offset:         28
        .size:           4
        .value_kind:     by_value
      - .offset:         32
        .size:           4
        .value_kind:     by_value
      - .offset:         36
        .size:           4
        .value_kind:     by_value
      - .offset:         40
        .size:           12
        .value_kind:     by_value
      - .offset:         52
        .size:           12
        .value_kind:     by_value
      - .offset:         64
        .size:           12
        .value_kind:     by_value
    .group_segment_fixed_size: 0
    .kernarg_segment_align: 8
    .kernarg_segment_size: 76
    .language:       OpenCL C
    .language_version:
      - 2
      - 0
    .max_flat_workgroup_size: 64
    .name:           _ZL33flash_attn_stream_k_fixup_uniformILi64ELi8ELi8EEvPfPK15HIP_vector_typeIfLj2EEiiiiiiS1_IjLj3EES5_S5_
    .private_segment_fixed_size: 0
    .sgpr_count:     26
    .sgpr_spill_count: 0
    .symbol:         _ZL33flash_attn_stream_k_fixup_uniformILi64ELi8ELi8EEvPfPK15HIP_vector_typeIfLj2EEiiiiiiS1_IjLj3EES5_S5_.kd
    .uniform_work_group_size: 1
    .uses_dynamic_stack: false
    .vgpr_count:     15
    .vgpr_spill_count: 0
    .wavefront_size: 32
    .workgroup_processor_mode: 1
  - .args:
      - .address_space:  global
        .offset:         0
        .size:           8
        .value_kind:     global_buffer
      - .address_space:  global
        .offset:         8
        .size:           8
        .value_kind:     global_buffer
      - .offset:         16
        .size:           4
        .value_kind:     by_value
      - .offset:         20
        .size:           4
        .value_kind:     by_value
      - .offset:         24
        .size:           4
        .value_kind:     by_value
      - .offset:         28
        .size:           4
        .value_kind:     by_value
      - .offset:         32
        .size:           12
        .value_kind:     by_value
      - .offset:         44
        .size:           12
        .value_kind:     by_value
      - .offset:         56
        .size:           12
        .value_kind:     by_value
      - .offset:         68
        .size:           12
        .value_kind:     by_value
      - .offset:         80
        .size:           4
        .value_kind:     hidden_block_count_x
      - .offset:         84
        .size:           4
        .value_kind:     hidden_block_count_y
      - .offset:         88
        .size:           4
        .value_kind:     hidden_block_count_z
      - .offset:         92
        .size:           2
        .value_kind:     hidden_group_size_x
      - .offset:         94
        .size:           2
        .value_kind:     hidden_group_size_y
      - .offset:         96
        .size:           2
        .value_kind:     hidden_group_size_z
      - .offset:         98
        .size:           2
        .value_kind:     hidden_remainder_x
      - .offset:         100
        .size:           2
        .value_kind:     hidden_remainder_y
      - .offset:         102
        .size:           2
        .value_kind:     hidden_remainder_z
      - .offset:         120
        .size:           8
        .value_kind:     hidden_global_offset_x
      - .offset:         128
        .size:           8
        .value_kind:     hidden_global_offset_y
      - .offset:         136
        .size:           8
        .value_kind:     hidden_global_offset_z
      - .offset:         144
        .size:           2
        .value_kind:     hidden_grid_dims
    .group_segment_fixed_size: 0
    .kernarg_segment_align: 8
    .kernarg_segment_size: 336
    .language:       OpenCL C
    .language_version:
      - 2
      - 0
    .max_flat_workgroup_size: 64
    .name:           _ZL33flash_attn_stream_k_fixup_generalILi64ELi8ELi8EEvPfPK15HIP_vector_typeIfLj2EEiiiiS1_IjLj3EES5_S5_S5_
    .private_segment_fixed_size: 0
    .sgpr_count:     33
    .sgpr_spill_count: 0
    .symbol:         _ZL33flash_attn_stream_k_fixup_generalILi64ELi8ELi8EEvPfPK15HIP_vector_typeIfLj2EEiiiiS1_IjLj3EES5_S5_S5_.kd
    .uniform_work_group_size: 1
    .uses_dynamic_stack: false
    .vgpr_count:     17
    .vgpr_spill_count: 0
    .wavefront_size: 32
    .workgroup_processor_mode: 1
  - .args:
      - .address_space:  global
        .offset:         0
        .size:           8
        .value_kind:     global_buffer
      - .address_space:  global
        .offset:         8
        .size:           8
        .value_kind:     global_buffer
      - .address_space:  global
        .offset:         16
        .size:           8
        .value_kind:     global_buffer
      - .offset:         24
        .size:           4
        .value_kind:     by_value
      - .offset:         32
        .size:           4
        .value_kind:     hidden_block_count_x
      - .offset:         36
        .size:           4
        .value_kind:     hidden_block_count_y
      - .offset:         40
        .size:           4
        .value_kind:     hidden_block_count_z
      - .offset:         44
        .size:           2
        .value_kind:     hidden_group_size_x
      - .offset:         46
        .size:           2
        .value_kind:     hidden_group_size_y
      - .offset:         48
        .size:           2
        .value_kind:     hidden_group_size_z
      - .offset:         50
        .size:           2
        .value_kind:     hidden_remainder_x
      - .offset:         52
        .size:           2
        .value_kind:     hidden_remainder_y
      - .offset:         54
        .size:           2
        .value_kind:     hidden_remainder_z
      - .offset:         72
        .size:           8
        .value_kind:     hidden_global_offset_x
      - .offset:         80
        .size:           8
        .value_kind:     hidden_global_offset_y
      - .offset:         88
        .size:           8
        .value_kind:     hidden_global_offset_z
      - .offset:         96
        .size:           2
        .value_kind:     hidden_grid_dims
      - .offset:         152
        .size:           4
        .value_kind:     hidden_dynamic_lds_size
    .group_segment_fixed_size: 0
    .kernarg_segment_align: 8
    .kernarg_segment_size: 288
    .language:       OpenCL C
    .language_version:
      - 2
      - 0
    .max_flat_workgroup_size: 64
    .name:           _ZL26flash_attn_combine_resultsILi64EEvPKfPK15HIP_vector_typeIfLj2EEPfi
    .private_segment_fixed_size: 0
    .sgpr_count:     20
    .sgpr_spill_count: 0
    .symbol:         _ZL26flash_attn_combine_resultsILi64EEvPKfPK15HIP_vector_typeIfLj2EEPfi.kd
    .uniform_work_group_size: 1
    .uses_dynamic_stack: false
    .vgpr_count:     52
    .vgpr_spill_count: 0
    .wavefront_size: 32
    .workgroup_processor_mode: 1
  - .args:
      - .address_space:  global
        .offset:         0
        .size:           8
        .value_kind:     global_buffer
      - .address_space:  global
        .offset:         8
        .size:           8
        .value_kind:     global_buffer
      - .address_space:  global
        .offset:         16
        .size:           8
        .value_kind:     global_buffer
      - .address_space:  global
        .offset:         24
        .size:           8
        .value_kind:     global_buffer
      - .address_space:  global
        .offset:         32
        .size:           8
        .value_kind:     global_buffer
      - .address_space:  global
        .offset:         40
        .size:           8
        .value_kind:     global_buffer
      - .address_space:  global
        .offset:         48
        .size:           8
        .value_kind:     global_buffer
      - .address_space:  global
        .offset:         56
        .size:           8
        .value_kind:     global_buffer
      - .offset:         64
        .size:           4
        .value_kind:     by_value
      - .offset:         68
        .size:           4
        .value_kind:     by_value
      - .offset:         72
        .size:           4
        .value_kind:     by_value
      - .offset:         76
        .size:           4
        .value_kind:     by_value
      - .offset:         80
        .size:           4
        .value_kind:     by_value
      - .offset:         84
        .size:           4
        .value_kind:     by_value
      - .offset:         88
        .size:           4
        .value_kind:     by_value
      - .offset:         92
        .size:           12
        .value_kind:     by_value
      - .offset:         104
        .size:           4
        .value_kind:     by_value
      - .offset:         108
        .size:           4
        .value_kind:     by_value
      - .offset:         112
        .size:           4
        .value_kind:     by_value
      - .offset:         116
        .size:           4
        .value_kind:     by_value
      - .offset:         120
        .size:           4
        .value_kind:     by_value
      - .offset:         124
        .size:           4
        .value_kind:     by_value
      - .offset:         128
        .size:           4
        .value_kind:     by_value
      - .offset:         132
        .size:           4
        .value_kind:     by_value
      - .offset:         136
        .size:           4
        .value_kind:     by_value
      - .offset:         140
        .size:           4
        .value_kind:     by_value
      - .offset:         144
        .size:           4
        .value_kind:     by_value
      - .offset:         152
        .size:           8
        .value_kind:     by_value
      - .offset:         160
        .size:           4
        .value_kind:     by_value
      - .offset:         164
        .size:           4
        .value_kind:     by_value
      - .offset:         168
        .size:           8
        .value_kind:     by_value
      - .offset:         176
        .size:           4
        .value_kind:     by_value
      - .offset:         180
        .size:           4
        .value_kind:     by_value
      - .offset:         184
        .size:           4
        .value_kind:     by_value
      - .offset:         188
        .size:           4
        .value_kind:     by_value
      - .offset:         192
        .size:           4
        .value_kind:     by_value
      - .offset:         200
        .size:           8
        .value_kind:     by_value
      - .offset:         208
        .size:           4
        .value_kind:     hidden_block_count_x
      - .offset:         212
        .size:           4
        .value_kind:     hidden_block_count_y
      - .offset:         216
        .size:           4
        .value_kind:     hidden_block_count_z
      - .offset:         220
        .size:           2
        .value_kind:     hidden_group_size_x
      - .offset:         222
        .size:           2
        .value_kind:     hidden_group_size_y
      - .offset:         224
        .size:           2
        .value_kind:     hidden_group_size_z
      - .offset:         226
        .size:           2
        .value_kind:     hidden_remainder_x
      - .offset:         228
        .size:           2
        .value_kind:     hidden_remainder_y
      - .offset:         230
        .size:           2
        .value_kind:     hidden_remainder_z
      - .offset:         248
        .size:           8
        .value_kind:     hidden_global_offset_x
      - .offset:         256
        .size:           8
        .value_kind:     hidden_global_offset_y
      - .offset:         264
        .size:           8
        .value_kind:     hidden_global_offset_z
      - .offset:         272
        .size:           2
        .value_kind:     hidden_grid_dims
    .group_segment_fixed_size: 17408
    .kernarg_segment_align: 8
    .kernarg_segment_size: 464
    .language:       OpenCL C
    .language_version:
      - 2
      - 0
    .max_flat_workgroup_size: 128
    .name:           _ZL15flash_attn_tileILi64ELi64ELi4ELi8ELb0EEvPKcS1_S1_S1_S1_PKiPfP15HIP_vector_typeIfLj2EEffffjfiS5_IjLj3EEiiiiiiiiiiiliiliiiiil
    .private_segment_fixed_size: 0
    .sgpr_count:     42
    .sgpr_spill_count: 0
    .symbol:         _ZL15flash_attn_tileILi64ELi64ELi4ELi8ELb0EEvPKcS1_S1_S1_S1_PKiPfP15HIP_vector_typeIfLj2EEffffjfiS5_IjLj3EEiiiiiiiiiiiliiliiiiil.kd
    .uniform_work_group_size: 1
    .uses_dynamic_stack: false
    .vgpr_count:     128
    .vgpr_spill_count: 0
    .wavefront_size: 32
    .workgroup_processor_mode: 1
  - .args:
      - .actual_access:  read_only
        .address_space:  global
        .offset:         0
        .size:           8
        .value_kind:     global_buffer
      - .actual_access:  write_only
        .address_space:  global
        .offset:         8
        .size:           8
        .value_kind:     global_buffer
      - .offset:         16
        .size:           4
        .value_kind:     by_value
      - .offset:         20
        .size:           4
        .value_kind:     by_value
      - .offset:         24
        .size:           4
        .value_kind:     by_value
      - .offset:         32
        .size:           4
        .value_kind:     hidden_block_count_x
      - .offset:         36
        .size:           4
        .value_kind:     hidden_block_count_y
      - .offset:         40
        .size:           4
        .value_kind:     hidden_block_count_z
      - .offset:         44
        .size:           2
        .value_kind:     hidden_group_size_x
      - .offset:         46
        .size:           2
        .value_kind:     hidden_group_size_y
      - .offset:         48
        .size:           2
        .value_kind:     hidden_group_size_z
      - .offset:         50
        .size:           2
        .value_kind:     hidden_remainder_x
      - .offset:         52
        .size:           2
        .value_kind:     hidden_remainder_y
      - .offset:         54
        .size:           2
        .value_kind:     hidden_remainder_z
      - .offset:         72
        .size:           8
        .value_kind:     hidden_global_offset_x
      - .offset:         80
        .size:           8
        .value_kind:     hidden_global_offset_y
      - .offset:         88
        .size:           8
        .value_kind:     hidden_global_offset_z
      - .offset:         96
        .size:           2
        .value_kind:     hidden_grid_dims
    .group_segment_fixed_size: 128
    .kernarg_segment_align: 8
    .kernarg_segment_size: 288
    .language:       OpenCL C
    .language_version:
      - 2
      - 0
    .max_flat_workgroup_size: 128
    .name:           _ZL25flash_attn_mask_to_KV_maxILi4EEvPK7__half2Piiii
    .private_segment_fixed_size: 0
    .sgpr_count:     21
    .sgpr_spill_count: 0
    .symbol:         _ZL25flash_attn_mask_to_KV_maxILi4EEvPK7__half2Piiii.kd
    .uniform_work_group_size: 1
    .uses_dynamic_stack: false
    .vgpr_count:     10
    .vgpr_spill_count: 0
    .wavefront_size: 32
    .workgroup_processor_mode: 1
  - .args:
      - .address_space:  global
        .offset:         0
        .size:           8
        .value_kind:     global_buffer
      - .address_space:  global
        .offset:         8
        .size:           8
        .value_kind:     global_buffer
      - .offset:         16
        .size:           4
        .value_kind:     by_value
      - .offset:         20
        .size:           4
        .value_kind:     by_value
      - .offset:         24
        .size:           4
        .value_kind:     by_value
      - .offset:         28
        .size:           4
        .value_kind:     by_value
      - .offset:         32
        .size:           4
        .value_kind:     by_value
      - .offset:         36
        .size:           4
        .value_kind:     by_value
      - .offset:         40
        .size:           12
        .value_kind:     by_value
      - .offset:         52
        .size:           12
        .value_kind:     by_value
      - .offset:         64
        .size:           12
        .value_kind:     by_value
    .group_segment_fixed_size: 0
    .kernarg_segment_align: 8
    .kernarg_segment_size: 76
    .language:       OpenCL C
    .language_version:
      - 2
      - 0
    .max_flat_workgroup_size: 64
    .name:           _ZL33flash_attn_stream_k_fixup_uniformILi64ELi4ELi8EEvPfPK15HIP_vector_typeIfLj2EEiiiiiiS1_IjLj3EES5_S5_
    .private_segment_fixed_size: 0
    .sgpr_count:     26
    .sgpr_spill_count: 0
    .symbol:         _ZL33flash_attn_stream_k_fixup_uniformILi64ELi4ELi8EEvPfPK15HIP_vector_typeIfLj2EEiiiiiiS1_IjLj3EES5_S5_.kd
    .uniform_work_group_size: 1
    .uses_dynamic_stack: false
    .vgpr_count:     15
    .vgpr_spill_count: 0
    .wavefront_size: 32
    .workgroup_processor_mode: 1
  - .args:
      - .address_space:  global
        .offset:         0
        .size:           8
        .value_kind:     global_buffer
      - .address_space:  global
        .offset:         8
        .size:           8
        .value_kind:     global_buffer
      - .offset:         16
        .size:           4
        .value_kind:     by_value
      - .offset:         20
        .size:           4
        .value_kind:     by_value
      - .offset:         24
        .size:           4
        .value_kind:     by_value
      - .offset:         28
        .size:           4
        .value_kind:     by_value
      - .offset:         32
        .size:           12
        .value_kind:     by_value
      - .offset:         44
        .size:           12
        .value_kind:     by_value
      - .offset:         56
        .size:           12
        .value_kind:     by_value
      - .offset:         68
        .size:           12
        .value_kind:     by_value
      - .offset:         80
        .size:           4
        .value_kind:     hidden_block_count_x
      - .offset:         84
        .size:           4
        .value_kind:     hidden_block_count_y
      - .offset:         88
        .size:           4
        .value_kind:     hidden_block_count_z
      - .offset:         92
        .size:           2
        .value_kind:     hidden_group_size_x
      - .offset:         94
        .size:           2
        .value_kind:     hidden_group_size_y
      - .offset:         96
        .size:           2
        .value_kind:     hidden_group_size_z
      - .offset:         98
        .size:           2
        .value_kind:     hidden_remainder_x
      - .offset:         100
        .size:           2
        .value_kind:     hidden_remainder_y
      - .offset:         102
        .size:           2
        .value_kind:     hidden_remainder_z
      - .offset:         120
        .size:           8
        .value_kind:     hidden_global_offset_x
      - .offset:         128
        .size:           8
        .value_kind:     hidden_global_offset_y
      - .offset:         136
        .size:           8
        .value_kind:     hidden_global_offset_z
      - .offset:         144
        .size:           2
        .value_kind:     hidden_grid_dims
    .group_segment_fixed_size: 0
    .kernarg_segment_align: 8
    .kernarg_segment_size: 336
    .language:       OpenCL C
    .language_version:
      - 2
      - 0
    .max_flat_workgroup_size: 64
    .name:           _ZL33flash_attn_stream_k_fixup_generalILi64ELi4ELi8EEvPfPK15HIP_vector_typeIfLj2EEiiiiS1_IjLj3EES5_S5_S5_
    .private_segment_fixed_size: 0
    .sgpr_count:     33
    .sgpr_spill_count: 0
    .symbol:         _ZL33flash_attn_stream_k_fixup_generalILi64ELi4ELi8EEvPfPK15HIP_vector_typeIfLj2EEiiiiS1_IjLj3EES5_S5_S5_.kd
    .uniform_work_group_size: 1
    .uses_dynamic_stack: false
    .vgpr_count:     17
    .vgpr_spill_count: 0
    .wavefront_size: 32
    .workgroup_processor_mode: 1
  - .args:
      - .address_space:  global
        .offset:         0
        .size:           8
        .value_kind:     global_buffer
      - .address_space:  global
        .offset:         8
        .size:           8
        .value_kind:     global_buffer
      - .address_space:  global
        .offset:         16
        .size:           8
        .value_kind:     global_buffer
      - .address_space:  global
        .offset:         24
        .size:           8
        .value_kind:     global_buffer
      - .address_space:  global
        .offset:         32
        .size:           8
        .value_kind:     global_buffer
      - .address_space:  global
        .offset:         40
        .size:           8
        .value_kind:     global_buffer
      - .address_space:  global
        .offset:         48
        .size:           8
        .value_kind:     global_buffer
      - .address_space:  global
        .offset:         56
        .size:           8
        .value_kind:     global_buffer
      - .offset:         64
        .size:           4
        .value_kind:     by_value
      - .offset:         68
        .size:           4
        .value_kind:     by_value
      - .offset:         72
        .size:           4
        .value_kind:     by_value
      - .offset:         76
        .size:           4
        .value_kind:     by_value
      - .offset:         80
        .size:           4
        .value_kind:     by_value
      - .offset:         84
        .size:           4
        .value_kind:     by_value
      - .offset:         88
        .size:           4
        .value_kind:     by_value
      - .offset:         92
        .size:           12
        .value_kind:     by_value
      - .offset:         104
        .size:           4
        .value_kind:     by_value
      - .offset:         108
        .size:           4
        .value_kind:     by_value
      - .offset:         112
        .size:           4
        .value_kind:     by_value
      - .offset:         116
        .size:           4
        .value_kind:     by_value
      - .offset:         120
        .size:           4
        .value_kind:     by_value
      - .offset:         124
        .size:           4
        .value_kind:     by_value
      - .offset:         128
        .size:           4
        .value_kind:     by_value
      - .offset:         132
        .size:           4
        .value_kind:     by_value
      - .offset:         136
        .size:           4
        .value_kind:     by_value
      - .offset:         140
        .size:           4
        .value_kind:     by_value
      - .offset:         144
        .size:           4
        .value_kind:     by_value
      - .offset:         152
        .size:           8
        .value_kind:     by_value
      - .offset:         160
        .size:           4
        .value_kind:     by_value
      - .offset:         164
        .size:           4
        .value_kind:     by_value
      - .offset:         168
        .size:           8
        .value_kind:     by_value
      - .offset:         176
        .size:           4
        .value_kind:     by_value
      - .offset:         180
        .size:           4
        .value_kind:     by_value
      - .offset:         184
        .size:           4
        .value_kind:     by_value
      - .offset:         188
        .size:           4
        .value_kind:     by_value
      - .offset:         192
        .size:           4
        .value_kind:     by_value
      - .offset:         200
        .size:           8
        .value_kind:     by_value
      - .offset:         208
        .size:           4
        .value_kind:     hidden_block_count_x
      - .offset:         212
        .size:           4
        .value_kind:     hidden_block_count_y
      - .offset:         216
        .size:           4
        .value_kind:     hidden_block_count_z
      - .offset:         220
        .size:           2
        .value_kind:     hidden_group_size_x
      - .offset:         222
        .size:           2
        .value_kind:     hidden_group_size_y
      - .offset:         224
        .size:           2
        .value_kind:     hidden_group_size_z
      - .offset:         226
        .size:           2
        .value_kind:     hidden_remainder_x
      - .offset:         228
        .size:           2
        .value_kind:     hidden_remainder_y
      - .offset:         230
        .size:           2
        .value_kind:     hidden_remainder_z
      - .offset:         248
        .size:           8
        .value_kind:     hidden_global_offset_x
      - .offset:         256
        .size:           8
        .value_kind:     hidden_global_offset_y
      - .offset:         264
        .size:           8
        .value_kind:     hidden_global_offset_z
      - .offset:         272
        .size:           2
        .value_kind:     hidden_grid_dims
    .group_segment_fixed_size: 24576
    .kernarg_segment_align: 8
    .kernarg_segment_size: 464
    .language:       OpenCL C
    .language_version:
      - 2
      - 0
    .max_flat_workgroup_size: 128
    .name:           _ZL15flash_attn_tileILi64ELi64ELi2ELi8ELb0EEvPKcS1_S1_S1_S1_PKiPfP15HIP_vector_typeIfLj2EEffffjfiS5_IjLj3EEiiiiiiiiiiiliiliiiiil
    .private_segment_fixed_size: 0
    .sgpr_count:     42
    .sgpr_spill_count: 0
    .symbol:         _ZL15flash_attn_tileILi64ELi64ELi2ELi8ELb0EEvPKcS1_S1_S1_S1_PKiPfP15HIP_vector_typeIfLj2EEffffjfiS5_IjLj3EEiiiiiiiiiiiliiliiiiil.kd
    .uniform_work_group_size: 1
    .uses_dynamic_stack: false
    .vgpr_count:     147
    .vgpr_spill_count: 0
    .wavefront_size: 32
    .workgroup_processor_mode: 1
  - .args:
      - .actual_access:  read_only
        .address_space:  global
        .offset:         0
        .size:           8
        .value_kind:     global_buffer
      - .actual_access:  write_only
        .address_space:  global
        .offset:         8
        .size:           8
        .value_kind:     global_buffer
      - .offset:         16
        .size:           4
        .value_kind:     by_value
      - .offset:         20
        .size:           4
        .value_kind:     by_value
      - .offset:         24
        .size:           4
        .value_kind:     by_value
      - .offset:         32
        .size:           4
        .value_kind:     hidden_block_count_x
      - .offset:         36
        .size:           4
        .value_kind:     hidden_block_count_y
      - .offset:         40
        .size:           4
        .value_kind:     hidden_block_count_z
      - .offset:         44
        .size:           2
        .value_kind:     hidden_group_size_x
      - .offset:         46
        .size:           2
        .value_kind:     hidden_group_size_y
      - .offset:         48
        .size:           2
        .value_kind:     hidden_group_size_z
      - .offset:         50
        .size:           2
        .value_kind:     hidden_remainder_x
      - .offset:         52
        .size:           2
        .value_kind:     hidden_remainder_y
      - .offset:         54
        .size:           2
        .value_kind:     hidden_remainder_z
      - .offset:         72
        .size:           8
        .value_kind:     hidden_global_offset_x
      - .offset:         80
        .size:           8
        .value_kind:     hidden_global_offset_y
      - .offset:         88
        .size:           8
        .value_kind:     hidden_global_offset_z
      - .offset:         96
        .size:           2
        .value_kind:     hidden_grid_dims
    .group_segment_fixed_size: 128
    .kernarg_segment_align: 8
    .kernarg_segment_size: 288
    .language:       OpenCL C
    .language_version:
      - 2
      - 0
    .max_flat_workgroup_size: 128
    .name:           _ZL25flash_attn_mask_to_KV_maxILi2EEvPK7__half2Piiii
    .private_segment_fixed_size: 0
    .sgpr_count:     18
    .sgpr_spill_count: 0
    .symbol:         _ZL25flash_attn_mask_to_KV_maxILi2EEvPK7__half2Piiii.kd
    .uniform_work_group_size: 1
    .uses_dynamic_stack: false
    .vgpr_count:     8
    .vgpr_spill_count: 0
    .wavefront_size: 32
    .workgroup_processor_mode: 1
  - .args:
      - .address_space:  global
        .offset:         0
        .size:           8
        .value_kind:     global_buffer
      - .address_space:  global
        .offset:         8
        .size:           8
        .value_kind:     global_buffer
      - .offset:         16
        .size:           4
        .value_kind:     by_value
      - .offset:         20
        .size:           4
        .value_kind:     by_value
      - .offset:         24
        .size:           4
        .value_kind:     by_value
      - .offset:         28
        .size:           4
        .value_kind:     by_value
      - .offset:         32
        .size:           4
        .value_kind:     by_value
      - .offset:         36
        .size:           4
        .value_kind:     by_value
      - .offset:         40
        .size:           12
        .value_kind:     by_value
      - .offset:         52
        .size:           12
        .value_kind:     by_value
      - .offset:         64
        .size:           12
        .value_kind:     by_value
    .group_segment_fixed_size: 0
    .kernarg_segment_align: 8
    .kernarg_segment_size: 76
    .language:       OpenCL C
    .language_version:
      - 2
      - 0
    .max_flat_workgroup_size: 64
    .name:           _ZL33flash_attn_stream_k_fixup_uniformILi64ELi2ELi8EEvPfPK15HIP_vector_typeIfLj2EEiiiiiiS1_IjLj3EES5_S5_
    .private_segment_fixed_size: 0
    .sgpr_count:     26
    .sgpr_spill_count: 0
    .symbol:         _ZL33flash_attn_stream_k_fixup_uniformILi64ELi2ELi8EEvPfPK15HIP_vector_typeIfLj2EEiiiiiiS1_IjLj3EES5_S5_.kd
    .uniform_work_group_size: 1
    .uses_dynamic_stack: false
    .vgpr_count:     15
    .vgpr_spill_count: 0
    .wavefront_size: 32
    .workgroup_processor_mode: 1
  - .args:
      - .address_space:  global
        .offset:         0
        .size:           8
        .value_kind:     global_buffer
      - .address_space:  global
        .offset:         8
        .size:           8
        .value_kind:     global_buffer
      - .offset:         16
        .size:           4
        .value_kind:     by_value
      - .offset:         20
        .size:           4
        .value_kind:     by_value
      - .offset:         24
        .size:           4
        .value_kind:     by_value
      - .offset:         28
        .size:           4
        .value_kind:     by_value
      - .offset:         32
        .size:           12
        .value_kind:     by_value
      - .offset:         44
        .size:           12
        .value_kind:     by_value
      - .offset:         56
        .size:           12
        .value_kind:     by_value
      - .offset:         68
        .size:           12
        .value_kind:     by_value
      - .offset:         80
        .size:           4
        .value_kind:     hidden_block_count_x
      - .offset:         84
        .size:           4
        .value_kind:     hidden_block_count_y
      - .offset:         88
        .size:           4
        .value_kind:     hidden_block_count_z
      - .offset:         92
        .size:           2
        .value_kind:     hidden_group_size_x
      - .offset:         94
        .size:           2
        .value_kind:     hidden_group_size_y
      - .offset:         96
        .size:           2
        .value_kind:     hidden_group_size_z
      - .offset:         98
        .size:           2
        .value_kind:     hidden_remainder_x
      - .offset:         100
        .size:           2
        .value_kind:     hidden_remainder_y
      - .offset:         102
        .size:           2
        .value_kind:     hidden_remainder_z
      - .offset:         120
        .size:           8
        .value_kind:     hidden_global_offset_x
      - .offset:         128
        .size:           8
        .value_kind:     hidden_global_offset_y
      - .offset:         136
        .size:           8
        .value_kind:     hidden_global_offset_z
      - .offset:         144
        .size:           2
        .value_kind:     hidden_grid_dims
    .group_segment_fixed_size: 0
    .kernarg_segment_align: 8
    .kernarg_segment_size: 336
    .language:       OpenCL C
    .language_version:
      - 2
      - 0
    .max_flat_workgroup_size: 64
    .name:           _ZL33flash_attn_stream_k_fixup_generalILi64ELi2ELi8EEvPfPK15HIP_vector_typeIfLj2EEiiiiS1_IjLj3EES5_S5_S5_
    .private_segment_fixed_size: 0
    .sgpr_count:     33
    .sgpr_spill_count: 0
    .symbol:         _ZL33flash_attn_stream_k_fixup_generalILi64ELi2ELi8EEvPfPK15HIP_vector_typeIfLj2EEiiiiS1_IjLj3EES5_S5_S5_.kd
    .uniform_work_group_size: 1
    .uses_dynamic_stack: false
    .vgpr_count:     17
    .vgpr_spill_count: 0
    .wavefront_size: 32
    .workgroup_processor_mode: 1
  - .args:
      - .address_space:  global
        .offset:         0
        .size:           8
        .value_kind:     global_buffer
      - .address_space:  global
        .offset:         8
        .size:           8
        .value_kind:     global_buffer
      - .address_space:  global
        .offset:         16
        .size:           8
        .value_kind:     global_buffer
      - .address_space:  global
        .offset:         24
        .size:           8
        .value_kind:     global_buffer
      - .address_space:  global
        .offset:         32
        .size:           8
        .value_kind:     global_buffer
      - .address_space:  global
        .offset:         40
        .size:           8
        .value_kind:     global_buffer
      - .address_space:  global
        .offset:         48
        .size:           8
        .value_kind:     global_buffer
      - .address_space:  global
        .offset:         56
        .size:           8
        .value_kind:     global_buffer
      - .offset:         64
        .size:           4
        .value_kind:     by_value
      - .offset:         68
        .size:           4
        .value_kind:     by_value
      - .offset:         72
        .size:           4
        .value_kind:     by_value
      - .offset:         76
        .size:           4
        .value_kind:     by_value
      - .offset:         80
        .size:           4
        .value_kind:     by_value
      - .offset:         84
        .size:           4
        .value_kind:     by_value
      - .offset:         88
        .size:           4
        .value_kind:     by_value
      - .offset:         92
        .size:           12
        .value_kind:     by_value
      - .offset:         104
        .size:           4
        .value_kind:     by_value
      - .offset:         108
        .size:           4
        .value_kind:     by_value
      - .offset:         112
        .size:           4
        .value_kind:     by_value
      - .offset:         116
        .size:           4
        .value_kind:     by_value
      - .offset:         120
        .size:           4
        .value_kind:     by_value
      - .offset:         124
        .size:           4
        .value_kind:     by_value
      - .offset:         128
        .size:           4
        .value_kind:     by_value
      - .offset:         132
        .size:           4
        .value_kind:     by_value
      - .offset:         136
        .size:           4
        .value_kind:     by_value
      - .offset:         140
        .size:           4
        .value_kind:     by_value
      - .offset:         144
        .size:           4
        .value_kind:     by_value
      - .offset:         152
        .size:           8
        .value_kind:     by_value
      - .offset:         160
        .size:           4
        .value_kind:     by_value
      - .offset:         164
        .size:           4
        .value_kind:     by_value
      - .offset:         168
        .size:           8
        .value_kind:     by_value
      - .offset:         176
        .size:           4
        .value_kind:     by_value
      - .offset:         180
        .size:           4
        .value_kind:     by_value
      - .offset:         184
        .size:           4
        .value_kind:     by_value
      - .offset:         188
        .size:           4
        .value_kind:     by_value
      - .offset:         192
        .size:           4
        .value_kind:     by_value
      - .offset:         200
        .size:           8
        .value_kind:     by_value
      - .offset:         208
        .size:           4
        .value_kind:     hidden_block_count_x
      - .offset:         212
        .size:           4
        .value_kind:     hidden_block_count_y
      - .offset:         216
        .size:           4
        .value_kind:     hidden_block_count_z
      - .offset:         220
        .size:           2
        .value_kind:     hidden_group_size_x
      - .offset:         222
        .size:           2
        .value_kind:     hidden_group_size_y
      - .offset:         224
        .size:           2
        .value_kind:     hidden_group_size_z
      - .offset:         226
        .size:           2
        .value_kind:     hidden_remainder_x
      - .offset:         228
        .size:           2
        .value_kind:     hidden_remainder_y
      - .offset:         230
        .size:           2
        .value_kind:     hidden_remainder_z
      - .offset:         248
        .size:           8
        .value_kind:     hidden_global_offset_x
      - .offset:         256
        .size:           8
        .value_kind:     hidden_global_offset_y
      - .offset:         264
        .size:           8
        .value_kind:     hidden_global_offset_z
      - .offset:         272
        .size:           2
        .value_kind:     hidden_grid_dims
    .group_segment_fixed_size: 21504
    .kernarg_segment_align: 8
    .kernarg_segment_size: 464
    .language:       OpenCL C
    .language_version:
      - 2
      - 0
    .max_flat_workgroup_size: 128
    .name:           _ZL15flash_attn_tileILi64ELi64ELi1ELi8ELb0EEvPKcS1_S1_S1_S1_PKiPfP15HIP_vector_typeIfLj2EEffffjfiS5_IjLj3EEiiiiiiiiiiiliiliiiiil
    .private_segment_fixed_size: 0
    .sgpr_count:     42
    .sgpr_spill_count: 0
    .symbol:         _ZL15flash_attn_tileILi64ELi64ELi1ELi8ELb0EEvPKcS1_S1_S1_S1_PKiPfP15HIP_vector_typeIfLj2EEffffjfiS5_IjLj3EEiiiiiiiiiiiliiliiiiil.kd
    .uniform_work_group_size: 1
    .uses_dynamic_stack: false
    .vgpr_count:     159
    .vgpr_spill_count: 0
    .wavefront_size: 32
    .workgroup_processor_mode: 1
  - .args:
      - .actual_access:  read_only
        .address_space:  global
        .offset:         0
        .size:           8
        .value_kind:     global_buffer
      - .actual_access:  write_only
        .address_space:  global
        .offset:         8
        .size:           8
        .value_kind:     global_buffer
      - .offset:         16
        .size:           4
        .value_kind:     by_value
      - .offset:         20
        .size:           4
        .value_kind:     by_value
      - .offset:         24
        .size:           4
        .value_kind:     by_value
      - .offset:         32
        .size:           4
        .value_kind:     hidden_block_count_x
      - .offset:         36
        .size:           4
        .value_kind:     hidden_block_count_y
      - .offset:         40
        .size:           4
        .value_kind:     hidden_block_count_z
      - .offset:         44
        .size:           2
        .value_kind:     hidden_group_size_x
      - .offset:         46
        .size:           2
        .value_kind:     hidden_group_size_y
      - .offset:         48
        .size:           2
        .value_kind:     hidden_group_size_z
      - .offset:         50
        .size:           2
        .value_kind:     hidden_remainder_x
      - .offset:         52
        .size:           2
        .value_kind:     hidden_remainder_y
      - .offset:         54
        .size:           2
        .value_kind:     hidden_remainder_z
      - .offset:         72
        .size:           8
        .value_kind:     hidden_global_offset_x
      - .offset:         80
        .size:           8
        .value_kind:     hidden_global_offset_y
      - .offset:         88
        .size:           8
        .value_kind:     hidden_global_offset_z
      - .offset:         96
        .size:           2
        .value_kind:     hidden_grid_dims
    .group_segment_fixed_size: 128
    .kernarg_segment_align: 8
    .kernarg_segment_size: 288
    .language:       OpenCL C
    .language_version:
      - 2
      - 0
    .max_flat_workgroup_size: 128
    .name:           _ZL25flash_attn_mask_to_KV_maxILi1EEvPK7__half2Piiii
    .private_segment_fixed_size: 0
    .sgpr_count:     18
    .sgpr_spill_count: 0
    .symbol:         _ZL25flash_attn_mask_to_KV_maxILi1EEvPK7__half2Piiii.kd
    .uniform_work_group_size: 1
    .uses_dynamic_stack: false
    .vgpr_count:     8
    .vgpr_spill_count: 0
    .wavefront_size: 32
    .workgroup_processor_mode: 1
  - .args:
      - .address_space:  global
        .offset:         0
        .size:           8
        .value_kind:     global_buffer
      - .address_space:  global
        .offset:         8
        .size:           8
        .value_kind:     global_buffer
      - .offset:         16
        .size:           4
        .value_kind:     by_value
      - .offset:         20
        .size:           4
        .value_kind:     by_value
      - .offset:         24
        .size:           4
        .value_kind:     by_value
      - .offset:         28
        .size:           4
        .value_kind:     by_value
      - .offset:         32
        .size:           4
        .value_kind:     by_value
      - .offset:         36
        .size:           4
        .value_kind:     by_value
      - .offset:         40
        .size:           12
        .value_kind:     by_value
      - .offset:         52
        .size:           12
        .value_kind:     by_value
      - .offset:         64
        .size:           12
        .value_kind:     by_value
    .group_segment_fixed_size: 0
    .kernarg_segment_align: 8
    .kernarg_segment_size: 76
    .language:       OpenCL C
    .language_version:
      - 2
      - 0
    .max_flat_workgroup_size: 64
    .name:           _ZL33flash_attn_stream_k_fixup_uniformILi64ELi1ELi8EEvPfPK15HIP_vector_typeIfLj2EEiiiiiiS1_IjLj3EES5_S5_
    .private_segment_fixed_size: 0
    .sgpr_count:     22
    .sgpr_spill_count: 0
    .symbol:         _ZL33flash_attn_stream_k_fixup_uniformILi64ELi1ELi8EEvPfPK15HIP_vector_typeIfLj2EEiiiiiiS1_IjLj3EES5_S5_.kd
    .uniform_work_group_size: 1
    .uses_dynamic_stack: false
    .vgpr_count:     15
    .vgpr_spill_count: 0
    .wavefront_size: 32
    .workgroup_processor_mode: 1
  - .args:
      - .address_space:  global
        .offset:         0
        .size:           8
        .value_kind:     global_buffer
      - .address_space:  global
        .offset:         8
        .size:           8
        .value_kind:     global_buffer
      - .offset:         16
        .size:           4
        .value_kind:     by_value
      - .offset:         20
        .size:           4
        .value_kind:     by_value
      - .offset:         24
        .size:           4
        .value_kind:     by_value
      - .offset:         28
        .size:           4
        .value_kind:     by_value
      - .offset:         32
        .size:           12
        .value_kind:     by_value
      - .offset:         44
        .size:           12
        .value_kind:     by_value
      - .offset:         56
        .size:           12
        .value_kind:     by_value
      - .offset:         68
        .size:           12
        .value_kind:     by_value
      - .offset:         80
        .size:           4
        .value_kind:     hidden_block_count_x
      - .offset:         84
        .size:           4
        .value_kind:     hidden_block_count_y
      - .offset:         88
        .size:           4
        .value_kind:     hidden_block_count_z
      - .offset:         92
        .size:           2
        .value_kind:     hidden_group_size_x
      - .offset:         94
        .size:           2
        .value_kind:     hidden_group_size_y
      - .offset:         96
        .size:           2
        .value_kind:     hidden_group_size_z
      - .offset:         98
        .size:           2
        .value_kind:     hidden_remainder_x
      - .offset:         100
        .size:           2
        .value_kind:     hidden_remainder_y
      - .offset:         102
        .size:           2
        .value_kind:     hidden_remainder_z
      - .offset:         120
        .size:           8
        .value_kind:     hidden_global_offset_x
      - .offset:         128
        .size:           8
        .value_kind:     hidden_global_offset_y
      - .offset:         136
        .size:           8
        .value_kind:     hidden_global_offset_z
      - .offset:         144
        .size:           2
        .value_kind:     hidden_grid_dims
    .group_segment_fixed_size: 0
    .kernarg_segment_align: 8
    .kernarg_segment_size: 336
    .language:       OpenCL C
    .language_version:
      - 2
      - 0
    .max_flat_workgroup_size: 64
    .name:           _ZL33flash_attn_stream_k_fixup_generalILi64ELi1ELi8EEvPfPK15HIP_vector_typeIfLj2EEiiiiS1_IjLj3EES5_S5_S5_
    .private_segment_fixed_size: 0
    .sgpr_count:     34
    .sgpr_spill_count: 0
    .symbol:         _ZL33flash_attn_stream_k_fixup_generalILi64ELi1ELi8EEvPfPK15HIP_vector_typeIfLj2EEiiiiS1_IjLj3EES5_S5_S5_.kd
    .uniform_work_group_size: 1
    .uses_dynamic_stack: false
    .vgpr_count:     17
    .vgpr_spill_count: 0
    .wavefront_size: 32
    .workgroup_processor_mode: 1
  - .args:
      - .address_space:  global
        .offset:         0
        .size:           8
        .value_kind:     global_buffer
      - .address_space:  global
        .offset:         8
        .size:           8
        .value_kind:     global_buffer
      - .address_space:  global
        .offset:         16
        .size:           8
        .value_kind:     global_buffer
      - .address_space:  global
        .offset:         24
        .size:           8
        .value_kind:     global_buffer
      - .address_space:  global
        .offset:         32
        .size:           8
        .value_kind:     global_buffer
      - .address_space:  global
        .offset:         40
        .size:           8
        .value_kind:     global_buffer
      - .address_space:  global
        .offset:         48
        .size:           8
        .value_kind:     global_buffer
      - .address_space:  global
        .offset:         56
        .size:           8
        .value_kind:     global_buffer
      - .offset:         64
        .size:           4
        .value_kind:     by_value
      - .offset:         68
        .size:           4
        .value_kind:     by_value
      - .offset:         72
        .size:           4
        .value_kind:     by_value
      - .offset:         76
        .size:           4
        .value_kind:     by_value
      - .offset:         80
        .size:           4
        .value_kind:     by_value
      - .offset:         84
        .size:           4
        .value_kind:     by_value
      - .offset:         88
        .size:           4
        .value_kind:     by_value
      - .offset:         92
        .size:           12
        .value_kind:     by_value
      - .offset:         104
        .size:           4
        .value_kind:     by_value
      - .offset:         108
        .size:           4
        .value_kind:     by_value
      - .offset:         112
        .size:           4
        .value_kind:     by_value
      - .offset:         116
        .size:           4
        .value_kind:     by_value
      - .offset:         120
        .size:           4
        .value_kind:     by_value
      - .offset:         124
        .size:           4
        .value_kind:     by_value
      - .offset:         128
        .size:           4
        .value_kind:     by_value
      - .offset:         132
        .size:           4
        .value_kind:     by_value
      - .offset:         136
        .size:           4
        .value_kind:     by_value
      - .offset:         140
        .size:           4
        .value_kind:     by_value
      - .offset:         144
        .size:           4
        .value_kind:     by_value
      - .offset:         152
        .size:           8
        .value_kind:     by_value
      - .offset:         160
        .size:           4
        .value_kind:     by_value
      - .offset:         164
        .size:           4
        .value_kind:     by_value
      - .offset:         168
        .size:           8
        .value_kind:     by_value
      - .offset:         176
        .size:           4
        .value_kind:     by_value
      - .offset:         180
        .size:           4
        .value_kind:     by_value
      - .offset:         184
        .size:           4
        .value_kind:     by_value
      - .offset:         188
        .size:           4
        .value_kind:     by_value
      - .offset:         192
        .size:           4
        .value_kind:     by_value
      - .offset:         200
        .size:           8
        .value_kind:     by_value
      - .offset:         208
        .size:           4
        .value_kind:     hidden_block_count_x
      - .offset:         212
        .size:           4
        .value_kind:     hidden_block_count_y
      - .offset:         216
        .size:           4
        .value_kind:     hidden_block_count_z
      - .offset:         220
        .size:           2
        .value_kind:     hidden_group_size_x
      - .offset:         222
        .size:           2
        .value_kind:     hidden_group_size_y
      - .offset:         224
        .size:           2
        .value_kind:     hidden_group_size_z
      - .offset:         226
        .size:           2
        .value_kind:     hidden_remainder_x
      - .offset:         228
        .size:           2
        .value_kind:     hidden_remainder_y
      - .offset:         230
        .size:           2
        .value_kind:     hidden_remainder_z
      - .offset:         248
        .size:           8
        .value_kind:     hidden_global_offset_x
      - .offset:         256
        .size:           8
        .value_kind:     hidden_global_offset_y
      - .offset:         264
        .size:           8
        .value_kind:     hidden_global_offset_z
      - .offset:         272
        .size:           2
        .value_kind:     hidden_grid_dims
    .group_segment_fixed_size: 25600
    .kernarg_segment_align: 8
    .kernarg_segment_size: 464
    .language:       OpenCL C
    .language_version:
      - 2
      - 0
    .max_flat_workgroup_size: 128
    .name:           _ZL15flash_attn_tileILi64ELi64ELi16ELi4ELb0EEvPKcS1_S1_S1_S1_PKiPfP15HIP_vector_typeIfLj2EEffffjfiS5_IjLj3EEiiiiiiiiiiiliiliiiiil
    .private_segment_fixed_size: 148
    .sgpr_count:     50
    .sgpr_spill_count: 0
    .symbol:         _ZL15flash_attn_tileILi64ELi64ELi16ELi4ELb0EEvPKcS1_S1_S1_S1_PKiPfP15HIP_vector_typeIfLj2EEffffjfiS5_IjLj3EEiiiiiiiiiiiliiliiiiil.kd
    .uniform_work_group_size: 1
    .uses_dynamic_stack: false
    .vgpr_count:     192
    .vgpr_spill_count: 36
    .wavefront_size: 32
    .workgroup_processor_mode: 1
  - .args:
      - .actual_access:  read_only
        .address_space:  global
        .offset:         0
        .size:           8
        .value_kind:     global_buffer
      - .actual_access:  write_only
        .address_space:  global
        .offset:         8
        .size:           8
        .value_kind:     global_buffer
      - .offset:         16
        .size:           4
        .value_kind:     by_value
      - .offset:         20
        .size:           4
        .value_kind:     by_value
      - .offset:         24
        .size:           4
        .value_kind:     by_value
      - .offset:         32
        .size:           4
        .value_kind:     hidden_block_count_x
      - .offset:         36
        .size:           4
        .value_kind:     hidden_block_count_y
      - .offset:         40
        .size:           4
        .value_kind:     hidden_block_count_z
      - .offset:         44
        .size:           2
        .value_kind:     hidden_group_size_x
      - .offset:         46
        .size:           2
        .value_kind:     hidden_group_size_y
      - .offset:         48
        .size:           2
        .value_kind:     hidden_group_size_z
      - .offset:         50
        .size:           2
        .value_kind:     hidden_remainder_x
      - .offset:         52
        .size:           2
        .value_kind:     hidden_remainder_y
      - .offset:         54
        .size:           2
        .value_kind:     hidden_remainder_z
      - .offset:         72
        .size:           8
        .value_kind:     hidden_global_offset_x
      - .offset:         80
        .size:           8
        .value_kind:     hidden_global_offset_y
      - .offset:         88
        .size:           8
        .value_kind:     hidden_global_offset_z
      - .offset:         96
        .size:           2
        .value_kind:     hidden_grid_dims
    .group_segment_fixed_size: 128
    .kernarg_segment_align: 8
    .kernarg_segment_size: 288
    .language:       OpenCL C
    .language_version:
      - 2
      - 0
    .max_flat_workgroup_size: 128
    .name:           _ZL25flash_attn_mask_to_KV_maxILi16EEvPK7__half2Piiii
    .private_segment_fixed_size: 0
    .sgpr_count:     46
    .sgpr_spill_count: 0
    .symbol:         _ZL25flash_attn_mask_to_KV_maxILi16EEvPK7__half2Piiii.kd
    .uniform_work_group_size: 1
    .uses_dynamic_stack: false
    .vgpr_count:     10
    .vgpr_spill_count: 0
    .wavefront_size: 32
    .workgroup_processor_mode: 1
  - .args:
      - .address_space:  global
        .offset:         0
        .size:           8
        .value_kind:     global_buffer
      - .address_space:  global
        .offset:         8
        .size:           8
        .value_kind:     global_buffer
      - .offset:         16
        .size:           4
        .value_kind:     by_value
      - .offset:         20
        .size:           4
        .value_kind:     by_value
      - .offset:         24
        .size:           4
        .value_kind:     by_value
      - .offset:         28
        .size:           4
        .value_kind:     by_value
      - .offset:         32
        .size:           4
        .value_kind:     by_value
      - .offset:         36
        .size:           4
        .value_kind:     by_value
      - .offset:         40
        .size:           12
        .value_kind:     by_value
      - .offset:         52
        .size:           12
        .value_kind:     by_value
      - .offset:         64
        .size:           12
        .value_kind:     by_value
    .group_segment_fixed_size: 0
    .kernarg_segment_align: 8
    .kernarg_segment_size: 76
    .language:       OpenCL C
    .language_version:
      - 2
      - 0
    .max_flat_workgroup_size: 64
    .name:           _ZL33flash_attn_stream_k_fixup_uniformILi64ELi16ELi4EEvPfPK15HIP_vector_typeIfLj2EEiiiiiiS1_IjLj3EES5_S5_
    .private_segment_fixed_size: 0
    .sgpr_count:     26
    .sgpr_spill_count: 0
    .symbol:         _ZL33flash_attn_stream_k_fixup_uniformILi64ELi16ELi4EEvPfPK15HIP_vector_typeIfLj2EEiiiiiiS1_IjLj3EES5_S5_.kd
    .uniform_work_group_size: 1
    .uses_dynamic_stack: false
    .vgpr_count:     15
    .vgpr_spill_count: 0
    .wavefront_size: 32
    .workgroup_processor_mode: 1
  - .args:
      - .address_space:  global
        .offset:         0
        .size:           8
        .value_kind:     global_buffer
      - .address_space:  global
        .offset:         8
        .size:           8
        .value_kind:     global_buffer
      - .offset:         16
        .size:           4
        .value_kind:     by_value
      - .offset:         20
        .size:           4
        .value_kind:     by_value
      - .offset:         24
        .size:           4
        .value_kind:     by_value
      - .offset:         28
        .size:           4
        .value_kind:     by_value
      - .offset:         32
        .size:           12
        .value_kind:     by_value
      - .offset:         44
        .size:           12
        .value_kind:     by_value
      - .offset:         56
        .size:           12
        .value_kind:     by_value
      - .offset:         68
        .size:           12
        .value_kind:     by_value
      - .offset:         80
        .size:           4
        .value_kind:     hidden_block_count_x
      - .offset:         84
        .size:           4
        .value_kind:     hidden_block_count_y
      - .offset:         88
        .size:           4
        .value_kind:     hidden_block_count_z
      - .offset:         92
        .size:           2
        .value_kind:     hidden_group_size_x
      - .offset:         94
        .size:           2
        .value_kind:     hidden_group_size_y
      - .offset:         96
        .size:           2
        .value_kind:     hidden_group_size_z
      - .offset:         98
        .size:           2
        .value_kind:     hidden_remainder_x
      - .offset:         100
        .size:           2
        .value_kind:     hidden_remainder_y
      - .offset:         102
        .size:           2
        .value_kind:     hidden_remainder_z
      - .offset:         120
        .size:           8
        .value_kind:     hidden_global_offset_x
      - .offset:         128
        .size:           8
        .value_kind:     hidden_global_offset_y
      - .offset:         136
        .size:           8
        .value_kind:     hidden_global_offset_z
      - .offset:         144
        .size:           2
        .value_kind:     hidden_grid_dims
    .group_segment_fixed_size: 0
    .kernarg_segment_align: 8
    .kernarg_segment_size: 336
    .language:       OpenCL C
    .language_version:
      - 2
      - 0
    .max_flat_workgroup_size: 64
    .name:           _ZL33flash_attn_stream_k_fixup_generalILi64ELi16ELi4EEvPfPK15HIP_vector_typeIfLj2EEiiiiS1_IjLj3EES5_S5_S5_
    .private_segment_fixed_size: 0
    .sgpr_count:     33
    .sgpr_spill_count: 0
    .symbol:         _ZL33flash_attn_stream_k_fixup_generalILi64ELi16ELi4EEvPfPK15HIP_vector_typeIfLj2EEiiiiS1_IjLj3EES5_S5_S5_.kd
    .uniform_work_group_size: 1
    .uses_dynamic_stack: false
    .vgpr_count:     17
    .vgpr_spill_count: 0
    .wavefront_size: 32
    .workgroup_processor_mode: 1
  - .args:
      - .address_space:  global
        .offset:         0
        .size:           8
        .value_kind:     global_buffer
      - .address_space:  global
        .offset:         8
        .size:           8
        .value_kind:     global_buffer
      - .address_space:  global
        .offset:         16
        .size:           8
        .value_kind:     global_buffer
      - .address_space:  global
        .offset:         24
        .size:           8
        .value_kind:     global_buffer
      - .address_space:  global
        .offset:         32
        .size:           8
        .value_kind:     global_buffer
      - .address_space:  global
        .offset:         40
        .size:           8
        .value_kind:     global_buffer
      - .address_space:  global
        .offset:         48
        .size:           8
        .value_kind:     global_buffer
      - .address_space:  global
        .offset:         56
        .size:           8
        .value_kind:     global_buffer
      - .offset:         64
        .size:           4
        .value_kind:     by_value
      - .offset:         68
        .size:           4
        .value_kind:     by_value
      - .offset:         72
        .size:           4
        .value_kind:     by_value
      - .offset:         76
        .size:           4
        .value_kind:     by_value
      - .offset:         80
        .size:           4
        .value_kind:     by_value
      - .offset:         84
        .size:           4
        .value_kind:     by_value
      - .offset:         88
        .size:           4
        .value_kind:     by_value
      - .offset:         92
        .size:           12
        .value_kind:     by_value
      - .offset:         104
        .size:           4
        .value_kind:     by_value
      - .offset:         108
        .size:           4
        .value_kind:     by_value
      - .offset:         112
        .size:           4
        .value_kind:     by_value
      - .offset:         116
        .size:           4
        .value_kind:     by_value
      - .offset:         120
        .size:           4
        .value_kind:     by_value
      - .offset:         124
        .size:           4
        .value_kind:     by_value
      - .offset:         128
        .size:           4
        .value_kind:     by_value
      - .offset:         132
        .size:           4
        .value_kind:     by_value
      - .offset:         136
        .size:           4
        .value_kind:     by_value
      - .offset:         140
        .size:           4
        .value_kind:     by_value
      - .offset:         144
        .size:           4
        .value_kind:     by_value
      - .offset:         152
        .size:           8
        .value_kind:     by_value
      - .offset:         160
        .size:           4
        .value_kind:     by_value
      - .offset:         164
        .size:           4
        .value_kind:     by_value
      - .offset:         168
        .size:           8
        .value_kind:     by_value
      - .offset:         176
        .size:           4
        .value_kind:     by_value
      - .offset:         180
        .size:           4
        .value_kind:     by_value
      - .offset:         184
        .size:           4
        .value_kind:     by_value
      - .offset:         188
        .size:           4
        .value_kind:     by_value
      - .offset:         192
        .size:           4
        .value_kind:     by_value
      - .offset:         200
        .size:           8
        .value_kind:     by_value
      - .offset:         208
        .size:           4
        .value_kind:     hidden_block_count_x
      - .offset:         212
        .size:           4
        .value_kind:     hidden_block_count_y
      - .offset:         216
        .size:           4
        .value_kind:     hidden_block_count_z
      - .offset:         220
        .size:           2
        .value_kind:     hidden_group_size_x
      - .offset:         222
        .size:           2
        .value_kind:     hidden_group_size_y
      - .offset:         224
        .size:           2
        .value_kind:     hidden_group_size_z
      - .offset:         226
        .size:           2
        .value_kind:     hidden_remainder_x
      - .offset:         228
        .size:           2
        .value_kind:     hidden_remainder_y
      - .offset:         230
        .size:           2
        .value_kind:     hidden_remainder_z
      - .offset:         248
        .size:           8
        .value_kind:     hidden_global_offset_x
      - .offset:         256
        .size:           8
        .value_kind:     hidden_global_offset_y
      - .offset:         264
        .size:           8
        .value_kind:     hidden_global_offset_z
      - .offset:         272
        .size:           2
        .value_kind:     hidden_grid_dims
    .group_segment_fixed_size: 17408
    .kernarg_segment_align: 8
    .kernarg_segment_size: 464
    .language:       OpenCL C
    .language_version:
      - 2
      - 0
    .max_flat_workgroup_size: 128
    .name:           _ZL15flash_attn_tileILi64ELi64ELi8ELi4ELb0EEvPKcS1_S1_S1_S1_PKiPfP15HIP_vector_typeIfLj2EEffffjfiS5_IjLj3EEiiiiiiiiiiiliiliiiiil
    .private_segment_fixed_size: 0
    .sgpr_count:     45
    .sgpr_spill_count: 0
    .symbol:         _ZL15flash_attn_tileILi64ELi64ELi8ELi4ELb0EEvPKcS1_S1_S1_S1_PKiPfP15HIP_vector_typeIfLj2EEffffjfiS5_IjLj3EEiiiiiiiiiiiliiliiiiil.kd
    .uniform_work_group_size: 1
    .uses_dynamic_stack: false
    .vgpr_count:     138
    .vgpr_spill_count: 0
    .wavefront_size: 32
    .workgroup_processor_mode: 1
  - .args:
      - .address_space:  global
        .offset:         0
        .size:           8
        .value_kind:     global_buffer
      - .address_space:  global
        .offset:         8
        .size:           8
        .value_kind:     global_buffer
      - .offset:         16
        .size:           4
        .value_kind:     by_value
      - .offset:         20
        .size:           4
        .value_kind:     by_value
      - .offset:         24
        .size:           4
        .value_kind:     by_value
      - .offset:         28
        .size:           4
        .value_kind:     by_value
      - .offset:         32
        .size:           4
        .value_kind:     by_value
      - .offset:         36
        .size:           4
        .value_kind:     by_value
      - .offset:         40
        .size:           12
        .value_kind:     by_value
      - .offset:         52
        .size:           12
        .value_kind:     by_value
      - .offset:         64
        .size:           12
        .value_kind:     by_value
    .group_segment_fixed_size: 0
    .kernarg_segment_align: 8
    .kernarg_segment_size: 76
    .language:       OpenCL C
    .language_version:
      - 2
      - 0
    .max_flat_workgroup_size: 64
    .name:           _ZL33flash_attn_stream_k_fixup_uniformILi64ELi8ELi4EEvPfPK15HIP_vector_typeIfLj2EEiiiiiiS1_IjLj3EES5_S5_
    .private_segment_fixed_size: 0
    .sgpr_count:     26
    .sgpr_spill_count: 0
    .symbol:         _ZL33flash_attn_stream_k_fixup_uniformILi64ELi8ELi4EEvPfPK15HIP_vector_typeIfLj2EEiiiiiiS1_IjLj3EES5_S5_.kd
    .uniform_work_group_size: 1
    .uses_dynamic_stack: false
    .vgpr_count:     15
    .vgpr_spill_count: 0
    .wavefront_size: 32
    .workgroup_processor_mode: 1
  - .args:
      - .address_space:  global
        .offset:         0
        .size:           8
        .value_kind:     global_buffer
      - .address_space:  global
        .offset:         8
        .size:           8
        .value_kind:     global_buffer
      - .offset:         16
        .size:           4
        .value_kind:     by_value
      - .offset:         20
        .size:           4
        .value_kind:     by_value
      - .offset:         24
        .size:           4
        .value_kind:     by_value
      - .offset:         28
        .size:           4
        .value_kind:     by_value
      - .offset:         32
        .size:           12
        .value_kind:     by_value
      - .offset:         44
        .size:           12
        .value_kind:     by_value
      - .offset:         56
        .size:           12
        .value_kind:     by_value
      - .offset:         68
        .size:           12
        .value_kind:     by_value
      - .offset:         80
        .size:           4
        .value_kind:     hidden_block_count_x
      - .offset:         84
        .size:           4
        .value_kind:     hidden_block_count_y
      - .offset:         88
        .size:           4
        .value_kind:     hidden_block_count_z
      - .offset:         92
        .size:           2
        .value_kind:     hidden_group_size_x
      - .offset:         94
        .size:           2
        .value_kind:     hidden_group_size_y
      - .offset:         96
        .size:           2
        .value_kind:     hidden_group_size_z
      - .offset:         98
        .size:           2
        .value_kind:     hidden_remainder_x
      - .offset:         100
        .size:           2
        .value_kind:     hidden_remainder_y
      - .offset:         102
        .size:           2
        .value_kind:     hidden_remainder_z
      - .offset:         120
        .size:           8
        .value_kind:     hidden_global_offset_x
      - .offset:         128
        .size:           8
        .value_kind:     hidden_global_offset_y
      - .offset:         136
        .size:           8
        .value_kind:     hidden_global_offset_z
      - .offset:         144
        .size:           2
        .value_kind:     hidden_grid_dims
    .group_segment_fixed_size: 0
    .kernarg_segment_align: 8
    .kernarg_segment_size: 336
    .language:       OpenCL C
    .language_version:
      - 2
      - 0
    .max_flat_workgroup_size: 64
    .name:           _ZL33flash_attn_stream_k_fixup_generalILi64ELi8ELi4EEvPfPK15HIP_vector_typeIfLj2EEiiiiS1_IjLj3EES5_S5_S5_
    .private_segment_fixed_size: 0
    .sgpr_count:     33
    .sgpr_spill_count: 0
    .symbol:         _ZL33flash_attn_stream_k_fixup_generalILi64ELi8ELi4EEvPfPK15HIP_vector_typeIfLj2EEiiiiS1_IjLj3EES5_S5_S5_.kd
    .uniform_work_group_size: 1
    .uses_dynamic_stack: false
    .vgpr_count:     17
    .vgpr_spill_count: 0
    .wavefront_size: 32
    .workgroup_processor_mode: 1
  - .args:
      - .address_space:  global
        .offset:         0
        .size:           8
        .value_kind:     global_buffer
      - .address_space:  global
        .offset:         8
        .size:           8
        .value_kind:     global_buffer
      - .address_space:  global
        .offset:         16
        .size:           8
        .value_kind:     global_buffer
      - .address_space:  global
        .offset:         24
        .size:           8
        .value_kind:     global_buffer
      - .address_space:  global
        .offset:         32
        .size:           8
        .value_kind:     global_buffer
      - .address_space:  global
        .offset:         40
        .size:           8
        .value_kind:     global_buffer
      - .address_space:  global
        .offset:         48
        .size:           8
        .value_kind:     global_buffer
      - .address_space:  global
        .offset:         56
        .size:           8
        .value_kind:     global_buffer
      - .offset:         64
        .size:           4
        .value_kind:     by_value
      - .offset:         68
        .size:           4
        .value_kind:     by_value
      - .offset:         72
        .size:           4
        .value_kind:     by_value
      - .offset:         76
        .size:           4
        .value_kind:     by_value
      - .offset:         80
        .size:           4
        .value_kind:     by_value
      - .offset:         84
        .size:           4
        .value_kind:     by_value
      - .offset:         88
        .size:           4
        .value_kind:     by_value
      - .offset:         92
        .size:           12
        .value_kind:     by_value
      - .offset:         104
        .size:           4
        .value_kind:     by_value
      - .offset:         108
        .size:           4
        .value_kind:     by_value
      - .offset:         112
        .size:           4
        .value_kind:     by_value
      - .offset:         116
        .size:           4
        .value_kind:     by_value
      - .offset:         120
        .size:           4
        .value_kind:     by_value
      - .offset:         124
        .size:           4
        .value_kind:     by_value
      - .offset:         128
        .size:           4
        .value_kind:     by_value
      - .offset:         132
        .size:           4
        .value_kind:     by_value
      - .offset:         136
        .size:           4
        .value_kind:     by_value
      - .offset:         140
        .size:           4
        .value_kind:     by_value
      - .offset:         144
        .size:           4
        .value_kind:     by_value
      - .offset:         152
        .size:           8
        .value_kind:     by_value
      - .offset:         160
        .size:           4
        .value_kind:     by_value
      - .offset:         164
        .size:           4
        .value_kind:     by_value
      - .offset:         168
        .size:           8
        .value_kind:     by_value
      - .offset:         176
        .size:           4
        .value_kind:     by_value
      - .offset:         180
        .size:           4
        .value_kind:     by_value
      - .offset:         184
        .size:           4
        .value_kind:     by_value
      - .offset:         188
        .size:           4
        .value_kind:     by_value
      - .offset:         192
        .size:           4
        .value_kind:     by_value
      - .offset:         200
        .size:           8
        .value_kind:     by_value
      - .offset:         208
        .size:           4
        .value_kind:     hidden_block_count_x
      - .offset:         212
        .size:           4
        .value_kind:     hidden_block_count_y
      - .offset:         216
        .size:           4
        .value_kind:     hidden_block_count_z
      - .offset:         220
        .size:           2
        .value_kind:     hidden_group_size_x
      - .offset:         222
        .size:           2
        .value_kind:     hidden_group_size_y
      - .offset:         224
        .size:           2
        .value_kind:     hidden_group_size_z
      - .offset:         226
        .size:           2
        .value_kind:     hidden_remainder_x
      - .offset:         228
        .size:           2
        .value_kind:     hidden_remainder_y
      - .offset:         230
        .size:           2
        .value_kind:     hidden_remainder_z
      - .offset:         248
        .size:           8
        .value_kind:     hidden_global_offset_x
      - .offset:         256
        .size:           8
        .value_kind:     hidden_global_offset_y
      - .offset:         264
        .size:           8
        .value_kind:     hidden_global_offset_z
      - .offset:         272
        .size:           2
        .value_kind:     hidden_grid_dims
    .group_segment_fixed_size: 24576
    .kernarg_segment_align: 8
    .kernarg_segment_size: 464
    .language:       OpenCL C
    .language_version:
      - 2
      - 0
    .max_flat_workgroup_size: 128
    .name:           _ZL15flash_attn_tileILi64ELi64ELi4ELi4ELb0EEvPKcS1_S1_S1_S1_PKiPfP15HIP_vector_typeIfLj2EEffffjfiS5_IjLj3EEiiiiiiiiiiiliiliiiiil
    .private_segment_fixed_size: 0
    .sgpr_count:     42
    .sgpr_spill_count: 0
    .symbol:         _ZL15flash_attn_tileILi64ELi64ELi4ELi4ELb0EEvPKcS1_S1_S1_S1_PKiPfP15HIP_vector_typeIfLj2EEffffjfiS5_IjLj3EEiiiiiiiiiiiliiliiiiil.kd
    .uniform_work_group_size: 1
    .uses_dynamic_stack: false
    .vgpr_count:     146
    .vgpr_spill_count: 0
    .wavefront_size: 32
    .workgroup_processor_mode: 1
  - .args:
      - .address_space:  global
        .offset:         0
        .size:           8
        .value_kind:     global_buffer
      - .address_space:  global
        .offset:         8
        .size:           8
        .value_kind:     global_buffer
      - .offset:         16
        .size:           4
        .value_kind:     by_value
      - .offset:         20
        .size:           4
        .value_kind:     by_value
      - .offset:         24
        .size:           4
        .value_kind:     by_value
      - .offset:         28
        .size:           4
        .value_kind:     by_value
      - .offset:         32
        .size:           4
        .value_kind:     by_value
      - .offset:         36
        .size:           4
        .value_kind:     by_value
      - .offset:         40
        .size:           12
        .value_kind:     by_value
      - .offset:         52
        .size:           12
        .value_kind:     by_value
      - .offset:         64
        .size:           12
        .value_kind:     by_value
    .group_segment_fixed_size: 0
    .kernarg_segment_align: 8
    .kernarg_segment_size: 76
    .language:       OpenCL C
    .language_version:
      - 2
      - 0
    .max_flat_workgroup_size: 64
    .name:           _ZL33flash_attn_stream_k_fixup_uniformILi64ELi4ELi4EEvPfPK15HIP_vector_typeIfLj2EEiiiiiiS1_IjLj3EES5_S5_
    .private_segment_fixed_size: 0
    .sgpr_count:     26
    .sgpr_spill_count: 0
    .symbol:         _ZL33flash_attn_stream_k_fixup_uniformILi64ELi4ELi4EEvPfPK15HIP_vector_typeIfLj2EEiiiiiiS1_IjLj3EES5_S5_.kd
    .uniform_work_group_size: 1
    .uses_dynamic_stack: false
    .vgpr_count:     15
    .vgpr_spill_count: 0
    .wavefront_size: 32
    .workgroup_processor_mode: 1
  - .args:
      - .address_space:  global
        .offset:         0
        .size:           8
        .value_kind:     global_buffer
      - .address_space:  global
        .offset:         8
        .size:           8
        .value_kind:     global_buffer
      - .offset:         16
        .size:           4
        .value_kind:     by_value
      - .offset:         20
        .size:           4
        .value_kind:     by_value
      - .offset:         24
        .size:           4
        .value_kind:     by_value
      - .offset:         28
        .size:           4
        .value_kind:     by_value
      - .offset:         32
        .size:           12
        .value_kind:     by_value
      - .offset:         44
        .size:           12
        .value_kind:     by_value
      - .offset:         56
        .size:           12
        .value_kind:     by_value
      - .offset:         68
        .size:           12
        .value_kind:     by_value
      - .offset:         80
        .size:           4
        .value_kind:     hidden_block_count_x
      - .offset:         84
        .size:           4
        .value_kind:     hidden_block_count_y
      - .offset:         88
        .size:           4
        .value_kind:     hidden_block_count_z
      - .offset:         92
        .size:           2
        .value_kind:     hidden_group_size_x
      - .offset:         94
        .size:           2
        .value_kind:     hidden_group_size_y
      - .offset:         96
        .size:           2
        .value_kind:     hidden_group_size_z
      - .offset:         98
        .size:           2
        .value_kind:     hidden_remainder_x
      - .offset:         100
        .size:           2
        .value_kind:     hidden_remainder_y
      - .offset:         102
        .size:           2
        .value_kind:     hidden_remainder_z
      - .offset:         120
        .size:           8
        .value_kind:     hidden_global_offset_x
      - .offset:         128
        .size:           8
        .value_kind:     hidden_global_offset_y
      - .offset:         136
        .size:           8
        .value_kind:     hidden_global_offset_z
      - .offset:         144
        .size:           2
        .value_kind:     hidden_grid_dims
    .group_segment_fixed_size: 0
    .kernarg_segment_align: 8
    .kernarg_segment_size: 336
    .language:       OpenCL C
    .language_version:
      - 2
      - 0
    .max_flat_workgroup_size: 64
    .name:           _ZL33flash_attn_stream_k_fixup_generalILi64ELi4ELi4EEvPfPK15HIP_vector_typeIfLj2EEiiiiS1_IjLj3EES5_S5_S5_
    .private_segment_fixed_size: 0
    .sgpr_count:     33
    .sgpr_spill_count: 0
    .symbol:         _ZL33flash_attn_stream_k_fixup_generalILi64ELi4ELi4EEvPfPK15HIP_vector_typeIfLj2EEiiiiS1_IjLj3EES5_S5_S5_.kd
    .uniform_work_group_size: 1
    .uses_dynamic_stack: false
    .vgpr_count:     17
    .vgpr_spill_count: 0
    .wavefront_size: 32
    .workgroup_processor_mode: 1
  - .args:
      - .address_space:  global
        .offset:         0
        .size:           8
        .value_kind:     global_buffer
      - .address_space:  global
        .offset:         8
        .size:           8
        .value_kind:     global_buffer
      - .address_space:  global
        .offset:         16
        .size:           8
        .value_kind:     global_buffer
      - .address_space:  global
        .offset:         24
        .size:           8
        .value_kind:     global_buffer
      - .address_space:  global
        .offset:         32
        .size:           8
        .value_kind:     global_buffer
      - .address_space:  global
        .offset:         40
        .size:           8
        .value_kind:     global_buffer
      - .address_space:  global
        .offset:         48
        .size:           8
        .value_kind:     global_buffer
      - .address_space:  global
        .offset:         56
        .size:           8
        .value_kind:     global_buffer
      - .offset:         64
        .size:           4
        .value_kind:     by_value
      - .offset:         68
        .size:           4
        .value_kind:     by_value
      - .offset:         72
        .size:           4
        .value_kind:     by_value
      - .offset:         76
        .size:           4
        .value_kind:     by_value
      - .offset:         80
        .size:           4
        .value_kind:     by_value
      - .offset:         84
        .size:           4
        .value_kind:     by_value
      - .offset:         88
        .size:           4
        .value_kind:     by_value
      - .offset:         92
        .size:           12
        .value_kind:     by_value
      - .offset:         104
        .size:           4
        .value_kind:     by_value
      - .offset:         108
        .size:           4
        .value_kind:     by_value
      - .offset:         112
        .size:           4
        .value_kind:     by_value
      - .offset:         116
        .size:           4
        .value_kind:     by_value
      - .offset:         120
        .size:           4
        .value_kind:     by_value
      - .offset:         124
        .size:           4
        .value_kind:     by_value
      - .offset:         128
        .size:           4
        .value_kind:     by_value
      - .offset:         132
        .size:           4
        .value_kind:     by_value
      - .offset:         136
        .size:           4
        .value_kind:     by_value
      - .offset:         140
        .size:           4
        .value_kind:     by_value
      - .offset:         144
        .size:           4
        .value_kind:     by_value
      - .offset:         152
        .size:           8
        .value_kind:     by_value
      - .offset:         160
        .size:           4
        .value_kind:     by_value
      - .offset:         164
        .size:           4
        .value_kind:     by_value
      - .offset:         168
        .size:           8
        .value_kind:     by_value
      - .offset:         176
        .size:           4
        .value_kind:     by_value
      - .offset:         180
        .size:           4
        .value_kind:     by_value
      - .offset:         184
        .size:           4
        .value_kind:     by_value
      - .offset:         188
        .size:           4
        .value_kind:     by_value
      - .offset:         192
        .size:           4
        .value_kind:     by_value
      - .offset:         200
        .size:           8
        .value_kind:     by_value
      - .offset:         208
        .size:           4
        .value_kind:     hidden_block_count_x
      - .offset:         212
        .size:           4
        .value_kind:     hidden_block_count_y
      - .offset:         216
        .size:           4
        .value_kind:     hidden_block_count_z
      - .offset:         220
        .size:           2
        .value_kind:     hidden_group_size_x
      - .offset:         222
        .size:           2
        .value_kind:     hidden_group_size_y
      - .offset:         224
        .size:           2
        .value_kind:     hidden_group_size_z
      - .offset:         226
        .size:           2
        .value_kind:     hidden_remainder_x
      - .offset:         228
        .size:           2
        .value_kind:     hidden_remainder_y
      - .offset:         230
        .size:           2
        .value_kind:     hidden_remainder_z
      - .offset:         248
        .size:           8
        .value_kind:     hidden_global_offset_x
      - .offset:         256
        .size:           8
        .value_kind:     hidden_global_offset_y
      - .offset:         264
        .size:           8
        .value_kind:     hidden_global_offset_z
      - .offset:         272
        .size:           2
        .value_kind:     hidden_grid_dims
    .group_segment_fixed_size: 21504
    .kernarg_segment_align: 8
    .kernarg_segment_size: 464
    .language:       OpenCL C
    .language_version:
      - 2
      - 0
    .max_flat_workgroup_size: 128
    .name:           _ZL15flash_attn_tileILi64ELi64ELi2ELi4ELb0EEvPKcS1_S1_S1_S1_PKiPfP15HIP_vector_typeIfLj2EEffffjfiS5_IjLj3EEiiiiiiiiiiiliiliiiiil
    .private_segment_fixed_size: 0
    .sgpr_count:     42
    .sgpr_spill_count: 0
    .symbol:         _ZL15flash_attn_tileILi64ELi64ELi2ELi4ELb0EEvPKcS1_S1_S1_S1_PKiPfP15HIP_vector_typeIfLj2EEffffjfiS5_IjLj3EEiiiiiiiiiiiliiliiiiil.kd
    .uniform_work_group_size: 1
    .uses_dynamic_stack: false
    .vgpr_count:     159
    .vgpr_spill_count: 0
    .wavefront_size: 32
    .workgroup_processor_mode: 1
  - .args:
      - .address_space:  global
        .offset:         0
        .size:           8
        .value_kind:     global_buffer
      - .address_space:  global
        .offset:         8
        .size:           8
        .value_kind:     global_buffer
      - .offset:         16
        .size:           4
        .value_kind:     by_value
      - .offset:         20
        .size:           4
        .value_kind:     by_value
      - .offset:         24
        .size:           4
        .value_kind:     by_value
      - .offset:         28
        .size:           4
        .value_kind:     by_value
      - .offset:         32
        .size:           4
        .value_kind:     by_value
      - .offset:         36
        .size:           4
        .value_kind:     by_value
      - .offset:         40
        .size:           12
        .value_kind:     by_value
      - .offset:         52
        .size:           12
        .value_kind:     by_value
      - .offset:         64
        .size:           12
        .value_kind:     by_value
    .group_segment_fixed_size: 0
    .kernarg_segment_align: 8
    .kernarg_segment_size: 76
    .language:       OpenCL C
    .language_version:
      - 2
      - 0
    .max_flat_workgroup_size: 64
    .name:           _ZL33flash_attn_stream_k_fixup_uniformILi64ELi2ELi4EEvPfPK15HIP_vector_typeIfLj2EEiiiiiiS1_IjLj3EES5_S5_
    .private_segment_fixed_size: 0
    .sgpr_count:     26
    .sgpr_spill_count: 0
    .symbol:         _ZL33flash_attn_stream_k_fixup_uniformILi64ELi2ELi4EEvPfPK15HIP_vector_typeIfLj2EEiiiiiiS1_IjLj3EES5_S5_.kd
    .uniform_work_group_size: 1
    .uses_dynamic_stack: false
    .vgpr_count:     15
    .vgpr_spill_count: 0
    .wavefront_size: 32
    .workgroup_processor_mode: 1
  - .args:
      - .address_space:  global
        .offset:         0
        .size:           8
        .value_kind:     global_buffer
      - .address_space:  global
        .offset:         8
        .size:           8
        .value_kind:     global_buffer
      - .offset:         16
        .size:           4
        .value_kind:     by_value
      - .offset:         20
        .size:           4
        .value_kind:     by_value
      - .offset:         24
        .size:           4
        .value_kind:     by_value
      - .offset:         28
        .size:           4
        .value_kind:     by_value
      - .offset:         32
        .size:           12
        .value_kind:     by_value
      - .offset:         44
        .size:           12
        .value_kind:     by_value
      - .offset:         56
        .size:           12
        .value_kind:     by_value
      - .offset:         68
        .size:           12
        .value_kind:     by_value
      - .offset:         80
        .size:           4
        .value_kind:     hidden_block_count_x
      - .offset:         84
        .size:           4
        .value_kind:     hidden_block_count_y
      - .offset:         88
        .size:           4
        .value_kind:     hidden_block_count_z
      - .offset:         92
        .size:           2
        .value_kind:     hidden_group_size_x
      - .offset:         94
        .size:           2
        .value_kind:     hidden_group_size_y
      - .offset:         96
        .size:           2
        .value_kind:     hidden_group_size_z
      - .offset:         98
        .size:           2
        .value_kind:     hidden_remainder_x
      - .offset:         100
        .size:           2
        .value_kind:     hidden_remainder_y
      - .offset:         102
        .size:           2
        .value_kind:     hidden_remainder_z
      - .offset:         120
        .size:           8
        .value_kind:     hidden_global_offset_x
      - .offset:         128
        .size:           8
        .value_kind:     hidden_global_offset_y
      - .offset:         136
        .size:           8
        .value_kind:     hidden_global_offset_z
      - .offset:         144
        .size:           2
        .value_kind:     hidden_grid_dims
    .group_segment_fixed_size: 0
    .kernarg_segment_align: 8
    .kernarg_segment_size: 336
    .language:       OpenCL C
    .language_version:
      - 2
      - 0
    .max_flat_workgroup_size: 64
    .name:           _ZL33flash_attn_stream_k_fixup_generalILi64ELi2ELi4EEvPfPK15HIP_vector_typeIfLj2EEiiiiS1_IjLj3EES5_S5_S5_
    .private_segment_fixed_size: 0
    .sgpr_count:     33
    .sgpr_spill_count: 0
    .symbol:         _ZL33flash_attn_stream_k_fixup_generalILi64ELi2ELi4EEvPfPK15HIP_vector_typeIfLj2EEiiiiS1_IjLj3EES5_S5_S5_.kd
    .uniform_work_group_size: 1
    .uses_dynamic_stack: false
    .vgpr_count:     17
    .vgpr_spill_count: 0
    .wavefront_size: 32
    .workgroup_processor_mode: 1
  - .args:
      - .address_space:  global
        .offset:         0
        .size:           8
        .value_kind:     global_buffer
      - .address_space:  global
        .offset:         8
        .size:           8
        .value_kind:     global_buffer
      - .address_space:  global
        .offset:         16
        .size:           8
        .value_kind:     global_buffer
      - .address_space:  global
        .offset:         24
        .size:           8
        .value_kind:     global_buffer
      - .address_space:  global
        .offset:         32
        .size:           8
        .value_kind:     global_buffer
      - .address_space:  global
        .offset:         40
        .size:           8
        .value_kind:     global_buffer
      - .address_space:  global
        .offset:         48
        .size:           8
        .value_kind:     global_buffer
      - .address_space:  global
        .offset:         56
        .size:           8
        .value_kind:     global_buffer
      - .offset:         64
        .size:           4
        .value_kind:     by_value
      - .offset:         68
        .size:           4
        .value_kind:     by_value
      - .offset:         72
        .size:           4
        .value_kind:     by_value
      - .offset:         76
        .size:           4
        .value_kind:     by_value
      - .offset:         80
        .size:           4
        .value_kind:     by_value
      - .offset:         84
        .size:           4
        .value_kind:     by_value
      - .offset:         88
        .size:           4
        .value_kind:     by_value
      - .offset:         92
        .size:           12
        .value_kind:     by_value
      - .offset:         104
        .size:           4
        .value_kind:     by_value
      - .offset:         108
        .size:           4
        .value_kind:     by_value
      - .offset:         112
        .size:           4
        .value_kind:     by_value
      - .offset:         116
        .size:           4
        .value_kind:     by_value
      - .offset:         120
        .size:           4
        .value_kind:     by_value
      - .offset:         124
        .size:           4
        .value_kind:     by_value
      - .offset:         128
        .size:           4
        .value_kind:     by_value
      - .offset:         132
        .size:           4
        .value_kind:     by_value
      - .offset:         136
        .size:           4
        .value_kind:     by_value
      - .offset:         140
        .size:           4
        .value_kind:     by_value
      - .offset:         144
        .size:           4
        .value_kind:     by_value
      - .offset:         152
        .size:           8
        .value_kind:     by_value
      - .offset:         160
        .size:           4
        .value_kind:     by_value
      - .offset:         164
        .size:           4
        .value_kind:     by_value
      - .offset:         168
        .size:           8
        .value_kind:     by_value
      - .offset:         176
        .size:           4
        .value_kind:     by_value
      - .offset:         180
        .size:           4
        .value_kind:     by_value
      - .offset:         184
        .size:           4
        .value_kind:     by_value
      - .offset:         188
        .size:           4
        .value_kind:     by_value
      - .offset:         192
        .size:           4
        .value_kind:     by_value
      - .offset:         200
        .size:           8
        .value_kind:     by_value
      - .offset:         208
        .size:           4
        .value_kind:     hidden_block_count_x
      - .offset:         212
        .size:           4
        .value_kind:     hidden_block_count_y
      - .offset:         216
        .size:           4
        .value_kind:     hidden_block_count_z
      - .offset:         220
        .size:           2
        .value_kind:     hidden_group_size_x
      - .offset:         222
        .size:           2
        .value_kind:     hidden_group_size_y
      - .offset:         224
        .size:           2
        .value_kind:     hidden_group_size_z
      - .offset:         226
        .size:           2
        .value_kind:     hidden_remainder_x
      - .offset:         228
        .size:           2
        .value_kind:     hidden_remainder_y
      - .offset:         230
        .size:           2
        .value_kind:     hidden_remainder_z
      - .offset:         248
        .size:           8
        .value_kind:     hidden_global_offset_x
      - .offset:         256
        .size:           8
        .value_kind:     hidden_global_offset_y
      - .offset:         264
        .size:           8
        .value_kind:     hidden_global_offset_z
      - .offset:         272
        .size:           2
        .value_kind:     hidden_grid_dims
    .group_segment_fixed_size: 5376
    .kernarg_segment_align: 8
    .kernarg_segment_size: 464
    .language:       OpenCL C
    .language_version:
      - 2
      - 0
    .max_flat_workgroup_size: 64
    .name:           _ZL15flash_attn_tileILi64ELi64ELi1ELi4ELb0EEvPKcS1_S1_S1_S1_PKiPfP15HIP_vector_typeIfLj2EEffffjfiS5_IjLj3EEiiiiiiiiiiiliiliiiiil
    .private_segment_fixed_size: 0
    .sgpr_count:     42
    .sgpr_spill_count: 0
    .symbol:         _ZL15flash_attn_tileILi64ELi64ELi1ELi4ELb0EEvPKcS1_S1_S1_S1_PKiPfP15HIP_vector_typeIfLj2EEffffjfiS5_IjLj3EEiiiiiiiiiiiliiliiiiil.kd
    .uniform_work_group_size: 1
    .uses_dynamic_stack: false
    .vgpr_count:     83
    .vgpr_spill_count: 0
    .wavefront_size: 32
    .workgroup_processor_mode: 1
  - .args:
      - .address_space:  global
        .offset:         0
        .size:           8
        .value_kind:     global_buffer
      - .address_space:  global
        .offset:         8
        .size:           8
        .value_kind:     global_buffer
      - .offset:         16
        .size:           4
        .value_kind:     by_value
      - .offset:         20
        .size:           4
        .value_kind:     by_value
      - .offset:         24
        .size:           4
        .value_kind:     by_value
      - .offset:         28
        .size:           4
        .value_kind:     by_value
      - .offset:         32
        .size:           4
        .value_kind:     by_value
      - .offset:         36
        .size:           4
        .value_kind:     by_value
      - .offset:         40
        .size:           12
        .value_kind:     by_value
      - .offset:         52
        .size:           12
        .value_kind:     by_value
      - .offset:         64
        .size:           12
        .value_kind:     by_value
    .group_segment_fixed_size: 0
    .kernarg_segment_align: 8
    .kernarg_segment_size: 76
    .language:       OpenCL C
    .language_version:
      - 2
      - 0
    .max_flat_workgroup_size: 64
    .name:           _ZL33flash_attn_stream_k_fixup_uniformILi64ELi1ELi4EEvPfPK15HIP_vector_typeIfLj2EEiiiiiiS1_IjLj3EES5_S5_
    .private_segment_fixed_size: 0
    .sgpr_count:     22
    .sgpr_spill_count: 0
    .symbol:         _ZL33flash_attn_stream_k_fixup_uniformILi64ELi1ELi4EEvPfPK15HIP_vector_typeIfLj2EEiiiiiiS1_IjLj3EES5_S5_.kd
    .uniform_work_group_size: 1
    .uses_dynamic_stack: false
    .vgpr_count:     15
    .vgpr_spill_count: 0
    .wavefront_size: 32
    .workgroup_processor_mode: 1
  - .args:
      - .address_space:  global
        .offset:         0
        .size:           8
        .value_kind:     global_buffer
      - .address_space:  global
        .offset:         8
        .size:           8
        .value_kind:     global_buffer
      - .offset:         16
        .size:           4
        .value_kind:     by_value
      - .offset:         20
        .size:           4
        .value_kind:     by_value
      - .offset:         24
        .size:           4
        .value_kind:     by_value
      - .offset:         28
        .size:           4
        .value_kind:     by_value
      - .offset:         32
        .size:           12
        .value_kind:     by_value
      - .offset:         44
        .size:           12
        .value_kind:     by_value
      - .offset:         56
        .size:           12
        .value_kind:     by_value
      - .offset:         68
        .size:           12
        .value_kind:     by_value
      - .offset:         80
        .size:           4
        .value_kind:     hidden_block_count_x
      - .offset:         84
        .size:           4
        .value_kind:     hidden_block_count_y
      - .offset:         88
        .size:           4
        .value_kind:     hidden_block_count_z
      - .offset:         92
        .size:           2
        .value_kind:     hidden_group_size_x
      - .offset:         94
        .size:           2
        .value_kind:     hidden_group_size_y
      - .offset:         96
        .size:           2
        .value_kind:     hidden_group_size_z
      - .offset:         98
        .size:           2
        .value_kind:     hidden_remainder_x
      - .offset:         100
        .size:           2
        .value_kind:     hidden_remainder_y
      - .offset:         102
        .size:           2
        .value_kind:     hidden_remainder_z
      - .offset:         120
        .size:           8
        .value_kind:     hidden_global_offset_x
      - .offset:         128
        .size:           8
        .value_kind:     hidden_global_offset_y
      - .offset:         136
        .size:           8
        .value_kind:     hidden_global_offset_z
      - .offset:         144
        .size:           2
        .value_kind:     hidden_grid_dims
    .group_segment_fixed_size: 0
    .kernarg_segment_align: 8
    .kernarg_segment_size: 336
    .language:       OpenCL C
    .language_version:
      - 2
      - 0
    .max_flat_workgroup_size: 64
    .name:           _ZL33flash_attn_stream_k_fixup_generalILi64ELi1ELi4EEvPfPK15HIP_vector_typeIfLj2EEiiiiS1_IjLj3EES5_S5_S5_
    .private_segment_fixed_size: 0
    .sgpr_count:     34
    .sgpr_spill_count: 0
    .symbol:         _ZL33flash_attn_stream_k_fixup_generalILi64ELi1ELi4EEvPfPK15HIP_vector_typeIfLj2EEiiiiS1_IjLj3EES5_S5_S5_.kd
    .uniform_work_group_size: 1
    .uses_dynamic_stack: false
    .vgpr_count:     17
    .vgpr_spill_count: 0
    .wavefront_size: 32
    .workgroup_processor_mode: 1
  - .args:
      - .address_space:  global
        .offset:         0
        .size:           8
        .value_kind:     global_buffer
      - .address_space:  global
        .offset:         8
        .size:           8
        .value_kind:     global_buffer
      - .address_space:  global
        .offset:         16
        .size:           8
        .value_kind:     global_buffer
      - .address_space:  global
        .offset:         24
        .size:           8
        .value_kind:     global_buffer
      - .address_space:  global
        .offset:         32
        .size:           8
        .value_kind:     global_buffer
      - .address_space:  global
        .offset:         40
        .size:           8
        .value_kind:     global_buffer
      - .address_space:  global
        .offset:         48
        .size:           8
        .value_kind:     global_buffer
      - .address_space:  global
        .offset:         56
        .size:           8
        .value_kind:     global_buffer
      - .offset:         64
        .size:           4
        .value_kind:     by_value
      - .offset:         68
        .size:           4
        .value_kind:     by_value
      - .offset:         72
        .size:           4
        .value_kind:     by_value
      - .offset:         76
        .size:           4
        .value_kind:     by_value
      - .offset:         80
        .size:           4
        .value_kind:     by_value
      - .offset:         84
        .size:           4
        .value_kind:     by_value
      - .offset:         88
        .size:           4
        .value_kind:     by_value
      - .offset:         92
        .size:           12
        .value_kind:     by_value
      - .offset:         104
        .size:           4
        .value_kind:     by_value
      - .offset:         108
        .size:           4
        .value_kind:     by_value
      - .offset:         112
        .size:           4
        .value_kind:     by_value
      - .offset:         116
        .size:           4
        .value_kind:     by_value
      - .offset:         120
        .size:           4
        .value_kind:     by_value
      - .offset:         124
        .size:           4
        .value_kind:     by_value
      - .offset:         128
        .size:           4
        .value_kind:     by_value
      - .offset:         132
        .size:           4
        .value_kind:     by_value
      - .offset:         136
        .size:           4
        .value_kind:     by_value
      - .offset:         140
        .size:           4
        .value_kind:     by_value
      - .offset:         144
        .size:           4
        .value_kind:     by_value
      - .offset:         152
        .size:           8
        .value_kind:     by_value
      - .offset:         160
        .size:           4
        .value_kind:     by_value
      - .offset:         164
        .size:           4
        .value_kind:     by_value
      - .offset:         168
        .size:           8
        .value_kind:     by_value
      - .offset:         176
        .size:           4
        .value_kind:     by_value
      - .offset:         180
        .size:           4
        .value_kind:     by_value
      - .offset:         184
        .size:           4
        .value_kind:     by_value
      - .offset:         188
        .size:           4
        .value_kind:     by_value
      - .offset:         192
        .size:           4
        .value_kind:     by_value
      - .offset:         200
        .size:           8
        .value_kind:     by_value
      - .offset:         208
        .size:           4
        .value_kind:     hidden_block_count_x
      - .offset:         212
        .size:           4
        .value_kind:     hidden_block_count_y
      - .offset:         216
        .size:           4
        .value_kind:     hidden_block_count_z
      - .offset:         220
        .size:           2
        .value_kind:     hidden_group_size_x
      - .offset:         222
        .size:           2
        .value_kind:     hidden_group_size_y
      - .offset:         224
        .size:           2
        .value_kind:     hidden_group_size_z
      - .offset:         226
        .size:           2
        .value_kind:     hidden_remainder_x
      - .offset:         228
        .size:           2
        .value_kind:     hidden_remainder_y
      - .offset:         230
        .size:           2
        .value_kind:     hidden_remainder_z
      - .offset:         248
        .size:           8
        .value_kind:     hidden_global_offset_x
      - .offset:         256
        .size:           8
        .value_kind:     hidden_global_offset_y
      - .offset:         264
        .size:           8
        .value_kind:     hidden_global_offset_z
      - .offset:         272
        .size:           2
        .value_kind:     hidden_grid_dims
    .group_segment_fixed_size: 25600
    .kernarg_segment_align: 8
    .kernarg_segment_size: 464
    .language:       OpenCL C
    .language_version:
      - 2
      - 0
    .max_flat_workgroup_size: 128
    .name:           _ZL15flash_attn_tileILi64ELi64ELi32ELi2ELb0EEvPKcS1_S1_S1_S1_PKiPfP15HIP_vector_typeIfLj2EEffffjfiS5_IjLj3EEiiiiiiiiiiiliiliiiiil
    .private_segment_fixed_size: 184
    .sgpr_count:     50
    .sgpr_spill_count: 0
    .symbol:         _ZL15flash_attn_tileILi64ELi64ELi32ELi2ELb0EEvPKcS1_S1_S1_S1_PKiPfP15HIP_vector_typeIfLj2EEffffjfiS5_IjLj3EEiiiiiiiiiiiliiliiiiil.kd
    .uniform_work_group_size: 1
    .uses_dynamic_stack: false
    .vgpr_count:     192
    .vgpr_spill_count: 45
    .wavefront_size: 32
    .workgroup_processor_mode: 1
  - .args:
      - .actual_access:  read_only
        .address_space:  global
        .offset:         0
        .size:           8
        .value_kind:     global_buffer
      - .actual_access:  write_only
        .address_space:  global
        .offset:         8
        .size:           8
        .value_kind:     global_buffer
      - .offset:         16
        .size:           4
        .value_kind:     by_value
      - .offset:         20
        .size:           4
        .value_kind:     by_value
      - .offset:         24
        .size:           4
        .value_kind:     by_value
      - .offset:         32
        .size:           4
        .value_kind:     hidden_block_count_x
      - .offset:         36
        .size:           4
        .value_kind:     hidden_block_count_y
      - .offset:         40
        .size:           4
        .value_kind:     hidden_block_count_z
      - .offset:         44
        .size:           2
        .value_kind:     hidden_group_size_x
      - .offset:         46
        .size:           2
        .value_kind:     hidden_group_size_y
      - .offset:         48
        .size:           2
        .value_kind:     hidden_group_size_z
      - .offset:         50
        .size:           2
        .value_kind:     hidden_remainder_x
      - .offset:         52
        .size:           2
        .value_kind:     hidden_remainder_y
      - .offset:         54
        .size:           2
        .value_kind:     hidden_remainder_z
      - .offset:         72
        .size:           8
        .value_kind:     hidden_global_offset_x
      - .offset:         80
        .size:           8
        .value_kind:     hidden_global_offset_y
      - .offset:         88
        .size:           8
        .value_kind:     hidden_global_offset_z
      - .offset:         96
        .size:           2
        .value_kind:     hidden_grid_dims
    .group_segment_fixed_size: 128
    .kernarg_segment_align: 8
    .kernarg_segment_size: 288
    .language:       OpenCL C
    .language_version:
      - 2
      - 0
    .max_flat_workgroup_size: 128
    .name:           _ZL25flash_attn_mask_to_KV_maxILi32EEvPK7__half2Piiii
    .private_segment_fixed_size: 0
    .sgpr_count:     78
    .sgpr_spill_count: 0
    .symbol:         _ZL25flash_attn_mask_to_KV_maxILi32EEvPK7__half2Piiii.kd
    .uniform_work_group_size: 1
    .uses_dynamic_stack: false
    .vgpr_count:     10
    .vgpr_spill_count: 0
    .wavefront_size: 32
    .workgroup_processor_mode: 1
  - .args:
      - .address_space:  global
        .offset:         0
        .size:           8
        .value_kind:     global_buffer
      - .address_space:  global
        .offset:         8
        .size:           8
        .value_kind:     global_buffer
      - .offset:         16
        .size:           4
        .value_kind:     by_value
      - .offset:         20
        .size:           4
        .value_kind:     by_value
      - .offset:         24
        .size:           4
        .value_kind:     by_value
      - .offset:         28
        .size:           4
        .value_kind:     by_value
      - .offset:         32
        .size:           4
        .value_kind:     by_value
      - .offset:         36
        .size:           4
        .value_kind:     by_value
      - .offset:         40
        .size:           12
        .value_kind:     by_value
      - .offset:         52
        .size:           12
        .value_kind:     by_value
      - .offset:         64
        .size:           12
        .value_kind:     by_value
    .group_segment_fixed_size: 0
    .kernarg_segment_align: 8
    .kernarg_segment_size: 76
    .language:       OpenCL C
    .language_version:
      - 2
      - 0
    .max_flat_workgroup_size: 64
    .name:           _ZL33flash_attn_stream_k_fixup_uniformILi64ELi32ELi2EEvPfPK15HIP_vector_typeIfLj2EEiiiiiiS1_IjLj3EES5_S5_
    .private_segment_fixed_size: 0
    .sgpr_count:     26
    .sgpr_spill_count: 0
    .symbol:         _ZL33flash_attn_stream_k_fixup_uniformILi64ELi32ELi2EEvPfPK15HIP_vector_typeIfLj2EEiiiiiiS1_IjLj3EES5_S5_.kd
    .uniform_work_group_size: 1
    .uses_dynamic_stack: false
    .vgpr_count:     15
    .vgpr_spill_count: 0
    .wavefront_size: 32
    .workgroup_processor_mode: 1
  - .args:
      - .address_space:  global
        .offset:         0
        .size:           8
        .value_kind:     global_buffer
      - .address_space:  global
        .offset:         8
        .size:           8
        .value_kind:     global_buffer
      - .offset:         16
        .size:           4
        .value_kind:     by_value
      - .offset:         20
        .size:           4
        .value_kind:     by_value
      - .offset:         24
        .size:           4
        .value_kind:     by_value
      - .offset:         28
        .size:           4
        .value_kind:     by_value
      - .offset:         32
        .size:           12
        .value_kind:     by_value
      - .offset:         44
        .size:           12
        .value_kind:     by_value
      - .offset:         56
        .size:           12
        .value_kind:     by_value
      - .offset:         68
        .size:           12
        .value_kind:     by_value
      - .offset:         80
        .size:           4
        .value_kind:     hidden_block_count_x
      - .offset:         84
        .size:           4
        .value_kind:     hidden_block_count_y
      - .offset:         88
        .size:           4
        .value_kind:     hidden_block_count_z
      - .offset:         92
        .size:           2
        .value_kind:     hidden_group_size_x
      - .offset:         94
        .size:           2
        .value_kind:     hidden_group_size_y
      - .offset:         96
        .size:           2
        .value_kind:     hidden_group_size_z
      - .offset:         98
        .size:           2
        .value_kind:     hidden_remainder_x
      - .offset:         100
        .size:           2
        .value_kind:     hidden_remainder_y
      - .offset:         102
        .size:           2
        .value_kind:     hidden_remainder_z
      - .offset:         120
        .size:           8
        .value_kind:     hidden_global_offset_x
      - .offset:         128
        .size:           8
        .value_kind:     hidden_global_offset_y
      - .offset:         136
        .size:           8
        .value_kind:     hidden_global_offset_z
      - .offset:         144
        .size:           2
        .value_kind:     hidden_grid_dims
    .group_segment_fixed_size: 0
    .kernarg_segment_align: 8
    .kernarg_segment_size: 336
    .language:       OpenCL C
    .language_version:
      - 2
      - 0
    .max_flat_workgroup_size: 64
    .name:           _ZL33flash_attn_stream_k_fixup_generalILi64ELi32ELi2EEvPfPK15HIP_vector_typeIfLj2EEiiiiS1_IjLj3EES5_S5_S5_
    .private_segment_fixed_size: 0
    .sgpr_count:     33
    .sgpr_spill_count: 0
    .symbol:         _ZL33flash_attn_stream_k_fixup_generalILi64ELi32ELi2EEvPfPK15HIP_vector_typeIfLj2EEiiiiS1_IjLj3EES5_S5_S5_.kd
    .uniform_work_group_size: 1
    .uses_dynamic_stack: false
    .vgpr_count:     17
    .vgpr_spill_count: 0
    .wavefront_size: 32
    .workgroup_processor_mode: 1
  - .args:
      - .address_space:  global
        .offset:         0
        .size:           8
        .value_kind:     global_buffer
      - .address_space:  global
        .offset:         8
        .size:           8
        .value_kind:     global_buffer
      - .address_space:  global
        .offset:         16
        .size:           8
        .value_kind:     global_buffer
      - .address_space:  global
        .offset:         24
        .size:           8
        .value_kind:     global_buffer
      - .address_space:  global
        .offset:         32
        .size:           8
        .value_kind:     global_buffer
      - .address_space:  global
        .offset:         40
        .size:           8
        .value_kind:     global_buffer
      - .address_space:  global
        .offset:         48
        .size:           8
        .value_kind:     global_buffer
      - .address_space:  global
        .offset:         56
        .size:           8
        .value_kind:     global_buffer
      - .offset:         64
        .size:           4
        .value_kind:     by_value
      - .offset:         68
        .size:           4
        .value_kind:     by_value
      - .offset:         72
        .size:           4
        .value_kind:     by_value
      - .offset:         76
        .size:           4
        .value_kind:     by_value
      - .offset:         80
        .size:           4
        .value_kind:     by_value
      - .offset:         84
        .size:           4
        .value_kind:     by_value
      - .offset:         88
        .size:           4
        .value_kind:     by_value
      - .offset:         92
        .size:           12
        .value_kind:     by_value
      - .offset:         104
        .size:           4
        .value_kind:     by_value
      - .offset:         108
        .size:           4
        .value_kind:     by_value
      - .offset:         112
        .size:           4
        .value_kind:     by_value
      - .offset:         116
        .size:           4
        .value_kind:     by_value
      - .offset:         120
        .size:           4
        .value_kind:     by_value
      - .offset:         124
        .size:           4
        .value_kind:     by_value
      - .offset:         128
        .size:           4
        .value_kind:     by_value
      - .offset:         132
        .size:           4
        .value_kind:     by_value
      - .offset:         136
        .size:           4
        .value_kind:     by_value
      - .offset:         140
        .size:           4
        .value_kind:     by_value
      - .offset:         144
        .size:           4
        .value_kind:     by_value
      - .offset:         152
        .size:           8
        .value_kind:     by_value
      - .offset:         160
        .size:           4
        .value_kind:     by_value
      - .offset:         164
        .size:           4
        .value_kind:     by_value
      - .offset:         168
        .size:           8
        .value_kind:     by_value
      - .offset:         176
        .size:           4
        .value_kind:     by_value
      - .offset:         180
        .size:           4
        .value_kind:     by_value
      - .offset:         184
        .size:           4
        .value_kind:     by_value
      - .offset:         188
        .size:           4
        .value_kind:     by_value
      - .offset:         192
        .size:           4
        .value_kind:     by_value
      - .offset:         200
        .size:           8
        .value_kind:     by_value
      - .offset:         208
        .size:           4
        .value_kind:     hidden_block_count_x
      - .offset:         212
        .size:           4
        .value_kind:     hidden_block_count_y
      - .offset:         216
        .size:           4
        .value_kind:     hidden_block_count_z
      - .offset:         220
        .size:           2
        .value_kind:     hidden_group_size_x
      - .offset:         222
        .size:           2
        .value_kind:     hidden_group_size_y
      - .offset:         224
        .size:           2
        .value_kind:     hidden_group_size_z
      - .offset:         226
        .size:           2
        .value_kind:     hidden_remainder_x
      - .offset:         228
        .size:           2
        .value_kind:     hidden_remainder_y
      - .offset:         230
        .size:           2
        .value_kind:     hidden_remainder_z
      - .offset:         248
        .size:           8
        .value_kind:     hidden_global_offset_x
      - .offset:         256
        .size:           8
        .value_kind:     hidden_global_offset_y
      - .offset:         264
        .size:           8
        .value_kind:     hidden_global_offset_z
      - .offset:         272
        .size:           2
        .value_kind:     hidden_grid_dims
    .group_segment_fixed_size: 17408
    .kernarg_segment_align: 8
    .kernarg_segment_size: 464
    .language:       OpenCL C
    .language_version:
      - 2
      - 0
    .max_flat_workgroup_size: 128
    .name:           _ZL15flash_attn_tileILi64ELi64ELi16ELi2ELb0EEvPKcS1_S1_S1_S1_PKiPfP15HIP_vector_typeIfLj2EEffffjfiS5_IjLj3EEiiiiiiiiiiiliiliiiiil
    .private_segment_fixed_size: 0
    .sgpr_count:     45
    .sgpr_spill_count: 0
    .symbol:         _ZL15flash_attn_tileILi64ELi64ELi16ELi2ELb0EEvPKcS1_S1_S1_S1_PKiPfP15HIP_vector_typeIfLj2EEffffjfiS5_IjLj3EEiiiiiiiiiiiliiliiiiil.kd
    .uniform_work_group_size: 1
    .uses_dynamic_stack: false
    .vgpr_count:     144
    .vgpr_spill_count: 0
    .wavefront_size: 32
    .workgroup_processor_mode: 1
  - .args:
      - .address_space:  global
        .offset:         0
        .size:           8
        .value_kind:     global_buffer
      - .address_space:  global
        .offset:         8
        .size:           8
        .value_kind:     global_buffer
      - .offset:         16
        .size:           4
        .value_kind:     by_value
      - .offset:         20
        .size:           4
        .value_kind:     by_value
      - .offset:         24
        .size:           4
        .value_kind:     by_value
      - .offset:         28
        .size:           4
        .value_kind:     by_value
      - .offset:         32
        .size:           4
        .value_kind:     by_value
      - .offset:         36
        .size:           4
        .value_kind:     by_value
      - .offset:         40
        .size:           12
        .value_kind:     by_value
      - .offset:         52
        .size:           12
        .value_kind:     by_value
      - .offset:         64
        .size:           12
        .value_kind:     by_value
    .group_segment_fixed_size: 0
    .kernarg_segment_align: 8
    .kernarg_segment_size: 76
    .language:       OpenCL C
    .language_version:
      - 2
      - 0
    .max_flat_workgroup_size: 64
    .name:           _ZL33flash_attn_stream_k_fixup_uniformILi64ELi16ELi2EEvPfPK15HIP_vector_typeIfLj2EEiiiiiiS1_IjLj3EES5_S5_
    .private_segment_fixed_size: 0
    .sgpr_count:     26
    .sgpr_spill_count: 0
    .symbol:         _ZL33flash_attn_stream_k_fixup_uniformILi64ELi16ELi2EEvPfPK15HIP_vector_typeIfLj2EEiiiiiiS1_IjLj3EES5_S5_.kd
    .uniform_work_group_size: 1
    .uses_dynamic_stack: false
    .vgpr_count:     15
    .vgpr_spill_count: 0
    .wavefront_size: 32
    .workgroup_processor_mode: 1
  - .args:
      - .address_space:  global
        .offset:         0
        .size:           8
        .value_kind:     global_buffer
      - .address_space:  global
        .offset:         8
        .size:           8
        .value_kind:     global_buffer
      - .offset:         16
        .size:           4
        .value_kind:     by_value
      - .offset:         20
        .size:           4
        .value_kind:     by_value
      - .offset:         24
        .size:           4
        .value_kind:     by_value
      - .offset:         28
        .size:           4
        .value_kind:     by_value
      - .offset:         32
        .size:           12
        .value_kind:     by_value
      - .offset:         44
        .size:           12
        .value_kind:     by_value
      - .offset:         56
        .size:           12
        .value_kind:     by_value
      - .offset:         68
        .size:           12
        .value_kind:     by_value
      - .offset:         80
        .size:           4
        .value_kind:     hidden_block_count_x
      - .offset:         84
        .size:           4
        .value_kind:     hidden_block_count_y
      - .offset:         88
        .size:           4
        .value_kind:     hidden_block_count_z
      - .offset:         92
        .size:           2
        .value_kind:     hidden_group_size_x
      - .offset:         94
        .size:           2
        .value_kind:     hidden_group_size_y
      - .offset:         96
        .size:           2
        .value_kind:     hidden_group_size_z
      - .offset:         98
        .size:           2
        .value_kind:     hidden_remainder_x
      - .offset:         100
        .size:           2
        .value_kind:     hidden_remainder_y
      - .offset:         102
        .size:           2
        .value_kind:     hidden_remainder_z
      - .offset:         120
        .size:           8
        .value_kind:     hidden_global_offset_x
      - .offset:         128
        .size:           8
        .value_kind:     hidden_global_offset_y
      - .offset:         136
        .size:           8
        .value_kind:     hidden_global_offset_z
      - .offset:         144
        .size:           2
        .value_kind:     hidden_grid_dims
    .group_segment_fixed_size: 0
    .kernarg_segment_align: 8
    .kernarg_segment_size: 336
    .language:       OpenCL C
    .language_version:
      - 2
      - 0
    .max_flat_workgroup_size: 64
    .name:           _ZL33flash_attn_stream_k_fixup_generalILi64ELi16ELi2EEvPfPK15HIP_vector_typeIfLj2EEiiiiS1_IjLj3EES5_S5_S5_
    .private_segment_fixed_size: 0
    .sgpr_count:     33
    .sgpr_spill_count: 0
    .symbol:         _ZL33flash_attn_stream_k_fixup_generalILi64ELi16ELi2EEvPfPK15HIP_vector_typeIfLj2EEiiiiS1_IjLj3EES5_S5_S5_.kd
    .uniform_work_group_size: 1
    .uses_dynamic_stack: false
    .vgpr_count:     17
    .vgpr_spill_count: 0
    .wavefront_size: 32
    .workgroup_processor_mode: 1
  - .args:
      - .address_space:  global
        .offset:         0
        .size:           8
        .value_kind:     global_buffer
      - .address_space:  global
        .offset:         8
        .size:           8
        .value_kind:     global_buffer
      - .address_space:  global
        .offset:         16
        .size:           8
        .value_kind:     global_buffer
      - .address_space:  global
        .offset:         24
        .size:           8
        .value_kind:     global_buffer
      - .address_space:  global
        .offset:         32
        .size:           8
        .value_kind:     global_buffer
      - .address_space:  global
        .offset:         40
        .size:           8
        .value_kind:     global_buffer
      - .address_space:  global
        .offset:         48
        .size:           8
        .value_kind:     global_buffer
      - .address_space:  global
        .offset:         56
        .size:           8
        .value_kind:     global_buffer
      - .offset:         64
        .size:           4
        .value_kind:     by_value
      - .offset:         68
        .size:           4
        .value_kind:     by_value
      - .offset:         72
        .size:           4
        .value_kind:     by_value
      - .offset:         76
        .size:           4
        .value_kind:     by_value
      - .offset:         80
        .size:           4
        .value_kind:     by_value
      - .offset:         84
        .size:           4
        .value_kind:     by_value
      - .offset:         88
        .size:           4
        .value_kind:     by_value
      - .offset:         92
        .size:           12
        .value_kind:     by_value
      - .offset:         104
        .size:           4
        .value_kind:     by_value
      - .offset:         108
        .size:           4
        .value_kind:     by_value
      - .offset:         112
        .size:           4
        .value_kind:     by_value
      - .offset:         116
        .size:           4
        .value_kind:     by_value
      - .offset:         120
        .size:           4
        .value_kind:     by_value
      - .offset:         124
        .size:           4
        .value_kind:     by_value
      - .offset:         128
        .size:           4
        .value_kind:     by_value
      - .offset:         132
        .size:           4
        .value_kind:     by_value
      - .offset:         136
        .size:           4
        .value_kind:     by_value
      - .offset:         140
        .size:           4
        .value_kind:     by_value
      - .offset:         144
        .size:           4
        .value_kind:     by_value
      - .offset:         152
        .size:           8
        .value_kind:     by_value
      - .offset:         160
        .size:           4
        .value_kind:     by_value
      - .offset:         164
        .size:           4
        .value_kind:     by_value
      - .offset:         168
        .size:           8
        .value_kind:     by_value
      - .offset:         176
        .size:           4
        .value_kind:     by_value
      - .offset:         180
        .size:           4
        .value_kind:     by_value
      - .offset:         184
        .size:           4
        .value_kind:     by_value
      - .offset:         188
        .size:           4
        .value_kind:     by_value
      - .offset:         192
        .size:           4
        .value_kind:     by_value
      - .offset:         200
        .size:           8
        .value_kind:     by_value
      - .offset:         208
        .size:           4
        .value_kind:     hidden_block_count_x
      - .offset:         212
        .size:           4
        .value_kind:     hidden_block_count_y
      - .offset:         216
        .size:           4
        .value_kind:     hidden_block_count_z
      - .offset:         220
        .size:           2
        .value_kind:     hidden_group_size_x
      - .offset:         222
        .size:           2
        .value_kind:     hidden_group_size_y
      - .offset:         224
        .size:           2
        .value_kind:     hidden_group_size_z
      - .offset:         226
        .size:           2
        .value_kind:     hidden_remainder_x
      - .offset:         228
        .size:           2
        .value_kind:     hidden_remainder_y
      - .offset:         230
        .size:           2
        .value_kind:     hidden_remainder_z
      - .offset:         248
        .size:           8
        .value_kind:     hidden_global_offset_x
      - .offset:         256
        .size:           8
        .value_kind:     hidden_global_offset_y
      - .offset:         264
        .size:           8
        .value_kind:     hidden_global_offset_z
      - .offset:         272
        .size:           2
        .value_kind:     hidden_grid_dims
    .group_segment_fixed_size: 24576
    .kernarg_segment_align: 8
    .kernarg_segment_size: 464
    .language:       OpenCL C
    .language_version:
      - 2
      - 0
    .max_flat_workgroup_size: 128
    .name:           _ZL15flash_attn_tileILi64ELi64ELi8ELi2ELb0EEvPKcS1_S1_S1_S1_PKiPfP15HIP_vector_typeIfLj2EEffffjfiS5_IjLj3EEiiiiiiiiiiiliiliiiiil
    .private_segment_fixed_size: 0
    .sgpr_count:     45
    .sgpr_spill_count: 0
    .symbol:         _ZL15flash_attn_tileILi64ELi64ELi8ELi2ELb0EEvPKcS1_S1_S1_S1_PKiPfP15HIP_vector_typeIfLj2EEffffjfiS5_IjLj3EEiiiiiiiiiiiliiliiiiil.kd
    .uniform_work_group_size: 1
    .uses_dynamic_stack: false
    .vgpr_count:     152
    .vgpr_spill_count: 0
    .wavefront_size: 32
    .workgroup_processor_mode: 1
  - .args:
      - .address_space:  global
        .offset:         0
        .size:           8
        .value_kind:     global_buffer
      - .address_space:  global
        .offset:         8
        .size:           8
        .value_kind:     global_buffer
      - .offset:         16
        .size:           4
        .value_kind:     by_value
      - .offset:         20
        .size:           4
        .value_kind:     by_value
      - .offset:         24
        .size:           4
        .value_kind:     by_value
      - .offset:         28
        .size:           4
        .value_kind:     by_value
      - .offset:         32
        .size:           4
        .value_kind:     by_value
      - .offset:         36
        .size:           4
        .value_kind:     by_value
      - .offset:         40
        .size:           12
        .value_kind:     by_value
      - .offset:         52
        .size:           12
        .value_kind:     by_value
      - .offset:         64
        .size:           12
        .value_kind:     by_value
    .group_segment_fixed_size: 0
    .kernarg_segment_align: 8
    .kernarg_segment_size: 76
    .language:       OpenCL C
    .language_version:
      - 2
      - 0
    .max_flat_workgroup_size: 64
    .name:           _ZL33flash_attn_stream_k_fixup_uniformILi64ELi8ELi2EEvPfPK15HIP_vector_typeIfLj2EEiiiiiiS1_IjLj3EES5_S5_
    .private_segment_fixed_size: 0
    .sgpr_count:     26
    .sgpr_spill_count: 0
    .symbol:         _ZL33flash_attn_stream_k_fixup_uniformILi64ELi8ELi2EEvPfPK15HIP_vector_typeIfLj2EEiiiiiiS1_IjLj3EES5_S5_.kd
    .uniform_work_group_size: 1
    .uses_dynamic_stack: false
    .vgpr_count:     15
    .vgpr_spill_count: 0
    .wavefront_size: 32
    .workgroup_processor_mode: 1
  - .args:
      - .address_space:  global
        .offset:         0
        .size:           8
        .value_kind:     global_buffer
      - .address_space:  global
        .offset:         8
        .size:           8
        .value_kind:     global_buffer
      - .offset:         16
        .size:           4
        .value_kind:     by_value
      - .offset:         20
        .size:           4
        .value_kind:     by_value
      - .offset:         24
        .size:           4
        .value_kind:     by_value
      - .offset:         28
        .size:           4
        .value_kind:     by_value
      - .offset:         32
        .size:           12
        .value_kind:     by_value
      - .offset:         44
        .size:           12
        .value_kind:     by_value
      - .offset:         56
        .size:           12
        .value_kind:     by_value
      - .offset:         68
        .size:           12
        .value_kind:     by_value
      - .offset:         80
        .size:           4
        .value_kind:     hidden_block_count_x
      - .offset:         84
        .size:           4
        .value_kind:     hidden_block_count_y
      - .offset:         88
        .size:           4
        .value_kind:     hidden_block_count_z
      - .offset:         92
        .size:           2
        .value_kind:     hidden_group_size_x
      - .offset:         94
        .size:           2
        .value_kind:     hidden_group_size_y
      - .offset:         96
        .size:           2
        .value_kind:     hidden_group_size_z
      - .offset:         98
        .size:           2
        .value_kind:     hidden_remainder_x
      - .offset:         100
        .size:           2
        .value_kind:     hidden_remainder_y
      - .offset:         102
        .size:           2
        .value_kind:     hidden_remainder_z
      - .offset:         120
        .size:           8
        .value_kind:     hidden_global_offset_x
      - .offset:         128
        .size:           8
        .value_kind:     hidden_global_offset_y
      - .offset:         136
        .size:           8
        .value_kind:     hidden_global_offset_z
      - .offset:         144
        .size:           2
        .value_kind:     hidden_grid_dims
    .group_segment_fixed_size: 0
    .kernarg_segment_align: 8
    .kernarg_segment_size: 336
    .language:       OpenCL C
    .language_version:
      - 2
      - 0
    .max_flat_workgroup_size: 64
    .name:           _ZL33flash_attn_stream_k_fixup_generalILi64ELi8ELi2EEvPfPK15HIP_vector_typeIfLj2EEiiiiS1_IjLj3EES5_S5_S5_
    .private_segment_fixed_size: 0
    .sgpr_count:     33
    .sgpr_spill_count: 0
    .symbol:         _ZL33flash_attn_stream_k_fixup_generalILi64ELi8ELi2EEvPfPK15HIP_vector_typeIfLj2EEiiiiS1_IjLj3EES5_S5_S5_.kd
    .uniform_work_group_size: 1
    .uses_dynamic_stack: false
    .vgpr_count:     17
    .vgpr_spill_count: 0
    .wavefront_size: 32
    .workgroup_processor_mode: 1
  - .args:
      - .address_space:  global
        .offset:         0
        .size:           8
        .value_kind:     global_buffer
      - .address_space:  global
        .offset:         8
        .size:           8
        .value_kind:     global_buffer
      - .address_space:  global
        .offset:         16
        .size:           8
        .value_kind:     global_buffer
      - .address_space:  global
        .offset:         24
        .size:           8
        .value_kind:     global_buffer
      - .address_space:  global
        .offset:         32
        .size:           8
        .value_kind:     global_buffer
      - .address_space:  global
        .offset:         40
        .size:           8
        .value_kind:     global_buffer
      - .address_space:  global
        .offset:         48
        .size:           8
        .value_kind:     global_buffer
      - .address_space:  global
        .offset:         56
        .size:           8
        .value_kind:     global_buffer
      - .offset:         64
        .size:           4
        .value_kind:     by_value
      - .offset:         68
        .size:           4
        .value_kind:     by_value
      - .offset:         72
        .size:           4
        .value_kind:     by_value
      - .offset:         76
        .size:           4
        .value_kind:     by_value
      - .offset:         80
        .size:           4
        .value_kind:     by_value
      - .offset:         84
        .size:           4
        .value_kind:     by_value
      - .offset:         88
        .size:           4
        .value_kind:     by_value
      - .offset:         92
        .size:           12
        .value_kind:     by_value
      - .offset:         104
        .size:           4
        .value_kind:     by_value
      - .offset:         108
        .size:           4
        .value_kind:     by_value
      - .offset:         112
        .size:           4
        .value_kind:     by_value
      - .offset:         116
        .size:           4
        .value_kind:     by_value
      - .offset:         120
        .size:           4
        .value_kind:     by_value
      - .offset:         124
        .size:           4
        .value_kind:     by_value
      - .offset:         128
        .size:           4
        .value_kind:     by_value
      - .offset:         132
        .size:           4
        .value_kind:     by_value
      - .offset:         136
        .size:           4
        .value_kind:     by_value
      - .offset:         140
        .size:           4
        .value_kind:     by_value
      - .offset:         144
        .size:           4
        .value_kind:     by_value
      - .offset:         152
        .size:           8
        .value_kind:     by_value
      - .offset:         160
        .size:           4
        .value_kind:     by_value
      - .offset:         164
        .size:           4
        .value_kind:     by_value
      - .offset:         168
        .size:           8
        .value_kind:     by_value
      - .offset:         176
        .size:           4
        .value_kind:     by_value
      - .offset:         180
        .size:           4
        .value_kind:     by_value
      - .offset:         184
        .size:           4
        .value_kind:     by_value
      - .offset:         188
        .size:           4
        .value_kind:     by_value
      - .offset:         192
        .size:           4
        .value_kind:     by_value
      - .offset:         200
        .size:           8
        .value_kind:     by_value
      - .offset:         208
        .size:           4
        .value_kind:     hidden_block_count_x
      - .offset:         212
        .size:           4
        .value_kind:     hidden_block_count_y
      - .offset:         216
        .size:           4
        .value_kind:     hidden_block_count_z
      - .offset:         220
        .size:           2
        .value_kind:     hidden_group_size_x
      - .offset:         222
        .size:           2
        .value_kind:     hidden_group_size_y
      - .offset:         224
        .size:           2
        .value_kind:     hidden_group_size_z
      - .offset:         226
        .size:           2
        .value_kind:     hidden_remainder_x
      - .offset:         228
        .size:           2
        .value_kind:     hidden_remainder_y
      - .offset:         230
        .size:           2
        .value_kind:     hidden_remainder_z
      - .offset:         248
        .size:           8
        .value_kind:     hidden_global_offset_x
      - .offset:         256
        .size:           8
        .value_kind:     hidden_global_offset_y
      - .offset:         264
        .size:           8
        .value_kind:     hidden_global_offset_z
      - .offset:         272
        .size:           2
        .value_kind:     hidden_grid_dims
    .group_segment_fixed_size: 21504
    .kernarg_segment_align: 8
    .kernarg_segment_size: 464
    .language:       OpenCL C
    .language_version:
      - 2
      - 0
    .max_flat_workgroup_size: 128
    .name:           _ZL15flash_attn_tileILi64ELi64ELi4ELi2ELb0EEvPKcS1_S1_S1_S1_PKiPfP15HIP_vector_typeIfLj2EEffffjfiS5_IjLj3EEiiiiiiiiiiiliiliiiiil
    .private_segment_fixed_size: 0
    .sgpr_count:     42
    .sgpr_spill_count: 0
    .symbol:         _ZL15flash_attn_tileILi64ELi64ELi4ELi2ELb0EEvPKcS1_S1_S1_S1_PKiPfP15HIP_vector_typeIfLj2EEffffjfiS5_IjLj3EEiiiiiiiiiiiliiliiiiil.kd
    .uniform_work_group_size: 1
    .uses_dynamic_stack: false
    .vgpr_count:     158
    .vgpr_spill_count: 0
    .wavefront_size: 32
    .workgroup_processor_mode: 1
  - .args:
      - .address_space:  global
        .offset:         0
        .size:           8
        .value_kind:     global_buffer
      - .address_space:  global
        .offset:         8
        .size:           8
        .value_kind:     global_buffer
      - .offset:         16
        .size:           4
        .value_kind:     by_value
      - .offset:         20
        .size:           4
        .value_kind:     by_value
      - .offset:         24
        .size:           4
        .value_kind:     by_value
      - .offset:         28
        .size:           4
        .value_kind:     by_value
      - .offset:         32
        .size:           4
        .value_kind:     by_value
      - .offset:         36
        .size:           4
        .value_kind:     by_value
      - .offset:         40
        .size:           12
        .value_kind:     by_value
      - .offset:         52
        .size:           12
        .value_kind:     by_value
      - .offset:         64
        .size:           12
        .value_kind:     by_value
    .group_segment_fixed_size: 0
    .kernarg_segment_align: 8
    .kernarg_segment_size: 76
    .language:       OpenCL C
    .language_version:
      - 2
      - 0
    .max_flat_workgroup_size: 64
    .name:           _ZL33flash_attn_stream_k_fixup_uniformILi64ELi4ELi2EEvPfPK15HIP_vector_typeIfLj2EEiiiiiiS1_IjLj3EES5_S5_
    .private_segment_fixed_size: 0
    .sgpr_count:     26
    .sgpr_spill_count: 0
    .symbol:         _ZL33flash_attn_stream_k_fixup_uniformILi64ELi4ELi2EEvPfPK15HIP_vector_typeIfLj2EEiiiiiiS1_IjLj3EES5_S5_.kd
    .uniform_work_group_size: 1
    .uses_dynamic_stack: false
    .vgpr_count:     15
    .vgpr_spill_count: 0
    .wavefront_size: 32
    .workgroup_processor_mode: 1
  - .args:
      - .address_space:  global
        .offset:         0
        .size:           8
        .value_kind:     global_buffer
      - .address_space:  global
        .offset:         8
        .size:           8
        .value_kind:     global_buffer
      - .offset:         16
        .size:           4
        .value_kind:     by_value
      - .offset:         20
        .size:           4
        .value_kind:     by_value
      - .offset:         24
        .size:           4
        .value_kind:     by_value
      - .offset:         28
        .size:           4
        .value_kind:     by_value
      - .offset:         32
        .size:           12
        .value_kind:     by_value
      - .offset:         44
        .size:           12
        .value_kind:     by_value
      - .offset:         56
        .size:           12
        .value_kind:     by_value
      - .offset:         68
        .size:           12
        .value_kind:     by_value
      - .offset:         80
        .size:           4
        .value_kind:     hidden_block_count_x
      - .offset:         84
        .size:           4
        .value_kind:     hidden_block_count_y
      - .offset:         88
        .size:           4
        .value_kind:     hidden_block_count_z
      - .offset:         92
        .size:           2
        .value_kind:     hidden_group_size_x
      - .offset:         94
        .size:           2
        .value_kind:     hidden_group_size_y
      - .offset:         96
        .size:           2
        .value_kind:     hidden_group_size_z
      - .offset:         98
        .size:           2
        .value_kind:     hidden_remainder_x
      - .offset:         100
        .size:           2
        .value_kind:     hidden_remainder_y
      - .offset:         102
        .size:           2
        .value_kind:     hidden_remainder_z
      - .offset:         120
        .size:           8
        .value_kind:     hidden_global_offset_x
      - .offset:         128
        .size:           8
        .value_kind:     hidden_global_offset_y
      - .offset:         136
        .size:           8
        .value_kind:     hidden_global_offset_z
      - .offset:         144
        .size:           2
        .value_kind:     hidden_grid_dims
    .group_segment_fixed_size: 0
    .kernarg_segment_align: 8
    .kernarg_segment_size: 336
    .language:       OpenCL C
    .language_version:
      - 2
      - 0
    .max_flat_workgroup_size: 64
    .name:           _ZL33flash_attn_stream_k_fixup_generalILi64ELi4ELi2EEvPfPK15HIP_vector_typeIfLj2EEiiiiS1_IjLj3EES5_S5_S5_
    .private_segment_fixed_size: 0
    .sgpr_count:     33
    .sgpr_spill_count: 0
    .symbol:         _ZL33flash_attn_stream_k_fixup_generalILi64ELi4ELi2EEvPfPK15HIP_vector_typeIfLj2EEiiiiS1_IjLj3EES5_S5_S5_.kd
    .uniform_work_group_size: 1
    .uses_dynamic_stack: false
    .vgpr_count:     17
    .vgpr_spill_count: 0
    .wavefront_size: 32
    .workgroup_processor_mode: 1
  - .args:
      - .address_space:  global
        .offset:         0
        .size:           8
        .value_kind:     global_buffer
      - .address_space:  global
        .offset:         8
        .size:           8
        .value_kind:     global_buffer
      - .address_space:  global
        .offset:         16
        .size:           8
        .value_kind:     global_buffer
      - .address_space:  global
        .offset:         24
        .size:           8
        .value_kind:     global_buffer
      - .address_space:  global
        .offset:         32
        .size:           8
        .value_kind:     global_buffer
      - .address_space:  global
        .offset:         40
        .size:           8
        .value_kind:     global_buffer
      - .address_space:  global
        .offset:         48
        .size:           8
        .value_kind:     global_buffer
      - .address_space:  global
        .offset:         56
        .size:           8
        .value_kind:     global_buffer
      - .offset:         64
        .size:           4
        .value_kind:     by_value
      - .offset:         68
        .size:           4
        .value_kind:     by_value
      - .offset:         72
        .size:           4
        .value_kind:     by_value
      - .offset:         76
        .size:           4
        .value_kind:     by_value
      - .offset:         80
        .size:           4
        .value_kind:     by_value
      - .offset:         84
        .size:           4
        .value_kind:     by_value
      - .offset:         88
        .size:           4
        .value_kind:     by_value
      - .offset:         92
        .size:           12
        .value_kind:     by_value
      - .offset:         104
        .size:           4
        .value_kind:     by_value
      - .offset:         108
        .size:           4
        .value_kind:     by_value
      - .offset:         112
        .size:           4
        .value_kind:     by_value
      - .offset:         116
        .size:           4
        .value_kind:     by_value
      - .offset:         120
        .size:           4
        .value_kind:     by_value
      - .offset:         124
        .size:           4
        .value_kind:     by_value
      - .offset:         128
        .size:           4
        .value_kind:     by_value
      - .offset:         132
        .size:           4
        .value_kind:     by_value
      - .offset:         136
        .size:           4
        .value_kind:     by_value
      - .offset:         140
        .size:           4
        .value_kind:     by_value
      - .offset:         144
        .size:           4
        .value_kind:     by_value
      - .offset:         152
        .size:           8
        .value_kind:     by_value
      - .offset:         160
        .size:           4
        .value_kind:     by_value
      - .offset:         164
        .size:           4
        .value_kind:     by_value
      - .offset:         168
        .size:           8
        .value_kind:     by_value
      - .offset:         176
        .size:           4
        .value_kind:     by_value
      - .offset:         180
        .size:           4
        .value_kind:     by_value
      - .offset:         184
        .size:           4
        .value_kind:     by_value
      - .offset:         188
        .size:           4
        .value_kind:     by_value
      - .offset:         192
        .size:           4
        .value_kind:     by_value
      - .offset:         200
        .size:           8
        .value_kind:     by_value
      - .offset:         208
        .size:           4
        .value_kind:     hidden_block_count_x
      - .offset:         212
        .size:           4
        .value_kind:     hidden_block_count_y
      - .offset:         216
        .size:           4
        .value_kind:     hidden_block_count_z
      - .offset:         220
        .size:           2
        .value_kind:     hidden_group_size_x
      - .offset:         222
        .size:           2
        .value_kind:     hidden_group_size_y
      - .offset:         224
        .size:           2
        .value_kind:     hidden_group_size_z
      - .offset:         226
        .size:           2
        .value_kind:     hidden_remainder_x
      - .offset:         228
        .size:           2
        .value_kind:     hidden_remainder_y
      - .offset:         230
        .size:           2
        .value_kind:     hidden_remainder_z
      - .offset:         248
        .size:           8
        .value_kind:     hidden_global_offset_x
      - .offset:         256
        .size:           8
        .value_kind:     hidden_global_offset_y
      - .offset:         264
        .size:           8
        .value_kind:     hidden_global_offset_z
      - .offset:         272
        .size:           2
        .value_kind:     hidden_grid_dims
    .group_segment_fixed_size: 5376
    .kernarg_segment_align: 8
    .kernarg_segment_size: 464
    .language:       OpenCL C
    .language_version:
      - 2
      - 0
    .max_flat_workgroup_size: 64
    .name:           _ZL15flash_attn_tileILi64ELi64ELi2ELi2ELb0EEvPKcS1_S1_S1_S1_PKiPfP15HIP_vector_typeIfLj2EEffffjfiS5_IjLj3EEiiiiiiiiiiiliiliiiiil
    .private_segment_fixed_size: 0
    .sgpr_count:     42
    .sgpr_spill_count: 0
    .symbol:         _ZL15flash_attn_tileILi64ELi64ELi2ELi2ELb0EEvPKcS1_S1_S1_S1_PKiPfP15HIP_vector_typeIfLj2EEffffjfiS5_IjLj3EEiiiiiiiiiiiliiliiiiil.kd
    .uniform_work_group_size: 1
    .uses_dynamic_stack: false
    .vgpr_count:     79
    .vgpr_spill_count: 0
    .wavefront_size: 32
    .workgroup_processor_mode: 1
  - .args:
      - .address_space:  global
        .offset:         0
        .size:           8
        .value_kind:     global_buffer
      - .address_space:  global
        .offset:         8
        .size:           8
        .value_kind:     global_buffer
      - .offset:         16
        .size:           4
        .value_kind:     by_value
      - .offset:         20
        .size:           4
        .value_kind:     by_value
      - .offset:         24
        .size:           4
        .value_kind:     by_value
      - .offset:         28
        .size:           4
        .value_kind:     by_value
      - .offset:         32
        .size:           4
        .value_kind:     by_value
      - .offset:         36
        .size:           4
        .value_kind:     by_value
      - .offset:         40
        .size:           12
        .value_kind:     by_value
      - .offset:         52
        .size:           12
        .value_kind:     by_value
      - .offset:         64
        .size:           12
        .value_kind:     by_value
    .group_segment_fixed_size: 0
    .kernarg_segment_align: 8
    .kernarg_segment_size: 76
    .language:       OpenCL C
    .language_version:
      - 2
      - 0
    .max_flat_workgroup_size: 64
    .name:           _ZL33flash_attn_stream_k_fixup_uniformILi64ELi2ELi2EEvPfPK15HIP_vector_typeIfLj2EEiiiiiiS1_IjLj3EES5_S5_
    .private_segment_fixed_size: 0
    .sgpr_count:     26
    .sgpr_spill_count: 0
    .symbol:         _ZL33flash_attn_stream_k_fixup_uniformILi64ELi2ELi2EEvPfPK15HIP_vector_typeIfLj2EEiiiiiiS1_IjLj3EES5_S5_.kd
    .uniform_work_group_size: 1
    .uses_dynamic_stack: false
    .vgpr_count:     15
    .vgpr_spill_count: 0
    .wavefront_size: 32
    .workgroup_processor_mode: 1
  - .args:
      - .address_space:  global
        .offset:         0
        .size:           8
        .value_kind:     global_buffer
      - .address_space:  global
        .offset:         8
        .size:           8
        .value_kind:     global_buffer
      - .offset:         16
        .size:           4
        .value_kind:     by_value
      - .offset:         20
        .size:           4
        .value_kind:     by_value
      - .offset:         24
        .size:           4
        .value_kind:     by_value
      - .offset:         28
        .size:           4
        .value_kind:     by_value
      - .offset:         32
        .size:           12
        .value_kind:     by_value
      - .offset:         44
        .size:           12
        .value_kind:     by_value
      - .offset:         56
        .size:           12
        .value_kind:     by_value
      - .offset:         68
        .size:           12
        .value_kind:     by_value
      - .offset:         80
        .size:           4
        .value_kind:     hidden_block_count_x
      - .offset:         84
        .size:           4
        .value_kind:     hidden_block_count_y
      - .offset:         88
        .size:           4
        .value_kind:     hidden_block_count_z
      - .offset:         92
        .size:           2
        .value_kind:     hidden_group_size_x
      - .offset:         94
        .size:           2
        .value_kind:     hidden_group_size_y
      - .offset:         96
        .size:           2
        .value_kind:     hidden_group_size_z
      - .offset:         98
        .size:           2
        .value_kind:     hidden_remainder_x
      - .offset:         100
        .size:           2
        .value_kind:     hidden_remainder_y
      - .offset:         102
        .size:           2
        .value_kind:     hidden_remainder_z
      - .offset:         120
        .size:           8
        .value_kind:     hidden_global_offset_x
      - .offset:         128
        .size:           8
        .value_kind:     hidden_global_offset_y
      - .offset:         136
        .size:           8
        .value_kind:     hidden_global_offset_z
      - .offset:         144
        .size:           2
        .value_kind:     hidden_grid_dims
    .group_segment_fixed_size: 0
    .kernarg_segment_align: 8
    .kernarg_segment_size: 336
    .language:       OpenCL C
    .language_version:
      - 2
      - 0
    .max_flat_workgroup_size: 64
    .name:           _ZL33flash_attn_stream_k_fixup_generalILi64ELi2ELi2EEvPfPK15HIP_vector_typeIfLj2EEiiiiS1_IjLj3EES5_S5_S5_
    .private_segment_fixed_size: 0
    .sgpr_count:     33
    .sgpr_spill_count: 0
    .symbol:         _ZL33flash_attn_stream_k_fixup_generalILi64ELi2ELi2EEvPfPK15HIP_vector_typeIfLj2EEiiiiS1_IjLj3EES5_S5_S5_.kd
    .uniform_work_group_size: 1
    .uses_dynamic_stack: false
    .vgpr_count:     17
    .vgpr_spill_count: 0
    .wavefront_size: 32
    .workgroup_processor_mode: 1
  - .args:
      - .address_space:  global
        .offset:         0
        .size:           8
        .value_kind:     global_buffer
      - .address_space:  global
        .offset:         8
        .size:           8
        .value_kind:     global_buffer
      - .address_space:  global
        .offset:         16
        .size:           8
        .value_kind:     global_buffer
      - .address_space:  global
        .offset:         24
        .size:           8
        .value_kind:     global_buffer
      - .address_space:  global
        .offset:         32
        .size:           8
        .value_kind:     global_buffer
      - .address_space:  global
        .offset:         40
        .size:           8
        .value_kind:     global_buffer
      - .address_space:  global
        .offset:         48
        .size:           8
        .value_kind:     global_buffer
      - .address_space:  global
        .offset:         56
        .size:           8
        .value_kind:     global_buffer
      - .offset:         64
        .size:           4
        .value_kind:     by_value
      - .offset:         68
        .size:           4
        .value_kind:     by_value
      - .offset:         72
        .size:           4
        .value_kind:     by_value
      - .offset:         76
        .size:           4
        .value_kind:     by_value
      - .offset:         80
        .size:           4
        .value_kind:     by_value
      - .offset:         84
        .size:           4
        .value_kind:     by_value
      - .offset:         88
        .size:           4
        .value_kind:     by_value
      - .offset:         92
        .size:           12
        .value_kind:     by_value
      - .offset:         104
        .size:           4
        .value_kind:     by_value
      - .offset:         108
        .size:           4
        .value_kind:     by_value
      - .offset:         112
        .size:           4
        .value_kind:     by_value
      - .offset:         116
        .size:           4
        .value_kind:     by_value
      - .offset:         120
        .size:           4
        .value_kind:     by_value
      - .offset:         124
        .size:           4
        .value_kind:     by_value
      - .offset:         128
        .size:           4
        .value_kind:     by_value
      - .offset:         132
        .size:           4
        .value_kind:     by_value
      - .offset:         136
        .size:           4
        .value_kind:     by_value
      - .offset:         140
        .size:           4
        .value_kind:     by_value
      - .offset:         144
        .size:           4
        .value_kind:     by_value
      - .offset:         152
        .size:           8
        .value_kind:     by_value
      - .offset:         160
        .size:           4
        .value_kind:     by_value
      - .offset:         164
        .size:           4
        .value_kind:     by_value
      - .offset:         168
        .size:           8
        .value_kind:     by_value
      - .offset:         176
        .size:           4
        .value_kind:     by_value
      - .offset:         180
        .size:           4
        .value_kind:     by_value
      - .offset:         184
        .size:           4
        .value_kind:     by_value
      - .offset:         188
        .size:           4
        .value_kind:     by_value
      - .offset:         192
        .size:           4
        .value_kind:     by_value
      - .offset:         200
        .size:           8
        .value_kind:     by_value
      - .offset:         208
        .size:           4
        .value_kind:     hidden_block_count_x
      - .offset:         212
        .size:           4
        .value_kind:     hidden_block_count_y
      - .offset:         216
        .size:           4
        .value_kind:     hidden_block_count_z
      - .offset:         220
        .size:           2
        .value_kind:     hidden_group_size_x
      - .offset:         222
        .size:           2
        .value_kind:     hidden_group_size_y
      - .offset:         224
        .size:           2
        .value_kind:     hidden_group_size_z
      - .offset:         226
        .size:           2
        .value_kind:     hidden_remainder_x
      - .offset:         228
        .size:           2
        .value_kind:     hidden_remainder_y
      - .offset:         230
        .size:           2
        .value_kind:     hidden_remainder_z
      - .offset:         248
        .size:           8
        .value_kind:     hidden_global_offset_x
      - .offset:         256
        .size:           8
        .value_kind:     hidden_global_offset_y
      - .offset:         264
        .size:           8
        .value_kind:     hidden_global_offset_z
      - .offset:         272
        .size:           2
        .value_kind:     hidden_grid_dims
    .group_segment_fixed_size: 4992
    .kernarg_segment_align: 8
    .kernarg_segment_size: 464
    .language:       OpenCL C
    .language_version:
      - 2
      - 0
    .max_flat_workgroup_size: 64
    .name:           _ZL15flash_attn_tileILi64ELi64ELi1ELi2ELb0EEvPKcS1_S1_S1_S1_PKiPfP15HIP_vector_typeIfLj2EEffffjfiS5_IjLj3EEiiiiiiiiiiiliiliiiiil
    .private_segment_fixed_size: 0
    .sgpr_count:     42
    .sgpr_spill_count: 0
    .symbol:         _ZL15flash_attn_tileILi64ELi64ELi1ELi2ELb0EEvPKcS1_S1_S1_S1_PKiPfP15HIP_vector_typeIfLj2EEffffjfiS5_IjLj3EEiiiiiiiiiiiliiliiiiil.kd
    .uniform_work_group_size: 1
    .uses_dynamic_stack: false
    .vgpr_count:     72
    .vgpr_spill_count: 0
    .wavefront_size: 32
    .workgroup_processor_mode: 1
  - .args:
      - .address_space:  global
        .offset:         0
        .size:           8
        .value_kind:     global_buffer
      - .address_space:  global
        .offset:         8
        .size:           8
        .value_kind:     global_buffer
      - .offset:         16
        .size:           4
        .value_kind:     by_value
      - .offset:         20
        .size:           4
        .value_kind:     by_value
      - .offset:         24
        .size:           4
        .value_kind:     by_value
      - .offset:         28
        .size:           4
        .value_kind:     by_value
      - .offset:         32
        .size:           4
        .value_kind:     by_value
      - .offset:         36
        .size:           4
        .value_kind:     by_value
      - .offset:         40
        .size:           12
        .value_kind:     by_value
      - .offset:         52
        .size:           12
        .value_kind:     by_value
      - .offset:         64
        .size:           12
        .value_kind:     by_value
    .group_segment_fixed_size: 0
    .kernarg_segment_align: 8
    .kernarg_segment_size: 76
    .language:       OpenCL C
    .language_version:
      - 2
      - 0
    .max_flat_workgroup_size: 64
    .name:           _ZL33flash_attn_stream_k_fixup_uniformILi64ELi1ELi2EEvPfPK15HIP_vector_typeIfLj2EEiiiiiiS1_IjLj3EES5_S5_
    .private_segment_fixed_size: 0
    .sgpr_count:     22
    .sgpr_spill_count: 0
    .symbol:         _ZL33flash_attn_stream_k_fixup_uniformILi64ELi1ELi2EEvPfPK15HIP_vector_typeIfLj2EEiiiiiiS1_IjLj3EES5_S5_.kd
    .uniform_work_group_size: 1
    .uses_dynamic_stack: false
    .vgpr_count:     15
    .vgpr_spill_count: 0
    .wavefront_size: 32
    .workgroup_processor_mode: 1
  - .args:
      - .address_space:  global
        .offset:         0
        .size:           8
        .value_kind:     global_buffer
      - .address_space:  global
        .offset:         8
        .size:           8
        .value_kind:     global_buffer
      - .offset:         16
        .size:           4
        .value_kind:     by_value
      - .offset:         20
        .size:           4
        .value_kind:     by_value
      - .offset:         24
        .size:           4
        .value_kind:     by_value
      - .offset:         28
        .size:           4
        .value_kind:     by_value
      - .offset:         32
        .size:           12
        .value_kind:     by_value
      - .offset:         44
        .size:           12
        .value_kind:     by_value
      - .offset:         56
        .size:           12
        .value_kind:     by_value
      - .offset:         68
        .size:           12
        .value_kind:     by_value
      - .offset:         80
        .size:           4
        .value_kind:     hidden_block_count_x
      - .offset:         84
        .size:           4
        .value_kind:     hidden_block_count_y
      - .offset:         88
        .size:           4
        .value_kind:     hidden_block_count_z
      - .offset:         92
        .size:           2
        .value_kind:     hidden_group_size_x
      - .offset:         94
        .size:           2
        .value_kind:     hidden_group_size_y
      - .offset:         96
        .size:           2
        .value_kind:     hidden_group_size_z
      - .offset:         98
        .size:           2
        .value_kind:     hidden_remainder_x
      - .offset:         100
        .size:           2
        .value_kind:     hidden_remainder_y
      - .offset:         102
        .size:           2
        .value_kind:     hidden_remainder_z
      - .offset:         120
        .size:           8
        .value_kind:     hidden_global_offset_x
      - .offset:         128
        .size:           8
        .value_kind:     hidden_global_offset_y
      - .offset:         136
        .size:           8
        .value_kind:     hidden_global_offset_z
      - .offset:         144
        .size:           2
        .value_kind:     hidden_grid_dims
    .group_segment_fixed_size: 0
    .kernarg_segment_align: 8
    .kernarg_segment_size: 336
    .language:       OpenCL C
    .language_version:
      - 2
      - 0
    .max_flat_workgroup_size: 64
    .name:           _ZL33flash_attn_stream_k_fixup_generalILi64ELi1ELi2EEvPfPK15HIP_vector_typeIfLj2EEiiiiS1_IjLj3EES5_S5_S5_
    .private_segment_fixed_size: 0
    .sgpr_count:     34
    .sgpr_spill_count: 0
    .symbol:         _ZL33flash_attn_stream_k_fixup_generalILi64ELi1ELi2EEvPfPK15HIP_vector_typeIfLj2EEiiiiS1_IjLj3EES5_S5_S5_.kd
    .uniform_work_group_size: 1
    .uses_dynamic_stack: false
    .vgpr_count:     17
    .vgpr_spill_count: 0
    .wavefront_size: 32
    .workgroup_processor_mode: 1
  - .args:
      - .address_space:  global
        .offset:         0
        .size:           8
        .value_kind:     global_buffer
      - .address_space:  global
        .offset:         8
        .size:           8
        .value_kind:     global_buffer
      - .address_space:  global
        .offset:         16
        .size:           8
        .value_kind:     global_buffer
      - .address_space:  global
        .offset:         24
        .size:           8
        .value_kind:     global_buffer
      - .address_space:  global
        .offset:         32
        .size:           8
        .value_kind:     global_buffer
      - .address_space:  global
        .offset:         40
        .size:           8
        .value_kind:     global_buffer
      - .address_space:  global
        .offset:         48
        .size:           8
        .value_kind:     global_buffer
      - .address_space:  global
        .offset:         56
        .size:           8
        .value_kind:     global_buffer
      - .offset:         64
        .size:           4
        .value_kind:     by_value
      - .offset:         68
        .size:           4
        .value_kind:     by_value
      - .offset:         72
        .size:           4
        .value_kind:     by_value
      - .offset:         76
        .size:           4
        .value_kind:     by_value
      - .offset:         80
        .size:           4
        .value_kind:     by_value
      - .offset:         84
        .size:           4
        .value_kind:     by_value
      - .offset:         88
        .size:           4
        .value_kind:     by_value
      - .offset:         92
        .size:           12
        .value_kind:     by_value
      - .offset:         104
        .size:           4
        .value_kind:     by_value
      - .offset:         108
        .size:           4
        .value_kind:     by_value
      - .offset:         112
        .size:           4
        .value_kind:     by_value
      - .offset:         116
        .size:           4
        .value_kind:     by_value
      - .offset:         120
        .size:           4
        .value_kind:     by_value
      - .offset:         124
        .size:           4
        .value_kind:     by_value
      - .offset:         128
        .size:           4
        .value_kind:     by_value
      - .offset:         132
        .size:           4
        .value_kind:     by_value
      - .offset:         136
        .size:           4
        .value_kind:     by_value
      - .offset:         140
        .size:           4
        .value_kind:     by_value
      - .offset:         144
        .size:           4
        .value_kind:     by_value
      - .offset:         152
        .size:           8
        .value_kind:     by_value
      - .offset:         160
        .size:           4
        .value_kind:     by_value
      - .offset:         164
        .size:           4
        .value_kind:     by_value
      - .offset:         168
        .size:           8
        .value_kind:     by_value
      - .offset:         176
        .size:           4
        .value_kind:     by_value
      - .offset:         180
        .size:           4
        .value_kind:     by_value
      - .offset:         184
        .size:           4
        .value_kind:     by_value
      - .offset:         188
        .size:           4
        .value_kind:     by_value
      - .offset:         192
        .size:           4
        .value_kind:     by_value
      - .offset:         200
        .size:           8
        .value_kind:     by_value
      - .offset:         208
        .size:           4
        .value_kind:     hidden_block_count_x
      - .offset:         212
        .size:           4
        .value_kind:     hidden_block_count_y
      - .offset:         216
        .size:           4
        .value_kind:     hidden_block_count_z
      - .offset:         220
        .size:           2
        .value_kind:     hidden_group_size_x
      - .offset:         222
        .size:           2
        .value_kind:     hidden_group_size_y
      - .offset:         224
        .size:           2
        .value_kind:     hidden_group_size_z
      - .offset:         226
        .size:           2
        .value_kind:     hidden_remainder_x
      - .offset:         228
        .size:           2
        .value_kind:     hidden_remainder_y
      - .offset:         230
        .size:           2
        .value_kind:     hidden_remainder_z
      - .offset:         248
        .size:           8
        .value_kind:     hidden_global_offset_x
      - .offset:         256
        .size:           8
        .value_kind:     hidden_global_offset_y
      - .offset:         264
        .size:           8
        .value_kind:     hidden_global_offset_z
      - .offset:         272
        .size:           2
        .value_kind:     hidden_grid_dims
    .group_segment_fixed_size: 25600
    .kernarg_segment_align: 8
    .kernarg_segment_size: 464
    .language:       OpenCL C
    .language_version:
      - 2
      - 0
    .max_flat_workgroup_size: 128
    .name:           _ZL15flash_attn_tileILi64ELi64ELi64ELi1ELb0EEvPKcS1_S1_S1_S1_PKiPfP15HIP_vector_typeIfLj2EEffffjfiS5_IjLj3EEiiiiiiiiiiiliiliiiiil
    .private_segment_fixed_size: 256
    .sgpr_count:     54
    .sgpr_spill_count: 0
    .symbol:         _ZL15flash_attn_tileILi64ELi64ELi64ELi1ELb0EEvPKcS1_S1_S1_S1_PKiPfP15HIP_vector_typeIfLj2EEffffjfiS5_IjLj3EEiiiiiiiiiiiliiliiiiil.kd
    .uniform_work_group_size: 1
    .uses_dynamic_stack: false
    .vgpr_count:     192
    .vgpr_spill_count: 58
    .wavefront_size: 32
    .workgroup_processor_mode: 1
  - .args:
      - .actual_access:  read_only
        .address_space:  global
        .offset:         0
        .size:           8
        .value_kind:     global_buffer
      - .actual_access:  write_only
        .address_space:  global
        .offset:         8
        .size:           8
        .value_kind:     global_buffer
      - .offset:         16
        .size:           4
        .value_kind:     by_value
      - .offset:         20
        .size:           4
        .value_kind:     by_value
      - .offset:         24
        .size:           4
        .value_kind:     by_value
      - .offset:         32
        .size:           4
        .value_kind:     hidden_block_count_x
      - .offset:         36
        .size:           4
        .value_kind:     hidden_block_count_y
      - .offset:         40
        .size:           4
        .value_kind:     hidden_block_count_z
      - .offset:         44
        .size:           2
        .value_kind:     hidden_group_size_x
      - .offset:         46
        .size:           2
        .value_kind:     hidden_group_size_y
      - .offset:         48
        .size:           2
        .value_kind:     hidden_group_size_z
      - .offset:         50
        .size:           2
        .value_kind:     hidden_remainder_x
      - .offset:         52
        .size:           2
        .value_kind:     hidden_remainder_y
      - .offset:         54
        .size:           2
        .value_kind:     hidden_remainder_z
      - .offset:         72
        .size:           8
        .value_kind:     hidden_global_offset_x
      - .offset:         80
        .size:           8
        .value_kind:     hidden_global_offset_y
      - .offset:         88
        .size:           8
        .value_kind:     hidden_global_offset_z
      - .offset:         96
        .size:           2
        .value_kind:     hidden_grid_dims
    .group_segment_fixed_size: 128
    .kernarg_segment_align: 8
    .kernarg_segment_size: 288
    .language:       OpenCL C
    .language_version:
      - 2
      - 0
    .max_flat_workgroup_size: 128
    .name:           _ZL25flash_attn_mask_to_KV_maxILi64EEvPK7__half2Piiii
    .private_segment_fixed_size: 0
    .sgpr_count:     107
    .sgpr_spill_count: 37
    .symbol:         _ZL25flash_attn_mask_to_KV_maxILi64EEvPK7__half2Piiii.kd
    .uniform_work_group_size: 1
    .uses_dynamic_stack: false
    .vgpr_count:     12
    .vgpr_spill_count: 0
    .wavefront_size: 32
    .workgroup_processor_mode: 1
  - .args:
      - .address_space:  global
        .offset:         0
        .size:           8
        .value_kind:     global_buffer
      - .address_space:  global
        .offset:         8
        .size:           8
        .value_kind:     global_buffer
      - .offset:         16
        .size:           4
        .value_kind:     by_value
      - .offset:         20
        .size:           4
        .value_kind:     by_value
      - .offset:         24
        .size:           4
        .value_kind:     by_value
      - .offset:         28
        .size:           4
        .value_kind:     by_value
      - .offset:         32
        .size:           4
        .value_kind:     by_value
      - .offset:         36
        .size:           4
        .value_kind:     by_value
      - .offset:         40
        .size:           12
        .value_kind:     by_value
      - .offset:         52
        .size:           12
        .value_kind:     by_value
      - .offset:         64
        .size:           12
        .value_kind:     by_value
    .group_segment_fixed_size: 0
    .kernarg_segment_align: 8
    .kernarg_segment_size: 76
    .language:       OpenCL C
    .language_version:
      - 2
      - 0
    .max_flat_workgroup_size: 64
    .name:           _ZL33flash_attn_stream_k_fixup_uniformILi64ELi64ELi1EEvPfPK15HIP_vector_typeIfLj2EEiiiiiiS1_IjLj3EES5_S5_
    .private_segment_fixed_size: 0
    .sgpr_count:     26
    .sgpr_spill_count: 0
    .symbol:         _ZL33flash_attn_stream_k_fixup_uniformILi64ELi64ELi1EEvPfPK15HIP_vector_typeIfLj2EEiiiiiiS1_IjLj3EES5_S5_.kd
    .uniform_work_group_size: 1
    .uses_dynamic_stack: false
    .vgpr_count:     15
    .vgpr_spill_count: 0
    .wavefront_size: 32
    .workgroup_processor_mode: 1
  - .args:
      - .address_space:  global
        .offset:         0
        .size:           8
        .value_kind:     global_buffer
      - .address_space:  global
        .offset:         8
        .size:           8
        .value_kind:     global_buffer
      - .offset:         16
        .size:           4
        .value_kind:     by_value
      - .offset:         20
        .size:           4
        .value_kind:     by_value
      - .offset:         24
        .size:           4
        .value_kind:     by_value
      - .offset:         28
        .size:           4
        .value_kind:     by_value
      - .offset:         32
        .size:           12
        .value_kind:     by_value
      - .offset:         44
        .size:           12
        .value_kind:     by_value
      - .offset:         56
        .size:           12
        .value_kind:     by_value
      - .offset:         68
        .size:           12
        .value_kind:     by_value
      - .offset:         80
        .size:           4
        .value_kind:     hidden_block_count_x
      - .offset:         84
        .size:           4
        .value_kind:     hidden_block_count_y
      - .offset:         88
        .size:           4
        .value_kind:     hidden_block_count_z
      - .offset:         92
        .size:           2
        .value_kind:     hidden_group_size_x
      - .offset:         94
        .size:           2
        .value_kind:     hidden_group_size_y
      - .offset:         96
        .size:           2
        .value_kind:     hidden_group_size_z
      - .offset:         98
        .size:           2
        .value_kind:     hidden_remainder_x
      - .offset:         100
        .size:           2
        .value_kind:     hidden_remainder_y
      - .offset:         102
        .size:           2
        .value_kind:     hidden_remainder_z
      - .offset:         120
        .size:           8
        .value_kind:     hidden_global_offset_x
      - .offset:         128
        .size:           8
        .value_kind:     hidden_global_offset_y
      - .offset:         136
        .size:           8
        .value_kind:     hidden_global_offset_z
      - .offset:         144
        .size:           2
        .value_kind:     hidden_grid_dims
    .group_segment_fixed_size: 0
    .kernarg_segment_align: 8
    .kernarg_segment_size: 336
    .language:       OpenCL C
    .language_version:
      - 2
      - 0
    .max_flat_workgroup_size: 64
    .name:           _ZL33flash_attn_stream_k_fixup_generalILi64ELi64ELi1EEvPfPK15HIP_vector_typeIfLj2EEiiiiS1_IjLj3EES5_S5_S5_
    .private_segment_fixed_size: 0
    .sgpr_count:     33
    .sgpr_spill_count: 0
    .symbol:         _ZL33flash_attn_stream_k_fixup_generalILi64ELi64ELi1EEvPfPK15HIP_vector_typeIfLj2EEiiiiS1_IjLj3EES5_S5_S5_.kd
    .uniform_work_group_size: 1
    .uses_dynamic_stack: false
    .vgpr_count:     17
    .vgpr_spill_count: 0
    .wavefront_size: 32
    .workgroup_processor_mode: 1
  - .args:
      - .address_space:  global
        .offset:         0
        .size:           8
        .value_kind:     global_buffer
      - .address_space:  global
        .offset:         8
        .size:           8
        .value_kind:     global_buffer
      - .address_space:  global
        .offset:         16
        .size:           8
        .value_kind:     global_buffer
      - .address_space:  global
        .offset:         24
        .size:           8
        .value_kind:     global_buffer
      - .address_space:  global
        .offset:         32
        .size:           8
        .value_kind:     global_buffer
      - .address_space:  global
        .offset:         40
        .size:           8
        .value_kind:     global_buffer
      - .address_space:  global
        .offset:         48
        .size:           8
        .value_kind:     global_buffer
      - .address_space:  global
        .offset:         56
        .size:           8
        .value_kind:     global_buffer
      - .offset:         64
        .size:           4
        .value_kind:     by_value
      - .offset:         68
        .size:           4
        .value_kind:     by_value
      - .offset:         72
        .size:           4
        .value_kind:     by_value
      - .offset:         76
        .size:           4
        .value_kind:     by_value
      - .offset:         80
        .size:           4
        .value_kind:     by_value
      - .offset:         84
        .size:           4
        .value_kind:     by_value
      - .offset:         88
        .size:           4
        .value_kind:     by_value
      - .offset:         92
        .size:           12
        .value_kind:     by_value
      - .offset:         104
        .size:           4
        .value_kind:     by_value
      - .offset:         108
        .size:           4
        .value_kind:     by_value
      - .offset:         112
        .size:           4
        .value_kind:     by_value
      - .offset:         116
        .size:           4
        .value_kind:     by_value
      - .offset:         120
        .size:           4
        .value_kind:     by_value
      - .offset:         124
        .size:           4
        .value_kind:     by_value
      - .offset:         128
        .size:           4
        .value_kind:     by_value
      - .offset:         132
        .size:           4
        .value_kind:     by_value
      - .offset:         136
        .size:           4
        .value_kind:     by_value
      - .offset:         140
        .size:           4
        .value_kind:     by_value
      - .offset:         144
        .size:           4
        .value_kind:     by_value
      - .offset:         152
        .size:           8
        .value_kind:     by_value
      - .offset:         160
        .size:           4
        .value_kind:     by_value
      - .offset:         164
        .size:           4
        .value_kind:     by_value
      - .offset:         168
        .size:           8
        .value_kind:     by_value
      - .offset:         176
        .size:           4
        .value_kind:     by_value
      - .offset:         180
        .size:           4
        .value_kind:     by_value
      - .offset:         184
        .size:           4
        .value_kind:     by_value
      - .offset:         188
        .size:           4
        .value_kind:     by_value
      - .offset:         192
        .size:           4
        .value_kind:     by_value
      - .offset:         200
        .size:           8
        .value_kind:     by_value
      - .offset:         208
        .size:           4
        .value_kind:     hidden_block_count_x
      - .offset:         212
        .size:           4
        .value_kind:     hidden_block_count_y
      - .offset:         216
        .size:           4
        .value_kind:     hidden_block_count_z
      - .offset:         220
        .size:           2
        .value_kind:     hidden_group_size_x
      - .offset:         222
        .size:           2
        .value_kind:     hidden_group_size_y
      - .offset:         224
        .size:           2
        .value_kind:     hidden_group_size_z
      - .offset:         226
        .size:           2
        .value_kind:     hidden_remainder_x
      - .offset:         228
        .size:           2
        .value_kind:     hidden_remainder_y
      - .offset:         230
        .size:           2
        .value_kind:     hidden_remainder_z
      - .offset:         248
        .size:           8
        .value_kind:     hidden_global_offset_x
      - .offset:         256
        .size:           8
        .value_kind:     hidden_global_offset_y
      - .offset:         264
        .size:           8
        .value_kind:     hidden_global_offset_z
      - .offset:         272
        .size:           2
        .value_kind:     hidden_grid_dims
    .group_segment_fixed_size: 17408
    .kernarg_segment_align: 8
    .kernarg_segment_size: 464
    .language:       OpenCL C
    .language_version:
      - 2
      - 0
    .max_flat_workgroup_size: 128
    .name:           _ZL15flash_attn_tileILi64ELi64ELi32ELi1ELb0EEvPKcS1_S1_S1_S1_PKiPfP15HIP_vector_typeIfLj2EEffffjfiS5_IjLj3EEiiiiiiiiiiiliiliiiiil
    .private_segment_fixed_size: 32
    .sgpr_count:     54
    .sgpr_spill_count: 0
    .symbol:         _ZL15flash_attn_tileILi64ELi64ELi32ELi1ELb0EEvPKcS1_S1_S1_S1_PKiPfP15HIP_vector_typeIfLj2EEffffjfiS5_IjLj3EEiiiiiiiiiiiliiliiiiil.kd
    .uniform_work_group_size: 1
    .uses_dynamic_stack: false
    .vgpr_count:     156
    .vgpr_spill_count: 0
    .wavefront_size: 32
    .workgroup_processor_mode: 1
  - .args:
      - .address_space:  global
        .offset:         0
        .size:           8
        .value_kind:     global_buffer
      - .address_space:  global
        .offset:         8
        .size:           8
        .value_kind:     global_buffer
      - .offset:         16
        .size:           4
        .value_kind:     by_value
      - .offset:         20
        .size:           4
        .value_kind:     by_value
      - .offset:         24
        .size:           4
        .value_kind:     by_value
      - .offset:         28
        .size:           4
        .value_kind:     by_value
      - .offset:         32
        .size:           4
        .value_kind:     by_value
      - .offset:         36
        .size:           4
        .value_kind:     by_value
      - .offset:         40
        .size:           12
        .value_kind:     by_value
      - .offset:         52
        .size:           12
        .value_kind:     by_value
      - .offset:         64
        .size:           12
        .value_kind:     by_value
    .group_segment_fixed_size: 0
    .kernarg_segment_align: 8
    .kernarg_segment_size: 76
    .language:       OpenCL C
    .language_version:
      - 2
      - 0
    .max_flat_workgroup_size: 64
    .name:           _ZL33flash_attn_stream_k_fixup_uniformILi64ELi32ELi1EEvPfPK15HIP_vector_typeIfLj2EEiiiiiiS1_IjLj3EES5_S5_
    .private_segment_fixed_size: 0
    .sgpr_count:     26
    .sgpr_spill_count: 0
    .symbol:         _ZL33flash_attn_stream_k_fixup_uniformILi64ELi32ELi1EEvPfPK15HIP_vector_typeIfLj2EEiiiiiiS1_IjLj3EES5_S5_.kd
    .uniform_work_group_size: 1
    .uses_dynamic_stack: false
    .vgpr_count:     15
    .vgpr_spill_count: 0
    .wavefront_size: 32
    .workgroup_processor_mode: 1
  - .args:
      - .address_space:  global
        .offset:         0
        .size:           8
        .value_kind:     global_buffer
      - .address_space:  global
        .offset:         8
        .size:           8
        .value_kind:     global_buffer
      - .offset:         16
        .size:           4
        .value_kind:     by_value
      - .offset:         20
        .size:           4
        .value_kind:     by_value
      - .offset:         24
        .size:           4
        .value_kind:     by_value
      - .offset:         28
        .size:           4
        .value_kind:     by_value
      - .offset:         32
        .size:           12
        .value_kind:     by_value
      - .offset:         44
        .size:           12
        .value_kind:     by_value
      - .offset:         56
        .size:           12
        .value_kind:     by_value
      - .offset:         68
        .size:           12
        .value_kind:     by_value
      - .offset:         80
        .size:           4
        .value_kind:     hidden_block_count_x
      - .offset:         84
        .size:           4
        .value_kind:     hidden_block_count_y
      - .offset:         88
        .size:           4
        .value_kind:     hidden_block_count_z
      - .offset:         92
        .size:           2
        .value_kind:     hidden_group_size_x
      - .offset:         94
        .size:           2
        .value_kind:     hidden_group_size_y
      - .offset:         96
        .size:           2
        .value_kind:     hidden_group_size_z
      - .offset:         98
        .size:           2
        .value_kind:     hidden_remainder_x
      - .offset:         100
        .size:           2
        .value_kind:     hidden_remainder_y
      - .offset:         102
        .size:           2
        .value_kind:     hidden_remainder_z
      - .offset:         120
        .size:           8
        .value_kind:     hidden_global_offset_x
      - .offset:         128
        .size:           8
        .value_kind:     hidden_global_offset_y
      - .offset:         136
        .size:           8
        .value_kind:     hidden_global_offset_z
      - .offset:         144
        .size:           2
        .value_kind:     hidden_grid_dims
    .group_segment_fixed_size: 0
    .kernarg_segment_align: 8
    .kernarg_segment_size: 336
    .language:       OpenCL C
    .language_version:
      - 2
      - 0
    .max_flat_workgroup_size: 64
    .name:           _ZL33flash_attn_stream_k_fixup_generalILi64ELi32ELi1EEvPfPK15HIP_vector_typeIfLj2EEiiiiS1_IjLj3EES5_S5_S5_
    .private_segment_fixed_size: 0
    .sgpr_count:     33
    .sgpr_spill_count: 0
    .symbol:         _ZL33flash_attn_stream_k_fixup_generalILi64ELi32ELi1EEvPfPK15HIP_vector_typeIfLj2EEiiiiS1_IjLj3EES5_S5_S5_.kd
    .uniform_work_group_size: 1
    .uses_dynamic_stack: false
    .vgpr_count:     17
    .vgpr_spill_count: 0
    .wavefront_size: 32
    .workgroup_processor_mode: 1
  - .args:
      - .address_space:  global
        .offset:         0
        .size:           8
        .value_kind:     global_buffer
      - .address_space:  global
        .offset:         8
        .size:           8
        .value_kind:     global_buffer
      - .address_space:  global
        .offset:         16
        .size:           8
        .value_kind:     global_buffer
      - .address_space:  global
        .offset:         24
        .size:           8
        .value_kind:     global_buffer
      - .address_space:  global
        .offset:         32
        .size:           8
        .value_kind:     global_buffer
      - .address_space:  global
        .offset:         40
        .size:           8
        .value_kind:     global_buffer
      - .address_space:  global
        .offset:         48
        .size:           8
        .value_kind:     global_buffer
      - .address_space:  global
        .offset:         56
        .size:           8
        .value_kind:     global_buffer
      - .offset:         64
        .size:           4
        .value_kind:     by_value
      - .offset:         68
        .size:           4
        .value_kind:     by_value
      - .offset:         72
        .size:           4
        .value_kind:     by_value
      - .offset:         76
        .size:           4
        .value_kind:     by_value
      - .offset:         80
        .size:           4
        .value_kind:     by_value
      - .offset:         84
        .size:           4
        .value_kind:     by_value
      - .offset:         88
        .size:           4
        .value_kind:     by_value
      - .offset:         92
        .size:           12
        .value_kind:     by_value
      - .offset:         104
        .size:           4
        .value_kind:     by_value
      - .offset:         108
        .size:           4
        .value_kind:     by_value
      - .offset:         112
        .size:           4
        .value_kind:     by_value
      - .offset:         116
        .size:           4
        .value_kind:     by_value
      - .offset:         120
        .size:           4
        .value_kind:     by_value
      - .offset:         124
        .size:           4
        .value_kind:     by_value
      - .offset:         128
        .size:           4
        .value_kind:     by_value
      - .offset:         132
        .size:           4
        .value_kind:     by_value
      - .offset:         136
        .size:           4
        .value_kind:     by_value
      - .offset:         140
        .size:           4
        .value_kind:     by_value
      - .offset:         144
        .size:           4
        .value_kind:     by_value
      - .offset:         152
        .size:           8
        .value_kind:     by_value
      - .offset:         160
        .size:           4
        .value_kind:     by_value
      - .offset:         164
        .size:           4
        .value_kind:     by_value
      - .offset:         168
        .size:           8
        .value_kind:     by_value
      - .offset:         176
        .size:           4
        .value_kind:     by_value
      - .offset:         180
        .size:           4
        .value_kind:     by_value
      - .offset:         184
        .size:           4
        .value_kind:     by_value
      - .offset:         188
        .size:           4
        .value_kind:     by_value
      - .offset:         192
        .size:           4
        .value_kind:     by_value
      - .offset:         200
        .size:           8
        .value_kind:     by_value
      - .offset:         208
        .size:           4
        .value_kind:     hidden_block_count_x
      - .offset:         212
        .size:           4
        .value_kind:     hidden_block_count_y
      - .offset:         216
        .size:           4
        .value_kind:     hidden_block_count_z
      - .offset:         220
        .size:           2
        .value_kind:     hidden_group_size_x
      - .offset:         222
        .size:           2
        .value_kind:     hidden_group_size_y
      - .offset:         224
        .size:           2
        .value_kind:     hidden_group_size_z
      - .offset:         226
        .size:           2
        .value_kind:     hidden_remainder_x
      - .offset:         228
        .size:           2
        .value_kind:     hidden_remainder_y
      - .offset:         230
        .size:           2
        .value_kind:     hidden_remainder_z
      - .offset:         248
        .size:           8
        .value_kind:     hidden_global_offset_x
      - .offset:         256
        .size:           8
        .value_kind:     hidden_global_offset_y
      - .offset:         264
        .size:           8
        .value_kind:     hidden_global_offset_z
      - .offset:         272
        .size:           2
        .value_kind:     hidden_grid_dims
    .group_segment_fixed_size: 24576
    .kernarg_segment_align: 8
    .kernarg_segment_size: 464
    .language:       OpenCL C
    .language_version:
      - 2
      - 0
    .max_flat_workgroup_size: 128
    .name:           _ZL15flash_attn_tileILi64ELi64ELi16ELi1ELb0EEvPKcS1_S1_S1_S1_PKiPfP15HIP_vector_typeIfLj2EEffffjfiS5_IjLj3EEiiiiiiiiiiiliiliiiiil
    .private_segment_fixed_size: 32
    .sgpr_count:     54
    .sgpr_spill_count: 0
    .symbol:         _ZL15flash_attn_tileILi64ELi64ELi16ELi1ELb0EEvPKcS1_S1_S1_S1_PKiPfP15HIP_vector_typeIfLj2EEffffjfiS5_IjLj3EEiiiiiiiiiiiliiliiiiil.kd
    .uniform_work_group_size: 1
    .uses_dynamic_stack: false
    .vgpr_count:     166
    .vgpr_spill_count: 0
    .wavefront_size: 32
    .workgroup_processor_mode: 1
  - .args:
      - .address_space:  global
        .offset:         0
        .size:           8
        .value_kind:     global_buffer
      - .address_space:  global
        .offset:         8
        .size:           8
        .value_kind:     global_buffer
      - .offset:         16
        .size:           4
        .value_kind:     by_value
      - .offset:         20
        .size:           4
        .value_kind:     by_value
      - .offset:         24
        .size:           4
        .value_kind:     by_value
      - .offset:         28
        .size:           4
        .value_kind:     by_value
      - .offset:         32
        .size:           4
        .value_kind:     by_value
      - .offset:         36
        .size:           4
        .value_kind:     by_value
      - .offset:         40
        .size:           12
        .value_kind:     by_value
      - .offset:         52
        .size:           12
        .value_kind:     by_value
      - .offset:         64
        .size:           12
        .value_kind:     by_value
    .group_segment_fixed_size: 0
    .kernarg_segment_align: 8
    .kernarg_segment_size: 76
    .language:       OpenCL C
    .language_version:
      - 2
      - 0
    .max_flat_workgroup_size: 64
    .name:           _ZL33flash_attn_stream_k_fixup_uniformILi64ELi16ELi1EEvPfPK15HIP_vector_typeIfLj2EEiiiiiiS1_IjLj3EES5_S5_
    .private_segment_fixed_size: 0
    .sgpr_count:     26
    .sgpr_spill_count: 0
    .symbol:         _ZL33flash_attn_stream_k_fixup_uniformILi64ELi16ELi1EEvPfPK15HIP_vector_typeIfLj2EEiiiiiiS1_IjLj3EES5_S5_.kd
    .uniform_work_group_size: 1
    .uses_dynamic_stack: false
    .vgpr_count:     15
    .vgpr_spill_count: 0
    .wavefront_size: 32
    .workgroup_processor_mode: 1
  - .args:
      - .address_space:  global
        .offset:         0
        .size:           8
        .value_kind:     global_buffer
      - .address_space:  global
        .offset:         8
        .size:           8
        .value_kind:     global_buffer
      - .offset:         16
        .size:           4
        .value_kind:     by_value
      - .offset:         20
        .size:           4
        .value_kind:     by_value
      - .offset:         24
        .size:           4
        .value_kind:     by_value
      - .offset:         28
        .size:           4
        .value_kind:     by_value
      - .offset:         32
        .size:           12
        .value_kind:     by_value
      - .offset:         44
        .size:           12
        .value_kind:     by_value
      - .offset:         56
        .size:           12
        .value_kind:     by_value
      - .offset:         68
        .size:           12
        .value_kind:     by_value
      - .offset:         80
        .size:           4
        .value_kind:     hidden_block_count_x
      - .offset:         84
        .size:           4
        .value_kind:     hidden_block_count_y
      - .offset:         88
        .size:           4
        .value_kind:     hidden_block_count_z
      - .offset:         92
        .size:           2
        .value_kind:     hidden_group_size_x
      - .offset:         94
        .size:           2
        .value_kind:     hidden_group_size_y
      - .offset:         96
        .size:           2
        .value_kind:     hidden_group_size_z
      - .offset:         98
        .size:           2
        .value_kind:     hidden_remainder_x
      - .offset:         100
        .size:           2
        .value_kind:     hidden_remainder_y
      - .offset:         102
        .size:           2
        .value_kind:     hidden_remainder_z
      - .offset:         120
        .size:           8
        .value_kind:     hidden_global_offset_x
      - .offset:         128
        .size:           8
        .value_kind:     hidden_global_offset_y
      - .offset:         136
        .size:           8
        .value_kind:     hidden_global_offset_z
      - .offset:         144
        .size:           2
        .value_kind:     hidden_grid_dims
    .group_segment_fixed_size: 0
    .kernarg_segment_align: 8
    .kernarg_segment_size: 336
    .language:       OpenCL C
    .language_version:
      - 2
      - 0
    .max_flat_workgroup_size: 64
    .name:           _ZL33flash_attn_stream_k_fixup_generalILi64ELi16ELi1EEvPfPK15HIP_vector_typeIfLj2EEiiiiS1_IjLj3EES5_S5_S5_
    .private_segment_fixed_size: 0
    .sgpr_count:     33
    .sgpr_spill_count: 0
    .symbol:         _ZL33flash_attn_stream_k_fixup_generalILi64ELi16ELi1EEvPfPK15HIP_vector_typeIfLj2EEiiiiS1_IjLj3EES5_S5_S5_.kd
    .uniform_work_group_size: 1
    .uses_dynamic_stack: false
    .vgpr_count:     17
    .vgpr_spill_count: 0
    .wavefront_size: 32
    .workgroup_processor_mode: 1
  - .args:
      - .address_space:  global
        .offset:         0
        .size:           8
        .value_kind:     global_buffer
      - .address_space:  global
        .offset:         8
        .size:           8
        .value_kind:     global_buffer
      - .address_space:  global
        .offset:         16
        .size:           8
        .value_kind:     global_buffer
      - .address_space:  global
        .offset:         24
        .size:           8
        .value_kind:     global_buffer
      - .address_space:  global
        .offset:         32
        .size:           8
        .value_kind:     global_buffer
      - .address_space:  global
        .offset:         40
        .size:           8
        .value_kind:     global_buffer
      - .address_space:  global
        .offset:         48
        .size:           8
        .value_kind:     global_buffer
      - .address_space:  global
        .offset:         56
        .size:           8
        .value_kind:     global_buffer
      - .offset:         64
        .size:           4
        .value_kind:     by_value
      - .offset:         68
        .size:           4
        .value_kind:     by_value
      - .offset:         72
        .size:           4
        .value_kind:     by_value
      - .offset:         76
        .size:           4
        .value_kind:     by_value
      - .offset:         80
        .size:           4
        .value_kind:     by_value
      - .offset:         84
        .size:           4
        .value_kind:     by_value
      - .offset:         88
        .size:           4
        .value_kind:     by_value
      - .offset:         92
        .size:           12
        .value_kind:     by_value
      - .offset:         104
        .size:           4
        .value_kind:     by_value
      - .offset:         108
        .size:           4
        .value_kind:     by_value
      - .offset:         112
        .size:           4
        .value_kind:     by_value
      - .offset:         116
        .size:           4
        .value_kind:     by_value
      - .offset:         120
        .size:           4
        .value_kind:     by_value
      - .offset:         124
        .size:           4
        .value_kind:     by_value
      - .offset:         128
        .size:           4
        .value_kind:     by_value
      - .offset:         132
        .size:           4
        .value_kind:     by_value
      - .offset:         136
        .size:           4
        .value_kind:     by_value
      - .offset:         140
        .size:           4
        .value_kind:     by_value
      - .offset:         144
        .size:           4
        .value_kind:     by_value
      - .offset:         152
        .size:           8
        .value_kind:     by_value
      - .offset:         160
        .size:           4
        .value_kind:     by_value
      - .offset:         164
        .size:           4
        .value_kind:     by_value
      - .offset:         168
        .size:           8
        .value_kind:     by_value
      - .offset:         176
        .size:           4
        .value_kind:     by_value
      - .offset:         180
        .size:           4
        .value_kind:     by_value
      - .offset:         184
        .size:           4
        .value_kind:     by_value
      - .offset:         188
        .size:           4
        .value_kind:     by_value
      - .offset:         192
        .size:           4
        .value_kind:     by_value
      - .offset:         200
        .size:           8
        .value_kind:     by_value
      - .offset:         208
        .size:           4
        .value_kind:     hidden_block_count_x
      - .offset:         212
        .size:           4
        .value_kind:     hidden_block_count_y
      - .offset:         216
        .size:           4
        .value_kind:     hidden_block_count_z
      - .offset:         220
        .size:           2
        .value_kind:     hidden_group_size_x
      - .offset:         222
        .size:           2
        .value_kind:     hidden_group_size_y
      - .offset:         224
        .size:           2
        .value_kind:     hidden_group_size_z
      - .offset:         226
        .size:           2
        .value_kind:     hidden_remainder_x
      - .offset:         228
        .size:           2
        .value_kind:     hidden_remainder_y
      - .offset:         230
        .size:           2
        .value_kind:     hidden_remainder_z
      - .offset:         248
        .size:           8
        .value_kind:     hidden_global_offset_x
      - .offset:         256
        .size:           8
        .value_kind:     hidden_global_offset_y
      - .offset:         264
        .size:           8
        .value_kind:     hidden_global_offset_z
      - .offset:         272
        .size:           2
        .value_kind:     hidden_grid_dims
    .group_segment_fixed_size: 21504
    .kernarg_segment_align: 8
    .kernarg_segment_size: 464
    .language:       OpenCL C
    .language_version:
      - 2
      - 0
    .max_flat_workgroup_size: 128
    .name:           _ZL15flash_attn_tileILi64ELi64ELi8ELi1ELb0EEvPKcS1_S1_S1_S1_PKiPfP15HIP_vector_typeIfLj2EEffffjfiS5_IjLj3EEiiiiiiiiiiiliiliiiiil
    .private_segment_fixed_size: 32
    .sgpr_count:     55
    .sgpr_spill_count: 0
    .symbol:         _ZL15flash_attn_tileILi64ELi64ELi8ELi1ELb0EEvPKcS1_S1_S1_S1_PKiPfP15HIP_vector_typeIfLj2EEffffjfiS5_IjLj3EEiiiiiiiiiiiliiliiiiil.kd
    .uniform_work_group_size: 1
    .uses_dynamic_stack: false
    .vgpr_count:     137
    .vgpr_spill_count: 0
    .wavefront_size: 32
    .workgroup_processor_mode: 1
  - .args:
      - .address_space:  global
        .offset:         0
        .size:           8
        .value_kind:     global_buffer
      - .address_space:  global
        .offset:         8
        .size:           8
        .value_kind:     global_buffer
      - .offset:         16
        .size:           4
        .value_kind:     by_value
      - .offset:         20
        .size:           4
        .value_kind:     by_value
      - .offset:         24
        .size:           4
        .value_kind:     by_value
      - .offset:         28
        .size:           4
        .value_kind:     by_value
      - .offset:         32
        .size:           4
        .value_kind:     by_value
      - .offset:         36
        .size:           4
        .value_kind:     by_value
      - .offset:         40
        .size:           12
        .value_kind:     by_value
      - .offset:         52
        .size:           12
        .value_kind:     by_value
      - .offset:         64
        .size:           12
        .value_kind:     by_value
    .group_segment_fixed_size: 0
    .kernarg_segment_align: 8
    .kernarg_segment_size: 76
    .language:       OpenCL C
    .language_version:
      - 2
      - 0
    .max_flat_workgroup_size: 64
    .name:           _ZL33flash_attn_stream_k_fixup_uniformILi64ELi8ELi1EEvPfPK15HIP_vector_typeIfLj2EEiiiiiiS1_IjLj3EES5_S5_
    .private_segment_fixed_size: 0
    .sgpr_count:     26
    .sgpr_spill_count: 0
    .symbol:         _ZL33flash_attn_stream_k_fixup_uniformILi64ELi8ELi1EEvPfPK15HIP_vector_typeIfLj2EEiiiiiiS1_IjLj3EES5_S5_.kd
    .uniform_work_group_size: 1
    .uses_dynamic_stack: false
    .vgpr_count:     15
    .vgpr_spill_count: 0
    .wavefront_size: 32
    .workgroup_processor_mode: 1
  - .args:
      - .address_space:  global
        .offset:         0
        .size:           8
        .value_kind:     global_buffer
      - .address_space:  global
        .offset:         8
        .size:           8
        .value_kind:     global_buffer
      - .offset:         16
        .size:           4
        .value_kind:     by_value
      - .offset:         20
        .size:           4
        .value_kind:     by_value
      - .offset:         24
        .size:           4
        .value_kind:     by_value
      - .offset:         28
        .size:           4
        .value_kind:     by_value
      - .offset:         32
        .size:           12
        .value_kind:     by_value
      - .offset:         44
        .size:           12
        .value_kind:     by_value
      - .offset:         56
        .size:           12
        .value_kind:     by_value
      - .offset:         68
        .size:           12
        .value_kind:     by_value
      - .offset:         80
        .size:           4
        .value_kind:     hidden_block_count_x
      - .offset:         84
        .size:           4
        .value_kind:     hidden_block_count_y
      - .offset:         88
        .size:           4
        .value_kind:     hidden_block_count_z
      - .offset:         92
        .size:           2
        .value_kind:     hidden_group_size_x
      - .offset:         94
        .size:           2
        .value_kind:     hidden_group_size_y
      - .offset:         96
        .size:           2
        .value_kind:     hidden_group_size_z
      - .offset:         98
        .size:           2
        .value_kind:     hidden_remainder_x
      - .offset:         100
        .size:           2
        .value_kind:     hidden_remainder_y
      - .offset:         102
        .size:           2
        .value_kind:     hidden_remainder_z
      - .offset:         120
        .size:           8
        .value_kind:     hidden_global_offset_x
      - .offset:         128
        .size:           8
        .value_kind:     hidden_global_offset_y
      - .offset:         136
        .size:           8
        .value_kind:     hidden_global_offset_z
      - .offset:         144
        .size:           2
        .value_kind:     hidden_grid_dims
    .group_segment_fixed_size: 0
    .kernarg_segment_align: 8
    .kernarg_segment_size: 336
    .language:       OpenCL C
    .language_version:
      - 2
      - 0
    .max_flat_workgroup_size: 64
    .name:           _ZL33flash_attn_stream_k_fixup_generalILi64ELi8ELi1EEvPfPK15HIP_vector_typeIfLj2EEiiiiS1_IjLj3EES5_S5_S5_
    .private_segment_fixed_size: 0
    .sgpr_count:     33
    .sgpr_spill_count: 0
    .symbol:         _ZL33flash_attn_stream_k_fixup_generalILi64ELi8ELi1EEvPfPK15HIP_vector_typeIfLj2EEiiiiS1_IjLj3EES5_S5_S5_.kd
    .uniform_work_group_size: 1
    .uses_dynamic_stack: false
    .vgpr_count:     17
    .vgpr_spill_count: 0
    .wavefront_size: 32
    .workgroup_processor_mode: 1
  - .args:
      - .address_space:  global
        .offset:         0
        .size:           8
        .value_kind:     global_buffer
      - .address_space:  global
        .offset:         8
        .size:           8
        .value_kind:     global_buffer
      - .address_space:  global
        .offset:         16
        .size:           8
        .value_kind:     global_buffer
      - .address_space:  global
        .offset:         24
        .size:           8
        .value_kind:     global_buffer
      - .address_space:  global
        .offset:         32
        .size:           8
        .value_kind:     global_buffer
      - .address_space:  global
        .offset:         40
        .size:           8
        .value_kind:     global_buffer
      - .address_space:  global
        .offset:         48
        .size:           8
        .value_kind:     global_buffer
      - .address_space:  global
        .offset:         56
        .size:           8
        .value_kind:     global_buffer
      - .offset:         64
        .size:           4
        .value_kind:     by_value
      - .offset:         68
        .size:           4
        .value_kind:     by_value
      - .offset:         72
        .size:           4
        .value_kind:     by_value
      - .offset:         76
        .size:           4
        .value_kind:     by_value
      - .offset:         80
        .size:           4
        .value_kind:     by_value
      - .offset:         84
        .size:           4
        .value_kind:     by_value
      - .offset:         88
        .size:           4
        .value_kind:     by_value
      - .offset:         92
        .size:           12
        .value_kind:     by_value
      - .offset:         104
        .size:           4
        .value_kind:     by_value
      - .offset:         108
        .size:           4
        .value_kind:     by_value
      - .offset:         112
        .size:           4
        .value_kind:     by_value
      - .offset:         116
        .size:           4
        .value_kind:     by_value
      - .offset:         120
        .size:           4
        .value_kind:     by_value
      - .offset:         124
        .size:           4
        .value_kind:     by_value
      - .offset:         128
        .size:           4
        .value_kind:     by_value
      - .offset:         132
        .size:           4
        .value_kind:     by_value
      - .offset:         136
        .size:           4
        .value_kind:     by_value
      - .offset:         140
        .size:           4
        .value_kind:     by_value
      - .offset:         144
        .size:           4
        .value_kind:     by_value
      - .offset:         152
        .size:           8
        .value_kind:     by_value
      - .offset:         160
        .size:           4
        .value_kind:     by_value
      - .offset:         164
        .size:           4
        .value_kind:     by_value
      - .offset:         168
        .size:           8
        .value_kind:     by_value
      - .offset:         176
        .size:           4
        .value_kind:     by_value
      - .offset:         180
        .size:           4
        .value_kind:     by_value
      - .offset:         184
        .size:           4
        .value_kind:     by_value
      - .offset:         188
        .size:           4
        .value_kind:     by_value
      - .offset:         192
        .size:           4
        .value_kind:     by_value
      - .offset:         200
        .size:           8
        .value_kind:     by_value
      - .offset:         208
        .size:           4
        .value_kind:     hidden_block_count_x
      - .offset:         212
        .size:           4
        .value_kind:     hidden_block_count_y
      - .offset:         216
        .size:           4
        .value_kind:     hidden_block_count_z
      - .offset:         220
        .size:           2
        .value_kind:     hidden_group_size_x
      - .offset:         222
        .size:           2
        .value_kind:     hidden_group_size_y
      - .offset:         224
        .size:           2
        .value_kind:     hidden_group_size_z
      - .offset:         226
        .size:           2
        .value_kind:     hidden_remainder_x
      - .offset:         228
        .size:           2
        .value_kind:     hidden_remainder_y
      - .offset:         230
        .size:           2
        .value_kind:     hidden_remainder_z
      - .offset:         248
        .size:           8
        .value_kind:     hidden_global_offset_x
      - .offset:         256
        .size:           8
        .value_kind:     hidden_global_offset_y
      - .offset:         264
        .size:           8
        .value_kind:     hidden_global_offset_z
      - .offset:         272
        .size:           2
        .value_kind:     hidden_grid_dims
    .group_segment_fixed_size: 5376
    .kernarg_segment_align: 8
    .kernarg_segment_size: 464
    .language:       OpenCL C
    .language_version:
      - 2
      - 0
    .max_flat_workgroup_size: 64
    .name:           _ZL15flash_attn_tileILi64ELi64ELi4ELi1ELb0EEvPKcS1_S1_S1_S1_PKiPfP15HIP_vector_typeIfLj2EEffffjfiS5_IjLj3EEiiiiiiiiiiiliiliiiiil
    .private_segment_fixed_size: 32
    .sgpr_count:     54
    .sgpr_spill_count: 0
    .symbol:         _ZL15flash_attn_tileILi64ELi64ELi4ELi1ELb0EEvPKcS1_S1_S1_S1_PKiPfP15HIP_vector_typeIfLj2EEffffjfiS5_IjLj3EEiiiiiiiiiiiliiliiiiil.kd
    .uniform_work_group_size: 1
    .uses_dynamic_stack: false
    .vgpr_count:     78
    .vgpr_spill_count: 0
    .wavefront_size: 32
    .workgroup_processor_mode: 1
  - .args:
      - .address_space:  global
        .offset:         0
        .size:           8
        .value_kind:     global_buffer
      - .address_space:  global
        .offset:         8
        .size:           8
        .value_kind:     global_buffer
      - .offset:         16
        .size:           4
        .value_kind:     by_value
      - .offset:         20
        .size:           4
        .value_kind:     by_value
      - .offset:         24
        .size:           4
        .value_kind:     by_value
      - .offset:         28
        .size:           4
        .value_kind:     by_value
      - .offset:         32
        .size:           4
        .value_kind:     by_value
      - .offset:         36
        .size:           4
        .value_kind:     by_value
      - .offset:         40
        .size:           12
        .value_kind:     by_value
      - .offset:         52
        .size:           12
        .value_kind:     by_value
      - .offset:         64
        .size:           12
        .value_kind:     by_value
    .group_segment_fixed_size: 0
    .kernarg_segment_align: 8
    .kernarg_segment_size: 76
    .language:       OpenCL C
    .language_version:
      - 2
      - 0
    .max_flat_workgroup_size: 64
    .name:           _ZL33flash_attn_stream_k_fixup_uniformILi64ELi4ELi1EEvPfPK15HIP_vector_typeIfLj2EEiiiiiiS1_IjLj3EES5_S5_
    .private_segment_fixed_size: 0
    .sgpr_count:     26
    .sgpr_spill_count: 0
    .symbol:         _ZL33flash_attn_stream_k_fixup_uniformILi64ELi4ELi1EEvPfPK15HIP_vector_typeIfLj2EEiiiiiiS1_IjLj3EES5_S5_.kd
    .uniform_work_group_size: 1
    .uses_dynamic_stack: false
    .vgpr_count:     15
    .vgpr_spill_count: 0
    .wavefront_size: 32
    .workgroup_processor_mode: 1
  - .args:
      - .address_space:  global
        .offset:         0
        .size:           8
        .value_kind:     global_buffer
      - .address_space:  global
        .offset:         8
        .size:           8
        .value_kind:     global_buffer
      - .offset:         16
        .size:           4
        .value_kind:     by_value
      - .offset:         20
        .size:           4
        .value_kind:     by_value
      - .offset:         24
        .size:           4
        .value_kind:     by_value
      - .offset:         28
        .size:           4
        .value_kind:     by_value
      - .offset:         32
        .size:           12
        .value_kind:     by_value
      - .offset:         44
        .size:           12
        .value_kind:     by_value
      - .offset:         56
        .size:           12
        .value_kind:     by_value
      - .offset:         68
        .size:           12
        .value_kind:     by_value
      - .offset:         80
        .size:           4
        .value_kind:     hidden_block_count_x
      - .offset:         84
        .size:           4
        .value_kind:     hidden_block_count_y
      - .offset:         88
        .size:           4
        .value_kind:     hidden_block_count_z
      - .offset:         92
        .size:           2
        .value_kind:     hidden_group_size_x
      - .offset:         94
        .size:           2
        .value_kind:     hidden_group_size_y
      - .offset:         96
        .size:           2
        .value_kind:     hidden_group_size_z
      - .offset:         98
        .size:           2
        .value_kind:     hidden_remainder_x
      - .offset:         100
        .size:           2
        .value_kind:     hidden_remainder_y
      - .offset:         102
        .size:           2
        .value_kind:     hidden_remainder_z
      - .offset:         120
        .size:           8
        .value_kind:     hidden_global_offset_x
      - .offset:         128
        .size:           8
        .value_kind:     hidden_global_offset_y
      - .offset:         136
        .size:           8
        .value_kind:     hidden_global_offset_z
      - .offset:         144
        .size:           2
        .value_kind:     hidden_grid_dims
    .group_segment_fixed_size: 0
    .kernarg_segment_align: 8
    .kernarg_segment_size: 336
    .language:       OpenCL C
    .language_version:
      - 2
      - 0
    .max_flat_workgroup_size: 64
    .name:           _ZL33flash_attn_stream_k_fixup_generalILi64ELi4ELi1EEvPfPK15HIP_vector_typeIfLj2EEiiiiS1_IjLj3EES5_S5_S5_
    .private_segment_fixed_size: 0
    .sgpr_count:     33
    .sgpr_spill_count: 0
    .symbol:         _ZL33flash_attn_stream_k_fixup_generalILi64ELi4ELi1EEvPfPK15HIP_vector_typeIfLj2EEiiiiS1_IjLj3EES5_S5_S5_.kd
    .uniform_work_group_size: 1
    .uses_dynamic_stack: false
    .vgpr_count:     17
    .vgpr_spill_count: 0
    .wavefront_size: 32
    .workgroup_processor_mode: 1
  - .args:
      - .address_space:  global
        .offset:         0
        .size:           8
        .value_kind:     global_buffer
      - .address_space:  global
        .offset:         8
        .size:           8
        .value_kind:     global_buffer
      - .address_space:  global
        .offset:         16
        .size:           8
        .value_kind:     global_buffer
      - .address_space:  global
        .offset:         24
        .size:           8
        .value_kind:     global_buffer
      - .address_space:  global
        .offset:         32
        .size:           8
        .value_kind:     global_buffer
      - .address_space:  global
        .offset:         40
        .size:           8
        .value_kind:     global_buffer
      - .address_space:  global
        .offset:         48
        .size:           8
        .value_kind:     global_buffer
      - .address_space:  global
        .offset:         56
        .size:           8
        .value_kind:     global_buffer
      - .offset:         64
        .size:           4
        .value_kind:     by_value
      - .offset:         68
        .size:           4
        .value_kind:     by_value
      - .offset:         72
        .size:           4
        .value_kind:     by_value
      - .offset:         76
        .size:           4
        .value_kind:     by_value
      - .offset:         80
        .size:           4
        .value_kind:     by_value
      - .offset:         84
        .size:           4
        .value_kind:     by_value
      - .offset:         88
        .size:           4
        .value_kind:     by_value
      - .offset:         92
        .size:           12
        .value_kind:     by_value
      - .offset:         104
        .size:           4
        .value_kind:     by_value
      - .offset:         108
        .size:           4
        .value_kind:     by_value
      - .offset:         112
        .size:           4
        .value_kind:     by_value
      - .offset:         116
        .size:           4
        .value_kind:     by_value
      - .offset:         120
        .size:           4
        .value_kind:     by_value
      - .offset:         124
        .size:           4
        .value_kind:     by_value
      - .offset:         128
        .size:           4
        .value_kind:     by_value
      - .offset:         132
        .size:           4
        .value_kind:     by_value
      - .offset:         136
        .size:           4
        .value_kind:     by_value
      - .offset:         140
        .size:           4
        .value_kind:     by_value
      - .offset:         144
        .size:           4
        .value_kind:     by_value
      - .offset:         152
        .size:           8
        .value_kind:     by_value
      - .offset:         160
        .size:           4
        .value_kind:     by_value
      - .offset:         164
        .size:           4
        .value_kind:     by_value
      - .offset:         168
        .size:           8
        .value_kind:     by_value
      - .offset:         176
        .size:           4
        .value_kind:     by_value
      - .offset:         180
        .size:           4
        .value_kind:     by_value
      - .offset:         184
        .size:           4
        .value_kind:     by_value
      - .offset:         188
        .size:           4
        .value_kind:     by_value
      - .offset:         192
        .size:           4
        .value_kind:     by_value
      - .offset:         200
        .size:           8
        .value_kind:     by_value
      - .offset:         208
        .size:           4
        .value_kind:     hidden_block_count_x
      - .offset:         212
        .size:           4
        .value_kind:     hidden_block_count_y
      - .offset:         216
        .size:           4
        .value_kind:     hidden_block_count_z
      - .offset:         220
        .size:           2
        .value_kind:     hidden_group_size_x
      - .offset:         222
        .size:           2
        .value_kind:     hidden_group_size_y
      - .offset:         224
        .size:           2
        .value_kind:     hidden_group_size_z
      - .offset:         226
        .size:           2
        .value_kind:     hidden_remainder_x
      - .offset:         228
        .size:           2
        .value_kind:     hidden_remainder_y
      - .offset:         230
        .size:           2
        .value_kind:     hidden_remainder_z
      - .offset:         248
        .size:           8
        .value_kind:     hidden_global_offset_x
      - .offset:         256
        .size:           8
        .value_kind:     hidden_global_offset_y
      - .offset:         264
        .size:           8
        .value_kind:     hidden_global_offset_z
      - .offset:         272
        .size:           2
        .value_kind:     hidden_grid_dims
    .group_segment_fixed_size: 4992
    .kernarg_segment_align: 8
    .kernarg_segment_size: 464
    .language:       OpenCL C
    .language_version:
      - 2
      - 0
    .max_flat_workgroup_size: 64
    .name:           _ZL15flash_attn_tileILi64ELi64ELi2ELi1ELb0EEvPKcS1_S1_S1_S1_PKiPfP15HIP_vector_typeIfLj2EEffffjfiS5_IjLj3EEiiiiiiiiiiiliiliiiiil
    .private_segment_fixed_size: 32
    .sgpr_count:     54
    .sgpr_spill_count: 0
    .symbol:         _ZL15flash_attn_tileILi64ELi64ELi2ELi1ELb0EEvPKcS1_S1_S1_S1_PKiPfP15HIP_vector_typeIfLj2EEffffjfiS5_IjLj3EEiiiiiiiiiiiliiliiiiil.kd
    .uniform_work_group_size: 1
    .uses_dynamic_stack: false
    .vgpr_count:     62
    .vgpr_spill_count: 0
    .wavefront_size: 32
    .workgroup_processor_mode: 1
  - .args:
      - .address_space:  global
        .offset:         0
        .size:           8
        .value_kind:     global_buffer
      - .address_space:  global
        .offset:         8
        .size:           8
        .value_kind:     global_buffer
      - .offset:         16
        .size:           4
        .value_kind:     by_value
      - .offset:         20
        .size:           4
        .value_kind:     by_value
      - .offset:         24
        .size:           4
        .value_kind:     by_value
      - .offset:         28
        .size:           4
        .value_kind:     by_value
      - .offset:         32
        .size:           4
        .value_kind:     by_value
      - .offset:         36
        .size:           4
        .value_kind:     by_value
      - .offset:         40
        .size:           12
        .value_kind:     by_value
      - .offset:         52
        .size:           12
        .value_kind:     by_value
      - .offset:         64
        .size:           12
        .value_kind:     by_value
    .group_segment_fixed_size: 0
    .kernarg_segment_align: 8
    .kernarg_segment_size: 76
    .language:       OpenCL C
    .language_version:
      - 2
      - 0
    .max_flat_workgroup_size: 64
    .name:           _ZL33flash_attn_stream_k_fixup_uniformILi64ELi2ELi1EEvPfPK15HIP_vector_typeIfLj2EEiiiiiiS1_IjLj3EES5_S5_
    .private_segment_fixed_size: 0
    .sgpr_count:     26
    .sgpr_spill_count: 0
    .symbol:         _ZL33flash_attn_stream_k_fixup_uniformILi64ELi2ELi1EEvPfPK15HIP_vector_typeIfLj2EEiiiiiiS1_IjLj3EES5_S5_.kd
    .uniform_work_group_size: 1
    .uses_dynamic_stack: false
    .vgpr_count:     15
    .vgpr_spill_count: 0
    .wavefront_size: 32
    .workgroup_processor_mode: 1
  - .args:
      - .address_space:  global
        .offset:         0
        .size:           8
        .value_kind:     global_buffer
      - .address_space:  global
        .offset:         8
        .size:           8
        .value_kind:     global_buffer
      - .offset:         16
        .size:           4
        .value_kind:     by_value
      - .offset:         20
        .size:           4
        .value_kind:     by_value
      - .offset:         24
        .size:           4
        .value_kind:     by_value
      - .offset:         28
        .size:           4
        .value_kind:     by_value
      - .offset:         32
        .size:           12
        .value_kind:     by_value
      - .offset:         44
        .size:           12
        .value_kind:     by_value
      - .offset:         56
        .size:           12
        .value_kind:     by_value
      - .offset:         68
        .size:           12
        .value_kind:     by_value
      - .offset:         80
        .size:           4
        .value_kind:     hidden_block_count_x
      - .offset:         84
        .size:           4
        .value_kind:     hidden_block_count_y
      - .offset:         88
        .size:           4
        .value_kind:     hidden_block_count_z
      - .offset:         92
        .size:           2
        .value_kind:     hidden_group_size_x
      - .offset:         94
        .size:           2
        .value_kind:     hidden_group_size_y
      - .offset:         96
        .size:           2
        .value_kind:     hidden_group_size_z
      - .offset:         98
        .size:           2
        .value_kind:     hidden_remainder_x
      - .offset:         100
        .size:           2
        .value_kind:     hidden_remainder_y
      - .offset:         102
        .size:           2
        .value_kind:     hidden_remainder_z
      - .offset:         120
        .size:           8
        .value_kind:     hidden_global_offset_x
      - .offset:         128
        .size:           8
        .value_kind:     hidden_global_offset_y
      - .offset:         136
        .size:           8
        .value_kind:     hidden_global_offset_z
      - .offset:         144
        .size:           2
        .value_kind:     hidden_grid_dims
    .group_segment_fixed_size: 0
    .kernarg_segment_align: 8
    .kernarg_segment_size: 336
    .language:       OpenCL C
    .language_version:
      - 2
      - 0
    .max_flat_workgroup_size: 64
    .name:           _ZL33flash_attn_stream_k_fixup_generalILi64ELi2ELi1EEvPfPK15HIP_vector_typeIfLj2EEiiiiS1_IjLj3EES5_S5_S5_
    .private_segment_fixed_size: 0
    .sgpr_count:     33
    .sgpr_spill_count: 0
    .symbol:         _ZL33flash_attn_stream_k_fixup_generalILi64ELi2ELi1EEvPfPK15HIP_vector_typeIfLj2EEiiiiS1_IjLj3EES5_S5_S5_.kd
    .uniform_work_group_size: 1
    .uses_dynamic_stack: false
    .vgpr_count:     17
    .vgpr_spill_count: 0
    .wavefront_size: 32
    .workgroup_processor_mode: 1
  - .args:
      - .address_space:  global
        .offset:         0
        .size:           8
        .value_kind:     global_buffer
      - .address_space:  global
        .offset:         8
        .size:           8
        .value_kind:     global_buffer
      - .address_space:  global
        .offset:         16
        .size:           8
        .value_kind:     global_buffer
      - .address_space:  global
        .offset:         24
        .size:           8
        .value_kind:     global_buffer
      - .address_space:  global
        .offset:         32
        .size:           8
        .value_kind:     global_buffer
      - .address_space:  global
        .offset:         40
        .size:           8
        .value_kind:     global_buffer
      - .address_space:  global
        .offset:         48
        .size:           8
        .value_kind:     global_buffer
      - .address_space:  global
        .offset:         56
        .size:           8
        .value_kind:     global_buffer
      - .offset:         64
        .size:           4
        .value_kind:     by_value
      - .offset:         68
        .size:           4
        .value_kind:     by_value
      - .offset:         72
        .size:           4
        .value_kind:     by_value
      - .offset:         76
        .size:           4
        .value_kind:     by_value
      - .offset:         80
        .size:           4
        .value_kind:     by_value
      - .offset:         84
        .size:           4
        .value_kind:     by_value
      - .offset:         88
        .size:           4
        .value_kind:     by_value
      - .offset:         92
        .size:           12
        .value_kind:     by_value
      - .offset:         104
        .size:           4
        .value_kind:     by_value
      - .offset:         108
        .size:           4
        .value_kind:     by_value
      - .offset:         112
        .size:           4
        .value_kind:     by_value
      - .offset:         116
        .size:           4
        .value_kind:     by_value
      - .offset:         120
        .size:           4
        .value_kind:     by_value
      - .offset:         124
        .size:           4
        .value_kind:     by_value
      - .offset:         128
        .size:           4
        .value_kind:     by_value
      - .offset:         132
        .size:           4
        .value_kind:     by_value
      - .offset:         136
        .size:           4
        .value_kind:     by_value
      - .offset:         140
        .size:           4
        .value_kind:     by_value
      - .offset:         144
        .size:           4
        .value_kind:     by_value
      - .offset:         152
        .size:           8
        .value_kind:     by_value
      - .offset:         160
        .size:           4
        .value_kind:     by_value
      - .offset:         164
        .size:           4
        .value_kind:     by_value
      - .offset:         168
        .size:           8
        .value_kind:     by_value
      - .offset:         176
        .size:           4
        .value_kind:     by_value
      - .offset:         180
        .size:           4
        .value_kind:     by_value
      - .offset:         184
        .size:           4
        .value_kind:     by_value
      - .offset:         188
        .size:           4
        .value_kind:     by_value
      - .offset:         192
        .size:           4
        .value_kind:     by_value
      - .offset:         200
        .size:           8
        .value_kind:     by_value
      - .offset:         208
        .size:           4
        .value_kind:     hidden_block_count_x
      - .offset:         212
        .size:           4
        .value_kind:     hidden_block_count_y
      - .offset:         216
        .size:           4
        .value_kind:     hidden_block_count_z
      - .offset:         220
        .size:           2
        .value_kind:     hidden_group_size_x
      - .offset:         222
        .size:           2
        .value_kind:     hidden_group_size_y
      - .offset:         224
        .size:           2
        .value_kind:     hidden_group_size_z
      - .offset:         226
        .size:           2
        .value_kind:     hidden_remainder_x
      - .offset:         228
        .size:           2
        .value_kind:     hidden_remainder_y
      - .offset:         230
        .size:           2
        .value_kind:     hidden_remainder_z
      - .offset:         248
        .size:           8
        .value_kind:     hidden_global_offset_x
      - .offset:         256
        .size:           8
        .value_kind:     hidden_global_offset_y
      - .offset:         264
        .size:           8
        .value_kind:     hidden_global_offset_z
      - .offset:         272
        .size:           2
        .value_kind:     hidden_grid_dims
      - .offset:         288
        .size:           8
        .value_kind:     hidden_hostcall_buffer
    .group_segment_fixed_size: 0
    .kernarg_segment_align: 8
    .kernarg_segment_size: 464
    .language:       OpenCL C
    .language_version:
      - 2
      - 0
    .max_flat_workgroup_size: 128
    .name:           _ZL15flash_attn_tileILi64ELi64ELi8ELi8ELb1EEvPKcS1_S1_S1_S1_PKiPfP15HIP_vector_typeIfLj2EEffffjfiS5_IjLj3EEiiiiiiiiiiiliiliiiiil
    .private_segment_fixed_size: 16
    .sgpr_count:     36
    .sgpr_spill_count: 0
    .symbol:         _ZL15flash_attn_tileILi64ELi64ELi8ELi8ELb1EEvPKcS1_S1_S1_S1_PKiPfP15HIP_vector_typeIfLj2EEffffjfiS5_IjLj3EEiiiiiiiiiiiliiliiiiil.kd
    .uniform_work_group_size: 1
    .uses_dynamic_stack: false
    .vgpr_count:     40
    .vgpr_spill_count: 0
    .wavefront_size: 32
    .workgroup_processor_mode: 1
  - .args:
      - .address_space:  global
        .offset:         0
        .size:           8
        .value_kind:     global_buffer
      - .address_space:  global
        .offset:         8
        .size:           8
        .value_kind:     global_buffer
      - .address_space:  global
        .offset:         16
        .size:           8
        .value_kind:     global_buffer
      - .address_space:  global
        .offset:         24
        .size:           8
        .value_kind:     global_buffer
      - .address_space:  global
        .offset:         32
        .size:           8
        .value_kind:     global_buffer
      - .address_space:  global
        .offset:         40
        .size:           8
        .value_kind:     global_buffer
      - .address_space:  global
        .offset:         48
        .size:           8
        .value_kind:     global_buffer
      - .address_space:  global
        .offset:         56
        .size:           8
        .value_kind:     global_buffer
      - .offset:         64
        .size:           4
        .value_kind:     by_value
      - .offset:         68
        .size:           4
        .value_kind:     by_value
      - .offset:         72
        .size:           4
        .value_kind:     by_value
      - .offset:         76
        .size:           4
        .value_kind:     by_value
      - .offset:         80
        .size:           4
        .value_kind:     by_value
      - .offset:         84
        .size:           4
        .value_kind:     by_value
      - .offset:         88
        .size:           4
        .value_kind:     by_value
      - .offset:         92
        .size:           12
        .value_kind:     by_value
      - .offset:         104
        .size:           4
        .value_kind:     by_value
      - .offset:         108
        .size:           4
        .value_kind:     by_value
      - .offset:         112
        .size:           4
        .value_kind:     by_value
      - .offset:         116
        .size:           4
        .value_kind:     by_value
      - .offset:         120
        .size:           4
        .value_kind:     by_value
      - .offset:         124
        .size:           4
        .value_kind:     by_value
      - .offset:         128
        .size:           4
        .value_kind:     by_value
      - .offset:         132
        .size:           4
        .value_kind:     by_value
      - .offset:         136
        .size:           4
        .value_kind:     by_value
      - .offset:         140
        .size:           4
        .value_kind:     by_value
      - .offset:         144
        .size:           4
        .value_kind:     by_value
      - .offset:         152
        .size:           8
        .value_kind:     by_value
      - .offset:         160
        .size:           4
        .value_kind:     by_value
      - .offset:         164
        .size:           4
        .value_kind:     by_value
      - .offset:         168
        .size:           8
        .value_kind:     by_value
      - .offset:         176
        .size:           4
        .value_kind:     by_value
      - .offset:         180
        .size:           4
        .value_kind:     by_value
      - .offset:         184
        .size:           4
        .value_kind:     by_value
      - .offset:         188
        .size:           4
        .value_kind:     by_value
      - .offset:         192
        .size:           4
        .value_kind:     by_value
      - .offset:         200
        .size:           8
        .value_kind:     by_value
      - .offset:         208
        .size:           4
        .value_kind:     hidden_block_count_x
      - .offset:         212
        .size:           4
        .value_kind:     hidden_block_count_y
      - .offset:         216
        .size:           4
        .value_kind:     hidden_block_count_z
      - .offset:         220
        .size:           2
        .value_kind:     hidden_group_size_x
      - .offset:         222
        .size:           2
        .value_kind:     hidden_group_size_y
      - .offset:         224
        .size:           2
        .value_kind:     hidden_group_size_z
      - .offset:         226
        .size:           2
        .value_kind:     hidden_remainder_x
      - .offset:         228
        .size:           2
        .value_kind:     hidden_remainder_y
      - .offset:         230
        .size:           2
        .value_kind:     hidden_remainder_z
      - .offset:         248
        .size:           8
        .value_kind:     hidden_global_offset_x
      - .offset:         256
        .size:           8
        .value_kind:     hidden_global_offset_y
      - .offset:         264
        .size:           8
        .value_kind:     hidden_global_offset_z
      - .offset:         272
        .size:           2
        .value_kind:     hidden_grid_dims
      - .offset:         288
        .size:           8
        .value_kind:     hidden_hostcall_buffer
    .group_segment_fixed_size: 0
    .kernarg_segment_align: 8
    .kernarg_segment_size: 464
    .language:       OpenCL C
    .language_version:
      - 2
      - 0
    .max_flat_workgroup_size: 128
    .name:           _ZL15flash_attn_tileILi64ELi64ELi4ELi8ELb1EEvPKcS1_S1_S1_S1_PKiPfP15HIP_vector_typeIfLj2EEffffjfiS5_IjLj3EEiiiiiiiiiiiliiliiiiil
    .private_segment_fixed_size: 16
    .sgpr_count:     36
    .sgpr_spill_count: 0
    .symbol:         _ZL15flash_attn_tileILi64ELi64ELi4ELi8ELb1EEvPKcS1_S1_S1_S1_PKiPfP15HIP_vector_typeIfLj2EEffffjfiS5_IjLj3EEiiiiiiiiiiiliiliiiiil.kd
    .uniform_work_group_size: 1
    .uses_dynamic_stack: false
    .vgpr_count:     40
    .vgpr_spill_count: 0
    .wavefront_size: 32
    .workgroup_processor_mode: 1
  - .args:
      - .address_space:  global
        .offset:         0
        .size:           8
        .value_kind:     global_buffer
      - .address_space:  global
        .offset:         8
        .size:           8
        .value_kind:     global_buffer
      - .address_space:  global
        .offset:         16
        .size:           8
        .value_kind:     global_buffer
      - .address_space:  global
        .offset:         24
        .size:           8
        .value_kind:     global_buffer
      - .address_space:  global
        .offset:         32
        .size:           8
        .value_kind:     global_buffer
      - .address_space:  global
        .offset:         40
        .size:           8
        .value_kind:     global_buffer
      - .address_space:  global
        .offset:         48
        .size:           8
        .value_kind:     global_buffer
      - .address_space:  global
        .offset:         56
        .size:           8
        .value_kind:     global_buffer
      - .offset:         64
        .size:           4
        .value_kind:     by_value
      - .offset:         68
        .size:           4
        .value_kind:     by_value
      - .offset:         72
        .size:           4
        .value_kind:     by_value
      - .offset:         76
        .size:           4
        .value_kind:     by_value
      - .offset:         80
        .size:           4
        .value_kind:     by_value
      - .offset:         84
        .size:           4
        .value_kind:     by_value
      - .offset:         88
        .size:           4
        .value_kind:     by_value
      - .offset:         92
        .size:           12
        .value_kind:     by_value
      - .offset:         104
        .size:           4
        .value_kind:     by_value
      - .offset:         108
        .size:           4
        .value_kind:     by_value
      - .offset:         112
        .size:           4
        .value_kind:     by_value
      - .offset:         116
        .size:           4
        .value_kind:     by_value
      - .offset:         120
        .size:           4
        .value_kind:     by_value
      - .offset:         124
        .size:           4
        .value_kind:     by_value
      - .offset:         128
        .size:           4
        .value_kind:     by_value
      - .offset:         132
        .size:           4
        .value_kind:     by_value
      - .offset:         136
        .size:           4
        .value_kind:     by_value
      - .offset:         140
        .size:           4
        .value_kind:     by_value
      - .offset:         144
        .size:           4
        .value_kind:     by_value
      - .offset:         152
        .size:           8
        .value_kind:     by_value
      - .offset:         160
        .size:           4
        .value_kind:     by_value
      - .offset:         164
        .size:           4
        .value_kind:     by_value
      - .offset:         168
        .size:           8
        .value_kind:     by_value
      - .offset:         176
        .size:           4
        .value_kind:     by_value
      - .offset:         180
        .size:           4
        .value_kind:     by_value
      - .offset:         184
        .size:           4
        .value_kind:     by_value
      - .offset:         188
        .size:           4
        .value_kind:     by_value
      - .offset:         192
        .size:           4
        .value_kind:     by_value
      - .offset:         200
        .size:           8
        .value_kind:     by_value
      - .offset:         208
        .size:           4
        .value_kind:     hidden_block_count_x
      - .offset:         212
        .size:           4
        .value_kind:     hidden_block_count_y
      - .offset:         216
        .size:           4
        .value_kind:     hidden_block_count_z
      - .offset:         220
        .size:           2
        .value_kind:     hidden_group_size_x
      - .offset:         222
        .size:           2
        .value_kind:     hidden_group_size_y
      - .offset:         224
        .size:           2
        .value_kind:     hidden_group_size_z
      - .offset:         226
        .size:           2
        .value_kind:     hidden_remainder_x
      - .offset:         228
        .size:           2
        .value_kind:     hidden_remainder_y
      - .offset:         230
        .size:           2
        .value_kind:     hidden_remainder_z
      - .offset:         248
        .size:           8
        .value_kind:     hidden_global_offset_x
      - .offset:         256
        .size:           8
        .value_kind:     hidden_global_offset_y
      - .offset:         264
        .size:           8
        .value_kind:     hidden_global_offset_z
      - .offset:         272
        .size:           2
        .value_kind:     hidden_grid_dims
      - .offset:         288
        .size:           8
        .value_kind:     hidden_hostcall_buffer
    .group_segment_fixed_size: 0
    .kernarg_segment_align: 8
    .kernarg_segment_size: 464
    .language:       OpenCL C
    .language_version:
      - 2
      - 0
    .max_flat_workgroup_size: 128
    .name:           _ZL15flash_attn_tileILi64ELi64ELi2ELi8ELb1EEvPKcS1_S1_S1_S1_PKiPfP15HIP_vector_typeIfLj2EEffffjfiS5_IjLj3EEiiiiiiiiiiiliiliiiiil
    .private_segment_fixed_size: 16
    .sgpr_count:     36
    .sgpr_spill_count: 0
    .symbol:         _ZL15flash_attn_tileILi64ELi64ELi2ELi8ELb1EEvPKcS1_S1_S1_S1_PKiPfP15HIP_vector_typeIfLj2EEffffjfiS5_IjLj3EEiiiiiiiiiiiliiliiiiil.kd
    .uniform_work_group_size: 1
    .uses_dynamic_stack: false
    .vgpr_count:     40
    .vgpr_spill_count: 0
    .wavefront_size: 32
    .workgroup_processor_mode: 1
  - .args:
      - .address_space:  global
        .offset:         0
        .size:           8
        .value_kind:     global_buffer
      - .address_space:  global
        .offset:         8
        .size:           8
        .value_kind:     global_buffer
      - .address_space:  global
        .offset:         16
        .size:           8
        .value_kind:     global_buffer
      - .address_space:  global
        .offset:         24
        .size:           8
        .value_kind:     global_buffer
      - .address_space:  global
        .offset:         32
        .size:           8
        .value_kind:     global_buffer
      - .address_space:  global
        .offset:         40
        .size:           8
        .value_kind:     global_buffer
      - .address_space:  global
        .offset:         48
        .size:           8
        .value_kind:     global_buffer
      - .address_space:  global
        .offset:         56
        .size:           8
        .value_kind:     global_buffer
      - .offset:         64
        .size:           4
        .value_kind:     by_value
      - .offset:         68
        .size:           4
        .value_kind:     by_value
      - .offset:         72
        .size:           4
        .value_kind:     by_value
      - .offset:         76
        .size:           4
        .value_kind:     by_value
      - .offset:         80
        .size:           4
        .value_kind:     by_value
      - .offset:         84
        .size:           4
        .value_kind:     by_value
      - .offset:         88
        .size:           4
        .value_kind:     by_value
      - .offset:         92
        .size:           12
        .value_kind:     by_value
      - .offset:         104
        .size:           4
        .value_kind:     by_value
      - .offset:         108
        .size:           4
        .value_kind:     by_value
      - .offset:         112
        .size:           4
        .value_kind:     by_value
      - .offset:         116
        .size:           4
        .value_kind:     by_value
      - .offset:         120
        .size:           4
        .value_kind:     by_value
      - .offset:         124
        .size:           4
        .value_kind:     by_value
      - .offset:         128
        .size:           4
        .value_kind:     by_value
      - .offset:         132
        .size:           4
        .value_kind:     by_value
      - .offset:         136
        .size:           4
        .value_kind:     by_value
      - .offset:         140
        .size:           4
        .value_kind:     by_value
      - .offset:         144
        .size:           4
        .value_kind:     by_value
      - .offset:         152
        .size:           8
        .value_kind:     by_value
      - .offset:         160
        .size:           4
        .value_kind:     by_value
      - .offset:         164
        .size:           4
        .value_kind:     by_value
      - .offset:         168
        .size:           8
        .value_kind:     by_value
      - .offset:         176
        .size:           4
        .value_kind:     by_value
      - .offset:         180
        .size:           4
        .value_kind:     by_value
      - .offset:         184
        .size:           4
        .value_kind:     by_value
      - .offset:         188
        .size:           4
        .value_kind:     by_value
      - .offset:         192
        .size:           4
        .value_kind:     by_value
      - .offset:         200
        .size:           8
        .value_kind:     by_value
      - .offset:         208
        .size:           4
        .value_kind:     hidden_block_count_x
      - .offset:         212
        .size:           4
        .value_kind:     hidden_block_count_y
      - .offset:         216
        .size:           4
        .value_kind:     hidden_block_count_z
      - .offset:         220
        .size:           2
        .value_kind:     hidden_group_size_x
      - .offset:         222
        .size:           2
        .value_kind:     hidden_group_size_y
      - .offset:         224
        .size:           2
        .value_kind:     hidden_group_size_z
      - .offset:         226
        .size:           2
        .value_kind:     hidden_remainder_x
      - .offset:         228
        .size:           2
        .value_kind:     hidden_remainder_y
      - .offset:         230
        .size:           2
        .value_kind:     hidden_remainder_z
      - .offset:         248
        .size:           8
        .value_kind:     hidden_global_offset_x
      - .offset:         256
        .size:           8
        .value_kind:     hidden_global_offset_y
      - .offset:         264
        .size:           8
        .value_kind:     hidden_global_offset_z
      - .offset:         272
        .size:           2
        .value_kind:     hidden_grid_dims
      - .offset:         288
        .size:           8
        .value_kind:     hidden_hostcall_buffer
    .group_segment_fixed_size: 0
    .kernarg_segment_align: 8
    .kernarg_segment_size: 464
    .language:       OpenCL C
    .language_version:
      - 2
      - 0
    .max_flat_workgroup_size: 128
    .name:           _ZL15flash_attn_tileILi64ELi64ELi1ELi8ELb1EEvPKcS1_S1_S1_S1_PKiPfP15HIP_vector_typeIfLj2EEffffjfiS5_IjLj3EEiiiiiiiiiiiliiliiiiil
    .private_segment_fixed_size: 16
    .sgpr_count:     36
    .sgpr_spill_count: 0
    .symbol:         _ZL15flash_attn_tileILi64ELi64ELi1ELi8ELb1EEvPKcS1_S1_S1_S1_PKiPfP15HIP_vector_typeIfLj2EEffffjfiS5_IjLj3EEiiiiiiiiiiiliiliiiiil.kd
    .uniform_work_group_size: 1
    .uses_dynamic_stack: false
    .vgpr_count:     40
    .vgpr_spill_count: 0
    .wavefront_size: 32
    .workgroup_processor_mode: 1
  - .args:
      - .address_space:  global
        .offset:         0
        .size:           8
        .value_kind:     global_buffer
      - .address_space:  global
        .offset:         8
        .size:           8
        .value_kind:     global_buffer
      - .address_space:  global
        .offset:         16
        .size:           8
        .value_kind:     global_buffer
      - .address_space:  global
        .offset:         24
        .size:           8
        .value_kind:     global_buffer
      - .address_space:  global
        .offset:         32
        .size:           8
        .value_kind:     global_buffer
      - .address_space:  global
        .offset:         40
        .size:           8
        .value_kind:     global_buffer
      - .address_space:  global
        .offset:         48
        .size:           8
        .value_kind:     global_buffer
      - .address_space:  global
        .offset:         56
        .size:           8
        .value_kind:     global_buffer
      - .offset:         64
        .size:           4
        .value_kind:     by_value
      - .offset:         68
        .size:           4
        .value_kind:     by_value
      - .offset:         72
        .size:           4
        .value_kind:     by_value
      - .offset:         76
        .size:           4
        .value_kind:     by_value
      - .offset:         80
        .size:           4
        .value_kind:     by_value
      - .offset:         84
        .size:           4
        .value_kind:     by_value
      - .offset:         88
        .size:           4
        .value_kind:     by_value
      - .offset:         92
        .size:           12
        .value_kind:     by_value
      - .offset:         104
        .size:           4
        .value_kind:     by_value
      - .offset:         108
        .size:           4
        .value_kind:     by_value
      - .offset:         112
        .size:           4
        .value_kind:     by_value
      - .offset:         116
        .size:           4
        .value_kind:     by_value
      - .offset:         120
        .size:           4
        .value_kind:     by_value
      - .offset:         124
        .size:           4
        .value_kind:     by_value
      - .offset:         128
        .size:           4
        .value_kind:     by_value
      - .offset:         132
        .size:           4
        .value_kind:     by_value
      - .offset:         136
        .size:           4
        .value_kind:     by_value
      - .offset:         140
        .size:           4
        .value_kind:     by_value
      - .offset:         144
        .size:           4
        .value_kind:     by_value
      - .offset:         152
        .size:           8
        .value_kind:     by_value
      - .offset:         160
        .size:           4
        .value_kind:     by_value
      - .offset:         164
        .size:           4
        .value_kind:     by_value
      - .offset:         168
        .size:           8
        .value_kind:     by_value
      - .offset:         176
        .size:           4
        .value_kind:     by_value
      - .offset:         180
        .size:           4
        .value_kind:     by_value
      - .offset:         184
        .size:           4
        .value_kind:     by_value
      - .offset:         188
        .size:           4
        .value_kind:     by_value
      - .offset:         192
        .size:           4
        .value_kind:     by_value
      - .offset:         200
        .size:           8
        .value_kind:     by_value
      - .offset:         208
        .size:           4
        .value_kind:     hidden_block_count_x
      - .offset:         212
        .size:           4
        .value_kind:     hidden_block_count_y
      - .offset:         216
        .size:           4
        .value_kind:     hidden_block_count_z
      - .offset:         220
        .size:           2
        .value_kind:     hidden_group_size_x
      - .offset:         222
        .size:           2
        .value_kind:     hidden_group_size_y
      - .offset:         224
        .size:           2
        .value_kind:     hidden_group_size_z
      - .offset:         226
        .size:           2
        .value_kind:     hidden_remainder_x
      - .offset:         228
        .size:           2
        .value_kind:     hidden_remainder_y
      - .offset:         230
        .size:           2
        .value_kind:     hidden_remainder_z
      - .offset:         248
        .size:           8
        .value_kind:     hidden_global_offset_x
      - .offset:         256
        .size:           8
        .value_kind:     hidden_global_offset_y
      - .offset:         264
        .size:           8
        .value_kind:     hidden_global_offset_z
      - .offset:         272
        .size:           2
        .value_kind:     hidden_grid_dims
      - .offset:         288
        .size:           8
        .value_kind:     hidden_hostcall_buffer
    .group_segment_fixed_size: 0
    .kernarg_segment_align: 8
    .kernarg_segment_size: 464
    .language:       OpenCL C
    .language_version:
      - 2
      - 0
    .max_flat_workgroup_size: 128
    .name:           _ZL15flash_attn_tileILi64ELi64ELi16ELi4ELb1EEvPKcS1_S1_S1_S1_PKiPfP15HIP_vector_typeIfLj2EEffffjfiS5_IjLj3EEiiiiiiiiiiiliiliiiiil
    .private_segment_fixed_size: 16
    .sgpr_count:     36
    .sgpr_spill_count: 0
    .symbol:         _ZL15flash_attn_tileILi64ELi64ELi16ELi4ELb1EEvPKcS1_S1_S1_S1_PKiPfP15HIP_vector_typeIfLj2EEffffjfiS5_IjLj3EEiiiiiiiiiiiliiliiiiil.kd
    .uniform_work_group_size: 1
    .uses_dynamic_stack: false
    .vgpr_count:     40
    .vgpr_spill_count: 0
    .wavefront_size: 32
    .workgroup_processor_mode: 1
  - .args:
      - .address_space:  global
        .offset:         0
        .size:           8
        .value_kind:     global_buffer
      - .address_space:  global
        .offset:         8
        .size:           8
        .value_kind:     global_buffer
      - .address_space:  global
        .offset:         16
        .size:           8
        .value_kind:     global_buffer
      - .address_space:  global
        .offset:         24
        .size:           8
        .value_kind:     global_buffer
      - .address_space:  global
        .offset:         32
        .size:           8
        .value_kind:     global_buffer
      - .address_space:  global
        .offset:         40
        .size:           8
        .value_kind:     global_buffer
      - .address_space:  global
        .offset:         48
        .size:           8
        .value_kind:     global_buffer
      - .address_space:  global
        .offset:         56
        .size:           8
        .value_kind:     global_buffer
      - .offset:         64
        .size:           4
        .value_kind:     by_value
      - .offset:         68
        .size:           4
        .value_kind:     by_value
      - .offset:         72
        .size:           4
        .value_kind:     by_value
      - .offset:         76
        .size:           4
        .value_kind:     by_value
      - .offset:         80
        .size:           4
        .value_kind:     by_value
      - .offset:         84
        .size:           4
        .value_kind:     by_value
      - .offset:         88
        .size:           4
        .value_kind:     by_value
      - .offset:         92
        .size:           12
        .value_kind:     by_value
      - .offset:         104
        .size:           4
        .value_kind:     by_value
      - .offset:         108
        .size:           4
        .value_kind:     by_value
      - .offset:         112
        .size:           4
        .value_kind:     by_value
      - .offset:         116
        .size:           4
        .value_kind:     by_value
      - .offset:         120
        .size:           4
        .value_kind:     by_value
      - .offset:         124
        .size:           4
        .value_kind:     by_value
      - .offset:         128
        .size:           4
        .value_kind:     by_value
      - .offset:         132
        .size:           4
        .value_kind:     by_value
      - .offset:         136
        .size:           4
        .value_kind:     by_value
      - .offset:         140
        .size:           4
        .value_kind:     by_value
      - .offset:         144
        .size:           4
        .value_kind:     by_value
      - .offset:         152
        .size:           8
        .value_kind:     by_value
      - .offset:         160
        .size:           4
        .value_kind:     by_value
      - .offset:         164
        .size:           4
        .value_kind:     by_value
      - .offset:         168
        .size:           8
        .value_kind:     by_value
      - .offset:         176
        .size:           4
        .value_kind:     by_value
      - .offset:         180
        .size:           4
        .value_kind:     by_value
      - .offset:         184
        .size:           4
        .value_kind:     by_value
      - .offset:         188
        .size:           4
        .value_kind:     by_value
      - .offset:         192
        .size:           4
        .value_kind:     by_value
      - .offset:         200
        .size:           8
        .value_kind:     by_value
      - .offset:         208
        .size:           4
        .value_kind:     hidden_block_count_x
      - .offset:         212
        .size:           4
        .value_kind:     hidden_block_count_y
      - .offset:         216
        .size:           4
        .value_kind:     hidden_block_count_z
      - .offset:         220
        .size:           2
        .value_kind:     hidden_group_size_x
      - .offset:         222
        .size:           2
        .value_kind:     hidden_group_size_y
      - .offset:         224
        .size:           2
        .value_kind:     hidden_group_size_z
      - .offset:         226
        .size:           2
        .value_kind:     hidden_remainder_x
      - .offset:         228
        .size:           2
        .value_kind:     hidden_remainder_y
      - .offset:         230
        .size:           2
        .value_kind:     hidden_remainder_z
      - .offset:         248
        .size:           8
        .value_kind:     hidden_global_offset_x
      - .offset:         256
        .size:           8
        .value_kind:     hidden_global_offset_y
      - .offset:         264
        .size:           8
        .value_kind:     hidden_global_offset_z
      - .offset:         272
        .size:           2
        .value_kind:     hidden_grid_dims
      - .offset:         288
        .size:           8
        .value_kind:     hidden_hostcall_buffer
    .group_segment_fixed_size: 0
    .kernarg_segment_align: 8
    .kernarg_segment_size: 464
    .language:       OpenCL C
    .language_version:
      - 2
      - 0
    .max_flat_workgroup_size: 128
    .name:           _ZL15flash_attn_tileILi64ELi64ELi8ELi4ELb1EEvPKcS1_S1_S1_S1_PKiPfP15HIP_vector_typeIfLj2EEffffjfiS5_IjLj3EEiiiiiiiiiiiliiliiiiil
    .private_segment_fixed_size: 16
    .sgpr_count:     36
    .sgpr_spill_count: 0
    .symbol:         _ZL15flash_attn_tileILi64ELi64ELi8ELi4ELb1EEvPKcS1_S1_S1_S1_PKiPfP15HIP_vector_typeIfLj2EEffffjfiS5_IjLj3EEiiiiiiiiiiiliiliiiiil.kd
    .uniform_work_group_size: 1
    .uses_dynamic_stack: false
    .vgpr_count:     40
    .vgpr_spill_count: 0
    .wavefront_size: 32
    .workgroup_processor_mode: 1
  - .args:
      - .address_space:  global
        .offset:         0
        .size:           8
        .value_kind:     global_buffer
      - .address_space:  global
        .offset:         8
        .size:           8
        .value_kind:     global_buffer
      - .address_space:  global
        .offset:         16
        .size:           8
        .value_kind:     global_buffer
      - .address_space:  global
        .offset:         24
        .size:           8
        .value_kind:     global_buffer
      - .address_space:  global
        .offset:         32
        .size:           8
        .value_kind:     global_buffer
      - .address_space:  global
        .offset:         40
        .size:           8
        .value_kind:     global_buffer
      - .address_space:  global
        .offset:         48
        .size:           8
        .value_kind:     global_buffer
      - .address_space:  global
        .offset:         56
        .size:           8
        .value_kind:     global_buffer
      - .offset:         64
        .size:           4
        .value_kind:     by_value
      - .offset:         68
        .size:           4
        .value_kind:     by_value
      - .offset:         72
        .size:           4
        .value_kind:     by_value
      - .offset:         76
        .size:           4
        .value_kind:     by_value
      - .offset:         80
        .size:           4
        .value_kind:     by_value
      - .offset:         84
        .size:           4
        .value_kind:     by_value
      - .offset:         88
        .size:           4
        .value_kind:     by_value
      - .offset:         92
        .size:           12
        .value_kind:     by_value
      - .offset:         104
        .size:           4
        .value_kind:     by_value
      - .offset:         108
        .size:           4
        .value_kind:     by_value
      - .offset:         112
        .size:           4
        .value_kind:     by_value
      - .offset:         116
        .size:           4
        .value_kind:     by_value
      - .offset:         120
        .size:           4
        .value_kind:     by_value
      - .offset:         124
        .size:           4
        .value_kind:     by_value
      - .offset:         128
        .size:           4
        .value_kind:     by_value
      - .offset:         132
        .size:           4
        .value_kind:     by_value
      - .offset:         136
        .size:           4
        .value_kind:     by_value
      - .offset:         140
        .size:           4
        .value_kind:     by_value
      - .offset:         144
        .size:           4
        .value_kind:     by_value
      - .offset:         152
        .size:           8
        .value_kind:     by_value
      - .offset:         160
        .size:           4
        .value_kind:     by_value
      - .offset:         164
        .size:           4
        .value_kind:     by_value
      - .offset:         168
        .size:           8
        .value_kind:     by_value
      - .offset:         176
        .size:           4
        .value_kind:     by_value
      - .offset:         180
        .size:           4
        .value_kind:     by_value
      - .offset:         184
        .size:           4
        .value_kind:     by_value
      - .offset:         188
        .size:           4
        .value_kind:     by_value
      - .offset:         192
        .size:           4
        .value_kind:     by_value
      - .offset:         200
        .size:           8
        .value_kind:     by_value
      - .offset:         208
        .size:           4
        .value_kind:     hidden_block_count_x
      - .offset:         212
        .size:           4
        .value_kind:     hidden_block_count_y
      - .offset:         216
        .size:           4
        .value_kind:     hidden_block_count_z
      - .offset:         220
        .size:           2
        .value_kind:     hidden_group_size_x
      - .offset:         222
        .size:           2
        .value_kind:     hidden_group_size_y
      - .offset:         224
        .size:           2
        .value_kind:     hidden_group_size_z
      - .offset:         226
        .size:           2
        .value_kind:     hidden_remainder_x
      - .offset:         228
        .size:           2
        .value_kind:     hidden_remainder_y
      - .offset:         230
        .size:           2
        .value_kind:     hidden_remainder_z
      - .offset:         248
        .size:           8
        .value_kind:     hidden_global_offset_x
      - .offset:         256
        .size:           8
        .value_kind:     hidden_global_offset_y
      - .offset:         264
        .size:           8
        .value_kind:     hidden_global_offset_z
      - .offset:         272
        .size:           2
        .value_kind:     hidden_grid_dims
      - .offset:         288
        .size:           8
        .value_kind:     hidden_hostcall_buffer
    .group_segment_fixed_size: 0
    .kernarg_segment_align: 8
    .kernarg_segment_size: 464
    .language:       OpenCL C
    .language_version:
      - 2
      - 0
    .max_flat_workgroup_size: 128
    .name:           _ZL15flash_attn_tileILi64ELi64ELi4ELi4ELb1EEvPKcS1_S1_S1_S1_PKiPfP15HIP_vector_typeIfLj2EEffffjfiS5_IjLj3EEiiiiiiiiiiiliiliiiiil
    .private_segment_fixed_size: 16
    .sgpr_count:     36
    .sgpr_spill_count: 0
    .symbol:         _ZL15flash_attn_tileILi64ELi64ELi4ELi4ELb1EEvPKcS1_S1_S1_S1_PKiPfP15HIP_vector_typeIfLj2EEffffjfiS5_IjLj3EEiiiiiiiiiiiliiliiiiil.kd
    .uniform_work_group_size: 1
    .uses_dynamic_stack: false
    .vgpr_count:     40
    .vgpr_spill_count: 0
    .wavefront_size: 32
    .workgroup_processor_mode: 1
  - .args:
      - .address_space:  global
        .offset:         0
        .size:           8
        .value_kind:     global_buffer
      - .address_space:  global
        .offset:         8
        .size:           8
        .value_kind:     global_buffer
      - .address_space:  global
        .offset:         16
        .size:           8
        .value_kind:     global_buffer
      - .address_space:  global
        .offset:         24
        .size:           8
        .value_kind:     global_buffer
      - .address_space:  global
        .offset:         32
        .size:           8
        .value_kind:     global_buffer
      - .address_space:  global
        .offset:         40
        .size:           8
        .value_kind:     global_buffer
      - .address_space:  global
        .offset:         48
        .size:           8
        .value_kind:     global_buffer
      - .address_space:  global
        .offset:         56
        .size:           8
        .value_kind:     global_buffer
      - .offset:         64
        .size:           4
        .value_kind:     by_value
      - .offset:         68
        .size:           4
        .value_kind:     by_value
      - .offset:         72
        .size:           4
        .value_kind:     by_value
      - .offset:         76
        .size:           4
        .value_kind:     by_value
      - .offset:         80
        .size:           4
        .value_kind:     by_value
      - .offset:         84
        .size:           4
        .value_kind:     by_value
      - .offset:         88
        .size:           4
        .value_kind:     by_value
      - .offset:         92
        .size:           12
        .value_kind:     by_value
      - .offset:         104
        .size:           4
        .value_kind:     by_value
      - .offset:         108
        .size:           4
        .value_kind:     by_value
      - .offset:         112
        .size:           4
        .value_kind:     by_value
      - .offset:         116
        .size:           4
        .value_kind:     by_value
      - .offset:         120
        .size:           4
        .value_kind:     by_value
      - .offset:         124
        .size:           4
        .value_kind:     by_value
      - .offset:         128
        .size:           4
        .value_kind:     by_value
      - .offset:         132
        .size:           4
        .value_kind:     by_value
      - .offset:         136
        .size:           4
        .value_kind:     by_value
      - .offset:         140
        .size:           4
        .value_kind:     by_value
      - .offset:         144
        .size:           4
        .value_kind:     by_value
      - .offset:         152
        .size:           8
        .value_kind:     by_value
      - .offset:         160
        .size:           4
        .value_kind:     by_value
      - .offset:         164
        .size:           4
        .value_kind:     by_value
      - .offset:         168
        .size:           8
        .value_kind:     by_value
      - .offset:         176
        .size:           4
        .value_kind:     by_value
      - .offset:         180
        .size:           4
        .value_kind:     by_value
      - .offset:         184
        .size:           4
        .value_kind:     by_value
      - .offset:         188
        .size:           4
        .value_kind:     by_value
      - .offset:         192
        .size:           4
        .value_kind:     by_value
      - .offset:         200
        .size:           8
        .value_kind:     by_value
      - .offset:         208
        .size:           4
        .value_kind:     hidden_block_count_x
      - .offset:         212
        .size:           4
        .value_kind:     hidden_block_count_y
      - .offset:         216
        .size:           4
        .value_kind:     hidden_block_count_z
      - .offset:         220
        .size:           2
        .value_kind:     hidden_group_size_x
      - .offset:         222
        .size:           2
        .value_kind:     hidden_group_size_y
      - .offset:         224
        .size:           2
        .value_kind:     hidden_group_size_z
      - .offset:         226
        .size:           2
        .value_kind:     hidden_remainder_x
      - .offset:         228
        .size:           2
        .value_kind:     hidden_remainder_y
      - .offset:         230
        .size:           2
        .value_kind:     hidden_remainder_z
      - .offset:         248
        .size:           8
        .value_kind:     hidden_global_offset_x
      - .offset:         256
        .size:           8
        .value_kind:     hidden_global_offset_y
      - .offset:         264
        .size:           8
        .value_kind:     hidden_global_offset_z
      - .offset:         272
        .size:           2
        .value_kind:     hidden_grid_dims
      - .offset:         288
        .size:           8
        .value_kind:     hidden_hostcall_buffer
    .group_segment_fixed_size: 0
    .kernarg_segment_align: 8
    .kernarg_segment_size: 464
    .language:       OpenCL C
    .language_version:
      - 2
      - 0
    .max_flat_workgroup_size: 128
    .name:           _ZL15flash_attn_tileILi64ELi64ELi2ELi4ELb1EEvPKcS1_S1_S1_S1_PKiPfP15HIP_vector_typeIfLj2EEffffjfiS5_IjLj3EEiiiiiiiiiiiliiliiiiil
    .private_segment_fixed_size: 16
    .sgpr_count:     36
    .sgpr_spill_count: 0
    .symbol:         _ZL15flash_attn_tileILi64ELi64ELi2ELi4ELb1EEvPKcS1_S1_S1_S1_PKiPfP15HIP_vector_typeIfLj2EEffffjfiS5_IjLj3EEiiiiiiiiiiiliiliiiiil.kd
    .uniform_work_group_size: 1
    .uses_dynamic_stack: false
    .vgpr_count:     40
    .vgpr_spill_count: 0
    .wavefront_size: 32
    .workgroup_processor_mode: 1
  - .args:
      - .address_space:  global
        .offset:         0
        .size:           8
        .value_kind:     global_buffer
      - .address_space:  global
        .offset:         8
        .size:           8
        .value_kind:     global_buffer
      - .address_space:  global
        .offset:         16
        .size:           8
        .value_kind:     global_buffer
      - .address_space:  global
        .offset:         24
        .size:           8
        .value_kind:     global_buffer
      - .address_space:  global
        .offset:         32
        .size:           8
        .value_kind:     global_buffer
      - .address_space:  global
        .offset:         40
        .size:           8
        .value_kind:     global_buffer
      - .address_space:  global
        .offset:         48
        .size:           8
        .value_kind:     global_buffer
      - .address_space:  global
        .offset:         56
        .size:           8
        .value_kind:     global_buffer
      - .offset:         64
        .size:           4
        .value_kind:     by_value
      - .offset:         68
        .size:           4
        .value_kind:     by_value
      - .offset:         72
        .size:           4
        .value_kind:     by_value
      - .offset:         76
        .size:           4
        .value_kind:     by_value
      - .offset:         80
        .size:           4
        .value_kind:     by_value
      - .offset:         84
        .size:           4
        .value_kind:     by_value
      - .offset:         88
        .size:           4
        .value_kind:     by_value
      - .offset:         92
        .size:           12
        .value_kind:     by_value
      - .offset:         104
        .size:           4
        .value_kind:     by_value
      - .offset:         108
        .size:           4
        .value_kind:     by_value
      - .offset:         112
        .size:           4
        .value_kind:     by_value
      - .offset:         116
        .size:           4
        .value_kind:     by_value
      - .offset:         120
        .size:           4
        .value_kind:     by_value
      - .offset:         124
        .size:           4
        .value_kind:     by_value
      - .offset:         128
        .size:           4
        .value_kind:     by_value
      - .offset:         132
        .size:           4
        .value_kind:     by_value
      - .offset:         136
        .size:           4
        .value_kind:     by_value
      - .offset:         140
        .size:           4
        .value_kind:     by_value
      - .offset:         144
        .size:           4
        .value_kind:     by_value
      - .offset:         152
        .size:           8
        .value_kind:     by_value
      - .offset:         160
        .size:           4
        .value_kind:     by_value
      - .offset:         164
        .size:           4
        .value_kind:     by_value
      - .offset:         168
        .size:           8
        .value_kind:     by_value
      - .offset:         176
        .size:           4
        .value_kind:     by_value
      - .offset:         180
        .size:           4
        .value_kind:     by_value
      - .offset:         184
        .size:           4
        .value_kind:     by_value
      - .offset:         188
        .size:           4
        .value_kind:     by_value
      - .offset:         192
        .size:           4
        .value_kind:     by_value
      - .offset:         200
        .size:           8
        .value_kind:     by_value
      - .offset:         208
        .size:           4
        .value_kind:     hidden_block_count_x
      - .offset:         212
        .size:           4
        .value_kind:     hidden_block_count_y
      - .offset:         216
        .size:           4
        .value_kind:     hidden_block_count_z
      - .offset:         220
        .size:           2
        .value_kind:     hidden_group_size_x
      - .offset:         222
        .size:           2
        .value_kind:     hidden_group_size_y
      - .offset:         224
        .size:           2
        .value_kind:     hidden_group_size_z
      - .offset:         226
        .size:           2
        .value_kind:     hidden_remainder_x
      - .offset:         228
        .size:           2
        .value_kind:     hidden_remainder_y
      - .offset:         230
        .size:           2
        .value_kind:     hidden_remainder_z
      - .offset:         248
        .size:           8
        .value_kind:     hidden_global_offset_x
      - .offset:         256
        .size:           8
        .value_kind:     hidden_global_offset_y
      - .offset:         264
        .size:           8
        .value_kind:     hidden_global_offset_z
      - .offset:         272
        .size:           2
        .value_kind:     hidden_grid_dims
      - .offset:         288
        .size:           8
        .value_kind:     hidden_hostcall_buffer
    .group_segment_fixed_size: 0
    .kernarg_segment_align: 8
    .kernarg_segment_size: 464
    .language:       OpenCL C
    .language_version:
      - 2
      - 0
    .max_flat_workgroup_size: 64
    .name:           _ZL15flash_attn_tileILi64ELi64ELi1ELi4ELb1EEvPKcS1_S1_S1_S1_PKiPfP15HIP_vector_typeIfLj2EEffffjfiS5_IjLj3EEiiiiiiiiiiiliiliiiiil
    .private_segment_fixed_size: 16
    .sgpr_count:     36
    .sgpr_spill_count: 0
    .symbol:         _ZL15flash_attn_tileILi64ELi64ELi1ELi4ELb1EEvPKcS1_S1_S1_S1_PKiPfP15HIP_vector_typeIfLj2EEffffjfiS5_IjLj3EEiiiiiiiiiiiliiliiiiil.kd
    .uniform_work_group_size: 1
    .uses_dynamic_stack: false
    .vgpr_count:     40
    .vgpr_spill_count: 0
    .wavefront_size: 32
    .workgroup_processor_mode: 1
  - .args:
      - .address_space:  global
        .offset:         0
        .size:           8
        .value_kind:     global_buffer
      - .address_space:  global
        .offset:         8
        .size:           8
        .value_kind:     global_buffer
      - .address_space:  global
        .offset:         16
        .size:           8
        .value_kind:     global_buffer
      - .address_space:  global
        .offset:         24
        .size:           8
        .value_kind:     global_buffer
      - .address_space:  global
        .offset:         32
        .size:           8
        .value_kind:     global_buffer
      - .address_space:  global
        .offset:         40
        .size:           8
        .value_kind:     global_buffer
      - .address_space:  global
        .offset:         48
        .size:           8
        .value_kind:     global_buffer
      - .address_space:  global
        .offset:         56
        .size:           8
        .value_kind:     global_buffer
      - .offset:         64
        .size:           4
        .value_kind:     by_value
      - .offset:         68
        .size:           4
        .value_kind:     by_value
      - .offset:         72
        .size:           4
        .value_kind:     by_value
      - .offset:         76
        .size:           4
        .value_kind:     by_value
      - .offset:         80
        .size:           4
        .value_kind:     by_value
      - .offset:         84
        .size:           4
        .value_kind:     by_value
      - .offset:         88
        .size:           4
        .value_kind:     by_value
      - .offset:         92
        .size:           12
        .value_kind:     by_value
      - .offset:         104
        .size:           4
        .value_kind:     by_value
      - .offset:         108
        .size:           4
        .value_kind:     by_value
      - .offset:         112
        .size:           4
        .value_kind:     by_value
      - .offset:         116
        .size:           4
        .value_kind:     by_value
      - .offset:         120
        .size:           4
        .value_kind:     by_value
      - .offset:         124
        .size:           4
        .value_kind:     by_value
      - .offset:         128
        .size:           4
        .value_kind:     by_value
      - .offset:         132
        .size:           4
        .value_kind:     by_value
      - .offset:         136
        .size:           4
        .value_kind:     by_value
      - .offset:         140
        .size:           4
        .value_kind:     by_value
      - .offset:         144
        .size:           4
        .value_kind:     by_value
      - .offset:         152
        .size:           8
        .value_kind:     by_value
      - .offset:         160
        .size:           4
        .value_kind:     by_value
      - .offset:         164
        .size:           4
        .value_kind:     by_value
      - .offset:         168
        .size:           8
        .value_kind:     by_value
      - .offset:         176
        .size:           4
        .value_kind:     by_value
      - .offset:         180
        .size:           4
        .value_kind:     by_value
      - .offset:         184
        .size:           4
        .value_kind:     by_value
      - .offset:         188
        .size:           4
        .value_kind:     by_value
      - .offset:         192
        .size:           4
        .value_kind:     by_value
      - .offset:         200
        .size:           8
        .value_kind:     by_value
      - .offset:         208
        .size:           4
        .value_kind:     hidden_block_count_x
      - .offset:         212
        .size:           4
        .value_kind:     hidden_block_count_y
      - .offset:         216
        .size:           4
        .value_kind:     hidden_block_count_z
      - .offset:         220
        .size:           2
        .value_kind:     hidden_group_size_x
      - .offset:         222
        .size:           2
        .value_kind:     hidden_group_size_y
      - .offset:         224
        .size:           2
        .value_kind:     hidden_group_size_z
      - .offset:         226
        .size:           2
        .value_kind:     hidden_remainder_x
      - .offset:         228
        .size:           2
        .value_kind:     hidden_remainder_y
      - .offset:         230
        .size:           2
        .value_kind:     hidden_remainder_z
      - .offset:         248
        .size:           8
        .value_kind:     hidden_global_offset_x
      - .offset:         256
        .size:           8
        .value_kind:     hidden_global_offset_y
      - .offset:         264
        .size:           8
        .value_kind:     hidden_global_offset_z
      - .offset:         272
        .size:           2
        .value_kind:     hidden_grid_dims
      - .offset:         288
        .size:           8
        .value_kind:     hidden_hostcall_buffer
    .group_segment_fixed_size: 0
    .kernarg_segment_align: 8
    .kernarg_segment_size: 464
    .language:       OpenCL C
    .language_version:
      - 2
      - 0
    .max_flat_workgroup_size: 128
    .name:           _ZL15flash_attn_tileILi64ELi64ELi32ELi2ELb1EEvPKcS1_S1_S1_S1_PKiPfP15HIP_vector_typeIfLj2EEffffjfiS5_IjLj3EEiiiiiiiiiiiliiliiiiil
    .private_segment_fixed_size: 16
    .sgpr_count:     36
    .sgpr_spill_count: 0
    .symbol:         _ZL15flash_attn_tileILi64ELi64ELi32ELi2ELb1EEvPKcS1_S1_S1_S1_PKiPfP15HIP_vector_typeIfLj2EEffffjfiS5_IjLj3EEiiiiiiiiiiiliiliiiiil.kd
    .uniform_work_group_size: 1
    .uses_dynamic_stack: false
    .vgpr_count:     40
    .vgpr_spill_count: 0
    .wavefront_size: 32
    .workgroup_processor_mode: 1
  - .args:
      - .address_space:  global
        .offset:         0
        .size:           8
        .value_kind:     global_buffer
      - .address_space:  global
        .offset:         8
        .size:           8
        .value_kind:     global_buffer
      - .address_space:  global
        .offset:         16
        .size:           8
        .value_kind:     global_buffer
      - .address_space:  global
        .offset:         24
        .size:           8
        .value_kind:     global_buffer
      - .address_space:  global
        .offset:         32
        .size:           8
        .value_kind:     global_buffer
      - .address_space:  global
        .offset:         40
        .size:           8
        .value_kind:     global_buffer
      - .address_space:  global
        .offset:         48
        .size:           8
        .value_kind:     global_buffer
      - .address_space:  global
        .offset:         56
        .size:           8
        .value_kind:     global_buffer
      - .offset:         64
        .size:           4
        .value_kind:     by_value
      - .offset:         68
        .size:           4
        .value_kind:     by_value
      - .offset:         72
        .size:           4
        .value_kind:     by_value
      - .offset:         76
        .size:           4
        .value_kind:     by_value
      - .offset:         80
        .size:           4
        .value_kind:     by_value
      - .offset:         84
        .size:           4
        .value_kind:     by_value
      - .offset:         88
        .size:           4
        .value_kind:     by_value
      - .offset:         92
        .size:           12
        .value_kind:     by_value
      - .offset:         104
        .size:           4
        .value_kind:     by_value
      - .offset:         108
        .size:           4
        .value_kind:     by_value
      - .offset:         112
        .size:           4
        .value_kind:     by_value
      - .offset:         116
        .size:           4
        .value_kind:     by_value
      - .offset:         120
        .size:           4
        .value_kind:     by_value
      - .offset:         124
        .size:           4
        .value_kind:     by_value
      - .offset:         128
        .size:           4
        .value_kind:     by_value
      - .offset:         132
        .size:           4
        .value_kind:     by_value
      - .offset:         136
        .size:           4
        .value_kind:     by_value
      - .offset:         140
        .size:           4
        .value_kind:     by_value
      - .offset:         144
        .size:           4
        .value_kind:     by_value
      - .offset:         152
        .size:           8
        .value_kind:     by_value
      - .offset:         160
        .size:           4
        .value_kind:     by_value
      - .offset:         164
        .size:           4
        .value_kind:     by_value
      - .offset:         168
        .size:           8
        .value_kind:     by_value
      - .offset:         176
        .size:           4
        .value_kind:     by_value
      - .offset:         180
        .size:           4
        .value_kind:     by_value
      - .offset:         184
        .size:           4
        .value_kind:     by_value
      - .offset:         188
        .size:           4
        .value_kind:     by_value
      - .offset:         192
        .size:           4
        .value_kind:     by_value
      - .offset:         200
        .size:           8
        .value_kind:     by_value
      - .offset:         208
        .size:           4
        .value_kind:     hidden_block_count_x
      - .offset:         212
        .size:           4
        .value_kind:     hidden_block_count_y
      - .offset:         216
        .size:           4
        .value_kind:     hidden_block_count_z
      - .offset:         220
        .size:           2
        .value_kind:     hidden_group_size_x
      - .offset:         222
        .size:           2
        .value_kind:     hidden_group_size_y
      - .offset:         224
        .size:           2
        .value_kind:     hidden_group_size_z
      - .offset:         226
        .size:           2
        .value_kind:     hidden_remainder_x
      - .offset:         228
        .size:           2
        .value_kind:     hidden_remainder_y
      - .offset:         230
        .size:           2
        .value_kind:     hidden_remainder_z
      - .offset:         248
        .size:           8
        .value_kind:     hidden_global_offset_x
      - .offset:         256
        .size:           8
        .value_kind:     hidden_global_offset_y
      - .offset:         264
        .size:           8
        .value_kind:     hidden_global_offset_z
      - .offset:         272
        .size:           2
        .value_kind:     hidden_grid_dims
      - .offset:         288
        .size:           8
        .value_kind:     hidden_hostcall_buffer
    .group_segment_fixed_size: 0
    .kernarg_segment_align: 8
    .kernarg_segment_size: 464
    .language:       OpenCL C
    .language_version:
      - 2
      - 0
    .max_flat_workgroup_size: 128
    .name:           _ZL15flash_attn_tileILi64ELi64ELi16ELi2ELb1EEvPKcS1_S1_S1_S1_PKiPfP15HIP_vector_typeIfLj2EEffffjfiS5_IjLj3EEiiiiiiiiiiiliiliiiiil
    .private_segment_fixed_size: 16
    .sgpr_count:     36
    .sgpr_spill_count: 0
    .symbol:         _ZL15flash_attn_tileILi64ELi64ELi16ELi2ELb1EEvPKcS1_S1_S1_S1_PKiPfP15HIP_vector_typeIfLj2EEffffjfiS5_IjLj3EEiiiiiiiiiiiliiliiiiil.kd
    .uniform_work_group_size: 1
    .uses_dynamic_stack: false
    .vgpr_count:     40
    .vgpr_spill_count: 0
    .wavefront_size: 32
    .workgroup_processor_mode: 1
  - .args:
      - .address_space:  global
        .offset:         0
        .size:           8
        .value_kind:     global_buffer
      - .address_space:  global
        .offset:         8
        .size:           8
        .value_kind:     global_buffer
      - .address_space:  global
        .offset:         16
        .size:           8
        .value_kind:     global_buffer
      - .address_space:  global
        .offset:         24
        .size:           8
        .value_kind:     global_buffer
      - .address_space:  global
        .offset:         32
        .size:           8
        .value_kind:     global_buffer
      - .address_space:  global
        .offset:         40
        .size:           8
        .value_kind:     global_buffer
      - .address_space:  global
        .offset:         48
        .size:           8
        .value_kind:     global_buffer
      - .address_space:  global
        .offset:         56
        .size:           8
        .value_kind:     global_buffer
      - .offset:         64
        .size:           4
        .value_kind:     by_value
      - .offset:         68
        .size:           4
        .value_kind:     by_value
      - .offset:         72
        .size:           4
        .value_kind:     by_value
      - .offset:         76
        .size:           4
        .value_kind:     by_value
      - .offset:         80
        .size:           4
        .value_kind:     by_value
      - .offset:         84
        .size:           4
        .value_kind:     by_value
      - .offset:         88
        .size:           4
        .value_kind:     by_value
      - .offset:         92
        .size:           12
        .value_kind:     by_value
      - .offset:         104
        .size:           4
        .value_kind:     by_value
      - .offset:         108
        .size:           4
        .value_kind:     by_value
      - .offset:         112
        .size:           4
        .value_kind:     by_value
      - .offset:         116
        .size:           4
        .value_kind:     by_value
      - .offset:         120
        .size:           4
        .value_kind:     by_value
      - .offset:         124
        .size:           4
        .value_kind:     by_value
      - .offset:         128
        .size:           4
        .value_kind:     by_value
      - .offset:         132
        .size:           4
        .value_kind:     by_value
      - .offset:         136
        .size:           4
        .value_kind:     by_value
      - .offset:         140
        .size:           4
        .value_kind:     by_value
      - .offset:         144
        .size:           4
        .value_kind:     by_value
      - .offset:         152
        .size:           8
        .value_kind:     by_value
      - .offset:         160
        .size:           4
        .value_kind:     by_value
      - .offset:         164
        .size:           4
        .value_kind:     by_value
      - .offset:         168
        .size:           8
        .value_kind:     by_value
      - .offset:         176
        .size:           4
        .value_kind:     by_value
      - .offset:         180
        .size:           4
        .value_kind:     by_value
      - .offset:         184
        .size:           4
        .value_kind:     by_value
      - .offset:         188
        .size:           4
        .value_kind:     by_value
      - .offset:         192
        .size:           4
        .value_kind:     by_value
      - .offset:         200
        .size:           8
        .value_kind:     by_value
      - .offset:         208
        .size:           4
        .value_kind:     hidden_block_count_x
      - .offset:         212
        .size:           4
        .value_kind:     hidden_block_count_y
      - .offset:         216
        .size:           4
        .value_kind:     hidden_block_count_z
      - .offset:         220
        .size:           2
        .value_kind:     hidden_group_size_x
      - .offset:         222
        .size:           2
        .value_kind:     hidden_group_size_y
      - .offset:         224
        .size:           2
        .value_kind:     hidden_group_size_z
      - .offset:         226
        .size:           2
        .value_kind:     hidden_remainder_x
      - .offset:         228
        .size:           2
        .value_kind:     hidden_remainder_y
      - .offset:         230
        .size:           2
        .value_kind:     hidden_remainder_z
      - .offset:         248
        .size:           8
        .value_kind:     hidden_global_offset_x
      - .offset:         256
        .size:           8
        .value_kind:     hidden_global_offset_y
      - .offset:         264
        .size:           8
        .value_kind:     hidden_global_offset_z
      - .offset:         272
        .size:           2
        .value_kind:     hidden_grid_dims
      - .offset:         288
        .size:           8
        .value_kind:     hidden_hostcall_buffer
    .group_segment_fixed_size: 0
    .kernarg_segment_align: 8
    .kernarg_segment_size: 464
    .language:       OpenCL C
    .language_version:
      - 2
      - 0
    .max_flat_workgroup_size: 128
    .name:           _ZL15flash_attn_tileILi64ELi64ELi8ELi2ELb1EEvPKcS1_S1_S1_S1_PKiPfP15HIP_vector_typeIfLj2EEffffjfiS5_IjLj3EEiiiiiiiiiiiliiliiiiil
    .private_segment_fixed_size: 16
    .sgpr_count:     36
    .sgpr_spill_count: 0
    .symbol:         _ZL15flash_attn_tileILi64ELi64ELi8ELi2ELb1EEvPKcS1_S1_S1_S1_PKiPfP15HIP_vector_typeIfLj2EEffffjfiS5_IjLj3EEiiiiiiiiiiiliiliiiiil.kd
    .uniform_work_group_size: 1
    .uses_dynamic_stack: false
    .vgpr_count:     40
    .vgpr_spill_count: 0
    .wavefront_size: 32
    .workgroup_processor_mode: 1
  - .args:
      - .address_space:  global
        .offset:         0
        .size:           8
        .value_kind:     global_buffer
      - .address_space:  global
        .offset:         8
        .size:           8
        .value_kind:     global_buffer
      - .address_space:  global
        .offset:         16
        .size:           8
        .value_kind:     global_buffer
      - .address_space:  global
        .offset:         24
        .size:           8
        .value_kind:     global_buffer
      - .address_space:  global
        .offset:         32
        .size:           8
        .value_kind:     global_buffer
      - .address_space:  global
        .offset:         40
        .size:           8
        .value_kind:     global_buffer
      - .address_space:  global
        .offset:         48
        .size:           8
        .value_kind:     global_buffer
      - .address_space:  global
        .offset:         56
        .size:           8
        .value_kind:     global_buffer
      - .offset:         64
        .size:           4
        .value_kind:     by_value
      - .offset:         68
        .size:           4
        .value_kind:     by_value
      - .offset:         72
        .size:           4
        .value_kind:     by_value
      - .offset:         76
        .size:           4
        .value_kind:     by_value
      - .offset:         80
        .size:           4
        .value_kind:     by_value
      - .offset:         84
        .size:           4
        .value_kind:     by_value
      - .offset:         88
        .size:           4
        .value_kind:     by_value
      - .offset:         92
        .size:           12
        .value_kind:     by_value
      - .offset:         104
        .size:           4
        .value_kind:     by_value
      - .offset:         108
        .size:           4
        .value_kind:     by_value
      - .offset:         112
        .size:           4
        .value_kind:     by_value
      - .offset:         116
        .size:           4
        .value_kind:     by_value
      - .offset:         120
        .size:           4
        .value_kind:     by_value
      - .offset:         124
        .size:           4
        .value_kind:     by_value
      - .offset:         128
        .size:           4
        .value_kind:     by_value
      - .offset:         132
        .size:           4
        .value_kind:     by_value
      - .offset:         136
        .size:           4
        .value_kind:     by_value
      - .offset:         140
        .size:           4
        .value_kind:     by_value
      - .offset:         144
        .size:           4
        .value_kind:     by_value
      - .offset:         152
        .size:           8
        .value_kind:     by_value
      - .offset:         160
        .size:           4
        .value_kind:     by_value
      - .offset:         164
        .size:           4
        .value_kind:     by_value
      - .offset:         168
        .size:           8
        .value_kind:     by_value
      - .offset:         176
        .size:           4
        .value_kind:     by_value
      - .offset:         180
        .size:           4
        .value_kind:     by_value
      - .offset:         184
        .size:           4
        .value_kind:     by_value
      - .offset:         188
        .size:           4
        .value_kind:     by_value
      - .offset:         192
        .size:           4
        .value_kind:     by_value
      - .offset:         200
        .size:           8
        .value_kind:     by_value
      - .offset:         208
        .size:           4
        .value_kind:     hidden_block_count_x
      - .offset:         212
        .size:           4
        .value_kind:     hidden_block_count_y
      - .offset:         216
        .size:           4
        .value_kind:     hidden_block_count_z
      - .offset:         220
        .size:           2
        .value_kind:     hidden_group_size_x
      - .offset:         222
        .size:           2
        .value_kind:     hidden_group_size_y
      - .offset:         224
        .size:           2
        .value_kind:     hidden_group_size_z
      - .offset:         226
        .size:           2
        .value_kind:     hidden_remainder_x
      - .offset:         228
        .size:           2
        .value_kind:     hidden_remainder_y
      - .offset:         230
        .size:           2
        .value_kind:     hidden_remainder_z
      - .offset:         248
        .size:           8
        .value_kind:     hidden_global_offset_x
      - .offset:         256
        .size:           8
        .value_kind:     hidden_global_offset_y
      - .offset:         264
        .size:           8
        .value_kind:     hidden_global_offset_z
      - .offset:         272
        .size:           2
        .value_kind:     hidden_grid_dims
      - .offset:         288
        .size:           8
        .value_kind:     hidden_hostcall_buffer
    .group_segment_fixed_size: 0
    .kernarg_segment_align: 8
    .kernarg_segment_size: 464
    .language:       OpenCL C
    .language_version:
      - 2
      - 0
    .max_flat_workgroup_size: 128
    .name:           _ZL15flash_attn_tileILi64ELi64ELi4ELi2ELb1EEvPKcS1_S1_S1_S1_PKiPfP15HIP_vector_typeIfLj2EEffffjfiS5_IjLj3EEiiiiiiiiiiiliiliiiiil
    .private_segment_fixed_size: 16
    .sgpr_count:     36
    .sgpr_spill_count: 0
    .symbol:         _ZL15flash_attn_tileILi64ELi64ELi4ELi2ELb1EEvPKcS1_S1_S1_S1_PKiPfP15HIP_vector_typeIfLj2EEffffjfiS5_IjLj3EEiiiiiiiiiiiliiliiiiil.kd
    .uniform_work_group_size: 1
    .uses_dynamic_stack: false
    .vgpr_count:     40
    .vgpr_spill_count: 0
    .wavefront_size: 32
    .workgroup_processor_mode: 1
  - .args:
      - .address_space:  global
        .offset:         0
        .size:           8
        .value_kind:     global_buffer
      - .address_space:  global
        .offset:         8
        .size:           8
        .value_kind:     global_buffer
      - .address_space:  global
        .offset:         16
        .size:           8
        .value_kind:     global_buffer
      - .address_space:  global
        .offset:         24
        .size:           8
        .value_kind:     global_buffer
      - .address_space:  global
        .offset:         32
        .size:           8
        .value_kind:     global_buffer
      - .address_space:  global
        .offset:         40
        .size:           8
        .value_kind:     global_buffer
      - .address_space:  global
        .offset:         48
        .size:           8
        .value_kind:     global_buffer
      - .address_space:  global
        .offset:         56
        .size:           8
        .value_kind:     global_buffer
      - .offset:         64
        .size:           4
        .value_kind:     by_value
      - .offset:         68
        .size:           4
        .value_kind:     by_value
      - .offset:         72
        .size:           4
        .value_kind:     by_value
      - .offset:         76
        .size:           4
        .value_kind:     by_value
      - .offset:         80
        .size:           4
        .value_kind:     by_value
      - .offset:         84
        .size:           4
        .value_kind:     by_value
      - .offset:         88
        .size:           4
        .value_kind:     by_value
      - .offset:         92
        .size:           12
        .value_kind:     by_value
      - .offset:         104
        .size:           4
        .value_kind:     by_value
      - .offset:         108
        .size:           4
        .value_kind:     by_value
      - .offset:         112
        .size:           4
        .value_kind:     by_value
      - .offset:         116
        .size:           4
        .value_kind:     by_value
      - .offset:         120
        .size:           4
        .value_kind:     by_value
      - .offset:         124
        .size:           4
        .value_kind:     by_value
      - .offset:         128
        .size:           4
        .value_kind:     by_value
      - .offset:         132
        .size:           4
        .value_kind:     by_value
      - .offset:         136
        .size:           4
        .value_kind:     by_value
      - .offset:         140
        .size:           4
        .value_kind:     by_value
      - .offset:         144
        .size:           4
        .value_kind:     by_value
      - .offset:         152
        .size:           8
        .value_kind:     by_value
      - .offset:         160
        .size:           4
        .value_kind:     by_value
      - .offset:         164
        .size:           4
        .value_kind:     by_value
      - .offset:         168
        .size:           8
        .value_kind:     by_value
      - .offset:         176
        .size:           4
        .value_kind:     by_value
      - .offset:         180
        .size:           4
        .value_kind:     by_value
      - .offset:         184
        .size:           4
        .value_kind:     by_value
      - .offset:         188
        .size:           4
        .value_kind:     by_value
      - .offset:         192
        .size:           4
        .value_kind:     by_value
      - .offset:         200
        .size:           8
        .value_kind:     by_value
      - .offset:         208
        .size:           4
        .value_kind:     hidden_block_count_x
      - .offset:         212
        .size:           4
        .value_kind:     hidden_block_count_y
      - .offset:         216
        .size:           4
        .value_kind:     hidden_block_count_z
      - .offset:         220
        .size:           2
        .value_kind:     hidden_group_size_x
      - .offset:         222
        .size:           2
        .value_kind:     hidden_group_size_y
      - .offset:         224
        .size:           2
        .value_kind:     hidden_group_size_z
      - .offset:         226
        .size:           2
        .value_kind:     hidden_remainder_x
      - .offset:         228
        .size:           2
        .value_kind:     hidden_remainder_y
      - .offset:         230
        .size:           2
        .value_kind:     hidden_remainder_z
      - .offset:         248
        .size:           8
        .value_kind:     hidden_global_offset_x
      - .offset:         256
        .size:           8
        .value_kind:     hidden_global_offset_y
      - .offset:         264
        .size:           8
        .value_kind:     hidden_global_offset_z
      - .offset:         272
        .size:           2
        .value_kind:     hidden_grid_dims
      - .offset:         288
        .size:           8
        .value_kind:     hidden_hostcall_buffer
    .group_segment_fixed_size: 0
    .kernarg_segment_align: 8
    .kernarg_segment_size: 464
    .language:       OpenCL C
    .language_version:
      - 2
      - 0
    .max_flat_workgroup_size: 64
    .name:           _ZL15flash_attn_tileILi64ELi64ELi2ELi2ELb1EEvPKcS1_S1_S1_S1_PKiPfP15HIP_vector_typeIfLj2EEffffjfiS5_IjLj3EEiiiiiiiiiiiliiliiiiil
    .private_segment_fixed_size: 16
    .sgpr_count:     36
    .sgpr_spill_count: 0
    .symbol:         _ZL15flash_attn_tileILi64ELi64ELi2ELi2ELb1EEvPKcS1_S1_S1_S1_PKiPfP15HIP_vector_typeIfLj2EEffffjfiS5_IjLj3EEiiiiiiiiiiiliiliiiiil.kd
    .uniform_work_group_size: 1
    .uses_dynamic_stack: false
    .vgpr_count:     40
    .vgpr_spill_count: 0
    .wavefront_size: 32
    .workgroup_processor_mode: 1
  - .args:
      - .address_space:  global
        .offset:         0
        .size:           8
        .value_kind:     global_buffer
      - .address_space:  global
        .offset:         8
        .size:           8
        .value_kind:     global_buffer
      - .address_space:  global
        .offset:         16
        .size:           8
        .value_kind:     global_buffer
      - .address_space:  global
        .offset:         24
        .size:           8
        .value_kind:     global_buffer
      - .address_space:  global
        .offset:         32
        .size:           8
        .value_kind:     global_buffer
      - .address_space:  global
        .offset:         40
        .size:           8
        .value_kind:     global_buffer
      - .address_space:  global
        .offset:         48
        .size:           8
        .value_kind:     global_buffer
      - .address_space:  global
        .offset:         56
        .size:           8
        .value_kind:     global_buffer
      - .offset:         64
        .size:           4
        .value_kind:     by_value
      - .offset:         68
        .size:           4
        .value_kind:     by_value
      - .offset:         72
        .size:           4
        .value_kind:     by_value
      - .offset:         76
        .size:           4
        .value_kind:     by_value
      - .offset:         80
        .size:           4
        .value_kind:     by_value
      - .offset:         84
        .size:           4
        .value_kind:     by_value
      - .offset:         88
        .size:           4
        .value_kind:     by_value
      - .offset:         92
        .size:           12
        .value_kind:     by_value
      - .offset:         104
        .size:           4
        .value_kind:     by_value
      - .offset:         108
        .size:           4
        .value_kind:     by_value
      - .offset:         112
        .size:           4
        .value_kind:     by_value
      - .offset:         116
        .size:           4
        .value_kind:     by_value
      - .offset:         120
        .size:           4
        .value_kind:     by_value
      - .offset:         124
        .size:           4
        .value_kind:     by_value
      - .offset:         128
        .size:           4
        .value_kind:     by_value
      - .offset:         132
        .size:           4
        .value_kind:     by_value
      - .offset:         136
        .size:           4
        .value_kind:     by_value
      - .offset:         140
        .size:           4
        .value_kind:     by_value
      - .offset:         144
        .size:           4
        .value_kind:     by_value
      - .offset:         152
        .size:           8
        .value_kind:     by_value
      - .offset:         160
        .size:           4
        .value_kind:     by_value
      - .offset:         164
        .size:           4
        .value_kind:     by_value
      - .offset:         168
        .size:           8
        .value_kind:     by_value
      - .offset:         176
        .size:           4
        .value_kind:     by_value
      - .offset:         180
        .size:           4
        .value_kind:     by_value
      - .offset:         184
        .size:           4
        .value_kind:     by_value
      - .offset:         188
        .size:           4
        .value_kind:     by_value
      - .offset:         192
        .size:           4
        .value_kind:     by_value
      - .offset:         200
        .size:           8
        .value_kind:     by_value
      - .offset:         208
        .size:           4
        .value_kind:     hidden_block_count_x
      - .offset:         212
        .size:           4
        .value_kind:     hidden_block_count_y
      - .offset:         216
        .size:           4
        .value_kind:     hidden_block_count_z
      - .offset:         220
        .size:           2
        .value_kind:     hidden_group_size_x
      - .offset:         222
        .size:           2
        .value_kind:     hidden_group_size_y
      - .offset:         224
        .size:           2
        .value_kind:     hidden_group_size_z
      - .offset:         226
        .size:           2
        .value_kind:     hidden_remainder_x
      - .offset:         228
        .size:           2
        .value_kind:     hidden_remainder_y
      - .offset:         230
        .size:           2
        .value_kind:     hidden_remainder_z
      - .offset:         248
        .size:           8
        .value_kind:     hidden_global_offset_x
      - .offset:         256
        .size:           8
        .value_kind:     hidden_global_offset_y
      - .offset:         264
        .size:           8
        .value_kind:     hidden_global_offset_z
      - .offset:         272
        .size:           2
        .value_kind:     hidden_grid_dims
      - .offset:         288
        .size:           8
        .value_kind:     hidden_hostcall_buffer
    .group_segment_fixed_size: 0
    .kernarg_segment_align: 8
    .kernarg_segment_size: 464
    .language:       OpenCL C
    .language_version:
      - 2
      - 0
    .max_flat_workgroup_size: 64
    .name:           _ZL15flash_attn_tileILi64ELi64ELi1ELi2ELb1EEvPKcS1_S1_S1_S1_PKiPfP15HIP_vector_typeIfLj2EEffffjfiS5_IjLj3EEiiiiiiiiiiiliiliiiiil
    .private_segment_fixed_size: 16
    .sgpr_count:     36
    .sgpr_spill_count: 0
    .symbol:         _ZL15flash_attn_tileILi64ELi64ELi1ELi2ELb1EEvPKcS1_S1_S1_S1_PKiPfP15HIP_vector_typeIfLj2EEffffjfiS5_IjLj3EEiiiiiiiiiiiliiliiiiil.kd
    .uniform_work_group_size: 1
    .uses_dynamic_stack: false
    .vgpr_count:     40
    .vgpr_spill_count: 0
    .wavefront_size: 32
    .workgroup_processor_mode: 1
  - .args:
      - .address_space:  global
        .offset:         0
        .size:           8
        .value_kind:     global_buffer
      - .address_space:  global
        .offset:         8
        .size:           8
        .value_kind:     global_buffer
      - .address_space:  global
        .offset:         16
        .size:           8
        .value_kind:     global_buffer
      - .address_space:  global
        .offset:         24
        .size:           8
        .value_kind:     global_buffer
      - .address_space:  global
        .offset:         32
        .size:           8
        .value_kind:     global_buffer
      - .address_space:  global
        .offset:         40
        .size:           8
        .value_kind:     global_buffer
      - .address_space:  global
        .offset:         48
        .size:           8
        .value_kind:     global_buffer
      - .address_space:  global
        .offset:         56
        .size:           8
        .value_kind:     global_buffer
      - .offset:         64
        .size:           4
        .value_kind:     by_value
      - .offset:         68
        .size:           4
        .value_kind:     by_value
      - .offset:         72
        .size:           4
        .value_kind:     by_value
      - .offset:         76
        .size:           4
        .value_kind:     by_value
      - .offset:         80
        .size:           4
        .value_kind:     by_value
      - .offset:         84
        .size:           4
        .value_kind:     by_value
      - .offset:         88
        .size:           4
        .value_kind:     by_value
      - .offset:         92
        .size:           12
        .value_kind:     by_value
      - .offset:         104
        .size:           4
        .value_kind:     by_value
      - .offset:         108
        .size:           4
        .value_kind:     by_value
      - .offset:         112
        .size:           4
        .value_kind:     by_value
      - .offset:         116
        .size:           4
        .value_kind:     by_value
      - .offset:         120
        .size:           4
        .value_kind:     by_value
      - .offset:         124
        .size:           4
        .value_kind:     by_value
      - .offset:         128
        .size:           4
        .value_kind:     by_value
      - .offset:         132
        .size:           4
        .value_kind:     by_value
      - .offset:         136
        .size:           4
        .value_kind:     by_value
      - .offset:         140
        .size:           4
        .value_kind:     by_value
      - .offset:         144
        .size:           4
        .value_kind:     by_value
      - .offset:         152
        .size:           8
        .value_kind:     by_value
      - .offset:         160
        .size:           4
        .value_kind:     by_value
      - .offset:         164
        .size:           4
        .value_kind:     by_value
      - .offset:         168
        .size:           8
        .value_kind:     by_value
      - .offset:         176
        .size:           4
        .value_kind:     by_value
      - .offset:         180
        .size:           4
        .value_kind:     by_value
      - .offset:         184
        .size:           4
        .value_kind:     by_value
      - .offset:         188
        .size:           4
        .value_kind:     by_value
      - .offset:         192
        .size:           4
        .value_kind:     by_value
      - .offset:         200
        .size:           8
        .value_kind:     by_value
      - .offset:         208
        .size:           4
        .value_kind:     hidden_block_count_x
      - .offset:         212
        .size:           4
        .value_kind:     hidden_block_count_y
      - .offset:         216
        .size:           4
        .value_kind:     hidden_block_count_z
      - .offset:         220
        .size:           2
        .value_kind:     hidden_group_size_x
      - .offset:         222
        .size:           2
        .value_kind:     hidden_group_size_y
      - .offset:         224
        .size:           2
        .value_kind:     hidden_group_size_z
      - .offset:         226
        .size:           2
        .value_kind:     hidden_remainder_x
      - .offset:         228
        .size:           2
        .value_kind:     hidden_remainder_y
      - .offset:         230
        .size:           2
        .value_kind:     hidden_remainder_z
      - .offset:         248
        .size:           8
        .value_kind:     hidden_global_offset_x
      - .offset:         256
        .size:           8
        .value_kind:     hidden_global_offset_y
      - .offset:         264
        .size:           8
        .value_kind:     hidden_global_offset_z
      - .offset:         272
        .size:           2
        .value_kind:     hidden_grid_dims
      - .offset:         288
        .size:           8
        .value_kind:     hidden_hostcall_buffer
    .group_segment_fixed_size: 0
    .kernarg_segment_align: 8
    .kernarg_segment_size: 464
    .language:       OpenCL C
    .language_version:
      - 2
      - 0
    .max_flat_workgroup_size: 128
    .name:           _ZL15flash_attn_tileILi64ELi64ELi64ELi1ELb1EEvPKcS1_S1_S1_S1_PKiPfP15HIP_vector_typeIfLj2EEffffjfiS5_IjLj3EEiiiiiiiiiiiliiliiiiil
    .private_segment_fixed_size: 16
    .sgpr_count:     36
    .sgpr_spill_count: 0
    .symbol:         _ZL15flash_attn_tileILi64ELi64ELi64ELi1ELb1EEvPKcS1_S1_S1_S1_PKiPfP15HIP_vector_typeIfLj2EEffffjfiS5_IjLj3EEiiiiiiiiiiiliiliiiiil.kd
    .uniform_work_group_size: 1
    .uses_dynamic_stack: false
    .vgpr_count:     40
    .vgpr_spill_count: 0
    .wavefront_size: 32
    .workgroup_processor_mode: 1
  - .args:
      - .address_space:  global
        .offset:         0
        .size:           8
        .value_kind:     global_buffer
      - .address_space:  global
        .offset:         8
        .size:           8
        .value_kind:     global_buffer
      - .address_space:  global
        .offset:         16
        .size:           8
        .value_kind:     global_buffer
      - .address_space:  global
        .offset:         24
        .size:           8
        .value_kind:     global_buffer
      - .address_space:  global
        .offset:         32
        .size:           8
        .value_kind:     global_buffer
      - .address_space:  global
        .offset:         40
        .size:           8
        .value_kind:     global_buffer
      - .address_space:  global
        .offset:         48
        .size:           8
        .value_kind:     global_buffer
      - .address_space:  global
        .offset:         56
        .size:           8
        .value_kind:     global_buffer
      - .offset:         64
        .size:           4
        .value_kind:     by_value
      - .offset:         68
        .size:           4
        .value_kind:     by_value
      - .offset:         72
        .size:           4
        .value_kind:     by_value
      - .offset:         76
        .size:           4
        .value_kind:     by_value
      - .offset:         80
        .size:           4
        .value_kind:     by_value
      - .offset:         84
        .size:           4
        .value_kind:     by_value
      - .offset:         88
        .size:           4
        .value_kind:     by_value
      - .offset:         92
        .size:           12
        .value_kind:     by_value
      - .offset:         104
        .size:           4
        .value_kind:     by_value
      - .offset:         108
        .size:           4
        .value_kind:     by_value
      - .offset:         112
        .size:           4
        .value_kind:     by_value
      - .offset:         116
        .size:           4
        .value_kind:     by_value
      - .offset:         120
        .size:           4
        .value_kind:     by_value
      - .offset:         124
        .size:           4
        .value_kind:     by_value
      - .offset:         128
        .size:           4
        .value_kind:     by_value
      - .offset:         132
        .size:           4
        .value_kind:     by_value
      - .offset:         136
        .size:           4
        .value_kind:     by_value
      - .offset:         140
        .size:           4
        .value_kind:     by_value
      - .offset:         144
        .size:           4
        .value_kind:     by_value
      - .offset:         152
        .size:           8
        .value_kind:     by_value
      - .offset:         160
        .size:           4
        .value_kind:     by_value
      - .offset:         164
        .size:           4
        .value_kind:     by_value
      - .offset:         168
        .size:           8
        .value_kind:     by_value
      - .offset:         176
        .size:           4
        .value_kind:     by_value
      - .offset:         180
        .size:           4
        .value_kind:     by_value
      - .offset:         184
        .size:           4
        .value_kind:     by_value
      - .offset:         188
        .size:           4
        .value_kind:     by_value
      - .offset:         192
        .size:           4
        .value_kind:     by_value
      - .offset:         200
        .size:           8
        .value_kind:     by_value
      - .offset:         208
        .size:           4
        .value_kind:     hidden_block_count_x
      - .offset:         212
        .size:           4
        .value_kind:     hidden_block_count_y
      - .offset:         216
        .size:           4
        .value_kind:     hidden_block_count_z
      - .offset:         220
        .size:           2
        .value_kind:     hidden_group_size_x
      - .offset:         222
        .size:           2
        .value_kind:     hidden_group_size_y
      - .offset:         224
        .size:           2
        .value_kind:     hidden_group_size_z
      - .offset:         226
        .size:           2
        .value_kind:     hidden_remainder_x
      - .offset:         228
        .size:           2
        .value_kind:     hidden_remainder_y
      - .offset:         230
        .size:           2
        .value_kind:     hidden_remainder_z
      - .offset:         248
        .size:           8
        .value_kind:     hidden_global_offset_x
      - .offset:         256
        .size:           8
        .value_kind:     hidden_global_offset_y
      - .offset:         264
        .size:           8
        .value_kind:     hidden_global_offset_z
      - .offset:         272
        .size:           2
        .value_kind:     hidden_grid_dims
      - .offset:         288
        .size:           8
        .value_kind:     hidden_hostcall_buffer
    .group_segment_fixed_size: 0
    .kernarg_segment_align: 8
    .kernarg_segment_size: 464
    .language:       OpenCL C
    .language_version:
      - 2
      - 0
    .max_flat_workgroup_size: 128
    .name:           _ZL15flash_attn_tileILi64ELi64ELi32ELi1ELb1EEvPKcS1_S1_S1_S1_PKiPfP15HIP_vector_typeIfLj2EEffffjfiS5_IjLj3EEiiiiiiiiiiiliiliiiiil
    .private_segment_fixed_size: 16
    .sgpr_count:     36
    .sgpr_spill_count: 0
    .symbol:         _ZL15flash_attn_tileILi64ELi64ELi32ELi1ELb1EEvPKcS1_S1_S1_S1_PKiPfP15HIP_vector_typeIfLj2EEffffjfiS5_IjLj3EEiiiiiiiiiiiliiliiiiil.kd
    .uniform_work_group_size: 1
    .uses_dynamic_stack: false
    .vgpr_count:     40
    .vgpr_spill_count: 0
    .wavefront_size: 32
    .workgroup_processor_mode: 1
  - .args:
      - .address_space:  global
        .offset:         0
        .size:           8
        .value_kind:     global_buffer
      - .address_space:  global
        .offset:         8
        .size:           8
        .value_kind:     global_buffer
      - .address_space:  global
        .offset:         16
        .size:           8
        .value_kind:     global_buffer
      - .address_space:  global
        .offset:         24
        .size:           8
        .value_kind:     global_buffer
      - .address_space:  global
        .offset:         32
        .size:           8
        .value_kind:     global_buffer
      - .address_space:  global
        .offset:         40
        .size:           8
        .value_kind:     global_buffer
      - .address_space:  global
        .offset:         48
        .size:           8
        .value_kind:     global_buffer
      - .address_space:  global
        .offset:         56
        .size:           8
        .value_kind:     global_buffer
      - .offset:         64
        .size:           4
        .value_kind:     by_value
      - .offset:         68
        .size:           4
        .value_kind:     by_value
      - .offset:         72
        .size:           4
        .value_kind:     by_value
      - .offset:         76
        .size:           4
        .value_kind:     by_value
      - .offset:         80
        .size:           4
        .value_kind:     by_value
      - .offset:         84
        .size:           4
        .value_kind:     by_value
      - .offset:         88
        .size:           4
        .value_kind:     by_value
      - .offset:         92
        .size:           12
        .value_kind:     by_value
      - .offset:         104
        .size:           4
        .value_kind:     by_value
      - .offset:         108
        .size:           4
        .value_kind:     by_value
      - .offset:         112
        .size:           4
        .value_kind:     by_value
      - .offset:         116
        .size:           4
        .value_kind:     by_value
      - .offset:         120
        .size:           4
        .value_kind:     by_value
      - .offset:         124
        .size:           4
        .value_kind:     by_value
      - .offset:         128
        .size:           4
        .value_kind:     by_value
      - .offset:         132
        .size:           4
        .value_kind:     by_value
      - .offset:         136
        .size:           4
        .value_kind:     by_value
      - .offset:         140
        .size:           4
        .value_kind:     by_value
      - .offset:         144
        .size:           4
        .value_kind:     by_value
      - .offset:         152
        .size:           8
        .value_kind:     by_value
      - .offset:         160
        .size:           4
        .value_kind:     by_value
      - .offset:         164
        .size:           4
        .value_kind:     by_value
      - .offset:         168
        .size:           8
        .value_kind:     by_value
      - .offset:         176
        .size:           4
        .value_kind:     by_value
      - .offset:         180
        .size:           4
        .value_kind:     by_value
      - .offset:         184
        .size:           4
        .value_kind:     by_value
      - .offset:         188
        .size:           4
        .value_kind:     by_value
      - .offset:         192
        .size:           4
        .value_kind:     by_value
      - .offset:         200
        .size:           8
        .value_kind:     by_value
      - .offset:         208
        .size:           4
        .value_kind:     hidden_block_count_x
      - .offset:         212
        .size:           4
        .value_kind:     hidden_block_count_y
      - .offset:         216
        .size:           4
        .value_kind:     hidden_block_count_z
      - .offset:         220
        .size:           2
        .value_kind:     hidden_group_size_x
      - .offset:         222
        .size:           2
        .value_kind:     hidden_group_size_y
      - .offset:         224
        .size:           2
        .value_kind:     hidden_group_size_z
      - .offset:         226
        .size:           2
        .value_kind:     hidden_remainder_x
      - .offset:         228
        .size:           2
        .value_kind:     hidden_remainder_y
      - .offset:         230
        .size:           2
        .value_kind:     hidden_remainder_z
      - .offset:         248
        .size:           8
        .value_kind:     hidden_global_offset_x
      - .offset:         256
        .size:           8
        .value_kind:     hidden_global_offset_y
      - .offset:         264
        .size:           8
        .value_kind:     hidden_global_offset_z
      - .offset:         272
        .size:           2
        .value_kind:     hidden_grid_dims
      - .offset:         288
        .size:           8
        .value_kind:     hidden_hostcall_buffer
    .group_segment_fixed_size: 0
    .kernarg_segment_align: 8
    .kernarg_segment_size: 464
    .language:       OpenCL C
    .language_version:
      - 2
      - 0
    .max_flat_workgroup_size: 128
    .name:           _ZL15flash_attn_tileILi64ELi64ELi16ELi1ELb1EEvPKcS1_S1_S1_S1_PKiPfP15HIP_vector_typeIfLj2EEffffjfiS5_IjLj3EEiiiiiiiiiiiliiliiiiil
    .private_segment_fixed_size: 16
    .sgpr_count:     36
    .sgpr_spill_count: 0
    .symbol:         _ZL15flash_attn_tileILi64ELi64ELi16ELi1ELb1EEvPKcS1_S1_S1_S1_PKiPfP15HIP_vector_typeIfLj2EEffffjfiS5_IjLj3EEiiiiiiiiiiiliiliiiiil.kd
    .uniform_work_group_size: 1
    .uses_dynamic_stack: false
    .vgpr_count:     40
    .vgpr_spill_count: 0
    .wavefront_size: 32
    .workgroup_processor_mode: 1
  - .args:
      - .address_space:  global
        .offset:         0
        .size:           8
        .value_kind:     global_buffer
      - .address_space:  global
        .offset:         8
        .size:           8
        .value_kind:     global_buffer
      - .address_space:  global
        .offset:         16
        .size:           8
        .value_kind:     global_buffer
      - .address_space:  global
        .offset:         24
        .size:           8
        .value_kind:     global_buffer
      - .address_space:  global
        .offset:         32
        .size:           8
        .value_kind:     global_buffer
      - .address_space:  global
        .offset:         40
        .size:           8
        .value_kind:     global_buffer
      - .address_space:  global
        .offset:         48
        .size:           8
        .value_kind:     global_buffer
      - .address_space:  global
        .offset:         56
        .size:           8
        .value_kind:     global_buffer
      - .offset:         64
        .size:           4
        .value_kind:     by_value
      - .offset:         68
        .size:           4
        .value_kind:     by_value
      - .offset:         72
        .size:           4
        .value_kind:     by_value
      - .offset:         76
        .size:           4
        .value_kind:     by_value
      - .offset:         80
        .size:           4
        .value_kind:     by_value
      - .offset:         84
        .size:           4
        .value_kind:     by_value
      - .offset:         88
        .size:           4
        .value_kind:     by_value
      - .offset:         92
        .size:           12
        .value_kind:     by_value
      - .offset:         104
        .size:           4
        .value_kind:     by_value
      - .offset:         108
        .size:           4
        .value_kind:     by_value
      - .offset:         112
        .size:           4
        .value_kind:     by_value
      - .offset:         116
        .size:           4
        .value_kind:     by_value
      - .offset:         120
        .size:           4
        .value_kind:     by_value
      - .offset:         124
        .size:           4
        .value_kind:     by_value
      - .offset:         128
        .size:           4
        .value_kind:     by_value
      - .offset:         132
        .size:           4
        .value_kind:     by_value
      - .offset:         136
        .size:           4
        .value_kind:     by_value
      - .offset:         140
        .size:           4
        .value_kind:     by_value
      - .offset:         144
        .size:           4
        .value_kind:     by_value
      - .offset:         152
        .size:           8
        .value_kind:     by_value
      - .offset:         160
        .size:           4
        .value_kind:     by_value
      - .offset:         164
        .size:           4
        .value_kind:     by_value
      - .offset:         168
        .size:           8
        .value_kind:     by_value
      - .offset:         176
        .size:           4
        .value_kind:     by_value
      - .offset:         180
        .size:           4
        .value_kind:     by_value
      - .offset:         184
        .size:           4
        .value_kind:     by_value
      - .offset:         188
        .size:           4
        .value_kind:     by_value
      - .offset:         192
        .size:           4
        .value_kind:     by_value
      - .offset:         200
        .size:           8
        .value_kind:     by_value
      - .offset:         208
        .size:           4
        .value_kind:     hidden_block_count_x
      - .offset:         212
        .size:           4
        .value_kind:     hidden_block_count_y
      - .offset:         216
        .size:           4
        .value_kind:     hidden_block_count_z
      - .offset:         220
        .size:           2
        .value_kind:     hidden_group_size_x
      - .offset:         222
        .size:           2
        .value_kind:     hidden_group_size_y
      - .offset:         224
        .size:           2
        .value_kind:     hidden_group_size_z
      - .offset:         226
        .size:           2
        .value_kind:     hidden_remainder_x
      - .offset:         228
        .size:           2
        .value_kind:     hidden_remainder_y
      - .offset:         230
        .size:           2
        .value_kind:     hidden_remainder_z
      - .offset:         248
        .size:           8
        .value_kind:     hidden_global_offset_x
      - .offset:         256
        .size:           8
        .value_kind:     hidden_global_offset_y
      - .offset:         264
        .size:           8
        .value_kind:     hidden_global_offset_z
      - .offset:         272
        .size:           2
        .value_kind:     hidden_grid_dims
      - .offset:         288
        .size:           8
        .value_kind:     hidden_hostcall_buffer
    .group_segment_fixed_size: 0
    .kernarg_segment_align: 8
    .kernarg_segment_size: 464
    .language:       OpenCL C
    .language_version:
      - 2
      - 0
    .max_flat_workgroup_size: 128
    .name:           _ZL15flash_attn_tileILi64ELi64ELi8ELi1ELb1EEvPKcS1_S1_S1_S1_PKiPfP15HIP_vector_typeIfLj2EEffffjfiS5_IjLj3EEiiiiiiiiiiiliiliiiiil
    .private_segment_fixed_size: 16
    .sgpr_count:     36
    .sgpr_spill_count: 0
    .symbol:         _ZL15flash_attn_tileILi64ELi64ELi8ELi1ELb1EEvPKcS1_S1_S1_S1_PKiPfP15HIP_vector_typeIfLj2EEffffjfiS5_IjLj3EEiiiiiiiiiiiliiliiiiil.kd
    .uniform_work_group_size: 1
    .uses_dynamic_stack: false
    .vgpr_count:     40
    .vgpr_spill_count: 0
    .wavefront_size: 32
    .workgroup_processor_mode: 1
  - .args:
      - .address_space:  global
        .offset:         0
        .size:           8
        .value_kind:     global_buffer
      - .address_space:  global
        .offset:         8
        .size:           8
        .value_kind:     global_buffer
      - .address_space:  global
        .offset:         16
        .size:           8
        .value_kind:     global_buffer
      - .address_space:  global
        .offset:         24
        .size:           8
        .value_kind:     global_buffer
      - .address_space:  global
        .offset:         32
        .size:           8
        .value_kind:     global_buffer
      - .address_space:  global
        .offset:         40
        .size:           8
        .value_kind:     global_buffer
      - .address_space:  global
        .offset:         48
        .size:           8
        .value_kind:     global_buffer
      - .address_space:  global
        .offset:         56
        .size:           8
        .value_kind:     global_buffer
      - .offset:         64
        .size:           4
        .value_kind:     by_value
      - .offset:         68
        .size:           4
        .value_kind:     by_value
      - .offset:         72
        .size:           4
        .value_kind:     by_value
      - .offset:         76
        .size:           4
        .value_kind:     by_value
      - .offset:         80
        .size:           4
        .value_kind:     by_value
      - .offset:         84
        .size:           4
        .value_kind:     by_value
      - .offset:         88
        .size:           4
        .value_kind:     by_value
      - .offset:         92
        .size:           12
        .value_kind:     by_value
      - .offset:         104
        .size:           4
        .value_kind:     by_value
      - .offset:         108
        .size:           4
        .value_kind:     by_value
      - .offset:         112
        .size:           4
        .value_kind:     by_value
      - .offset:         116
        .size:           4
        .value_kind:     by_value
      - .offset:         120
        .size:           4
        .value_kind:     by_value
      - .offset:         124
        .size:           4
        .value_kind:     by_value
      - .offset:         128
        .size:           4
        .value_kind:     by_value
      - .offset:         132
        .size:           4
        .value_kind:     by_value
      - .offset:         136
        .size:           4
        .value_kind:     by_value
      - .offset:         140
        .size:           4
        .value_kind:     by_value
      - .offset:         144
        .size:           4
        .value_kind:     by_value
      - .offset:         152
        .size:           8
        .value_kind:     by_value
      - .offset:         160
        .size:           4
        .value_kind:     by_value
      - .offset:         164
        .size:           4
        .value_kind:     by_value
      - .offset:         168
        .size:           8
        .value_kind:     by_value
      - .offset:         176
        .size:           4
        .value_kind:     by_value
      - .offset:         180
        .size:           4
        .value_kind:     by_value
      - .offset:         184
        .size:           4
        .value_kind:     by_value
      - .offset:         188
        .size:           4
        .value_kind:     by_value
      - .offset:         192
        .size:           4
        .value_kind:     by_value
      - .offset:         200
        .size:           8
        .value_kind:     by_value
      - .offset:         208
        .size:           4
        .value_kind:     hidden_block_count_x
      - .offset:         212
        .size:           4
        .value_kind:     hidden_block_count_y
      - .offset:         216
        .size:           4
        .value_kind:     hidden_block_count_z
      - .offset:         220
        .size:           2
        .value_kind:     hidden_group_size_x
      - .offset:         222
        .size:           2
        .value_kind:     hidden_group_size_y
      - .offset:         224
        .size:           2
        .value_kind:     hidden_group_size_z
      - .offset:         226
        .size:           2
        .value_kind:     hidden_remainder_x
      - .offset:         228
        .size:           2
        .value_kind:     hidden_remainder_y
      - .offset:         230
        .size:           2
        .value_kind:     hidden_remainder_z
      - .offset:         248
        .size:           8
        .value_kind:     hidden_global_offset_x
      - .offset:         256
        .size:           8
        .value_kind:     hidden_global_offset_y
      - .offset:         264
        .size:           8
        .value_kind:     hidden_global_offset_z
      - .offset:         272
        .size:           2
        .value_kind:     hidden_grid_dims
      - .offset:         288
        .size:           8
        .value_kind:     hidden_hostcall_buffer
    .group_segment_fixed_size: 0
    .kernarg_segment_align: 8
    .kernarg_segment_size: 464
    .language:       OpenCL C
    .language_version:
      - 2
      - 0
    .max_flat_workgroup_size: 64
    .name:           _ZL15flash_attn_tileILi64ELi64ELi4ELi1ELb1EEvPKcS1_S1_S1_S1_PKiPfP15HIP_vector_typeIfLj2EEffffjfiS5_IjLj3EEiiiiiiiiiiiliiliiiiil
    .private_segment_fixed_size: 16
    .sgpr_count:     36
    .sgpr_spill_count: 0
    .symbol:         _ZL15flash_attn_tileILi64ELi64ELi4ELi1ELb1EEvPKcS1_S1_S1_S1_PKiPfP15HIP_vector_typeIfLj2EEffffjfiS5_IjLj3EEiiiiiiiiiiiliiliiiiil.kd
    .uniform_work_group_size: 1
    .uses_dynamic_stack: false
    .vgpr_count:     40
    .vgpr_spill_count: 0
    .wavefront_size: 32
    .workgroup_processor_mode: 1
  - .args:
      - .address_space:  global
        .offset:         0
        .size:           8
        .value_kind:     global_buffer
      - .address_space:  global
        .offset:         8
        .size:           8
        .value_kind:     global_buffer
      - .address_space:  global
        .offset:         16
        .size:           8
        .value_kind:     global_buffer
      - .address_space:  global
        .offset:         24
        .size:           8
        .value_kind:     global_buffer
      - .address_space:  global
        .offset:         32
        .size:           8
        .value_kind:     global_buffer
      - .address_space:  global
        .offset:         40
        .size:           8
        .value_kind:     global_buffer
      - .address_space:  global
        .offset:         48
        .size:           8
        .value_kind:     global_buffer
      - .address_space:  global
        .offset:         56
        .size:           8
        .value_kind:     global_buffer
      - .offset:         64
        .size:           4
        .value_kind:     by_value
      - .offset:         68
        .size:           4
        .value_kind:     by_value
      - .offset:         72
        .size:           4
        .value_kind:     by_value
      - .offset:         76
        .size:           4
        .value_kind:     by_value
      - .offset:         80
        .size:           4
        .value_kind:     by_value
      - .offset:         84
        .size:           4
        .value_kind:     by_value
      - .offset:         88
        .size:           4
        .value_kind:     by_value
      - .offset:         92
        .size:           12
        .value_kind:     by_value
      - .offset:         104
        .size:           4
        .value_kind:     by_value
      - .offset:         108
        .size:           4
        .value_kind:     by_value
      - .offset:         112
        .size:           4
        .value_kind:     by_value
      - .offset:         116
        .size:           4
        .value_kind:     by_value
      - .offset:         120
        .size:           4
        .value_kind:     by_value
      - .offset:         124
        .size:           4
        .value_kind:     by_value
      - .offset:         128
        .size:           4
        .value_kind:     by_value
      - .offset:         132
        .size:           4
        .value_kind:     by_value
      - .offset:         136
        .size:           4
        .value_kind:     by_value
      - .offset:         140
        .size:           4
        .value_kind:     by_value
      - .offset:         144
        .size:           4
        .value_kind:     by_value
      - .offset:         152
        .size:           8
        .value_kind:     by_value
      - .offset:         160
        .size:           4
        .value_kind:     by_value
      - .offset:         164
        .size:           4
        .value_kind:     by_value
      - .offset:         168
        .size:           8
        .value_kind:     by_value
      - .offset:         176
        .size:           4
        .value_kind:     by_value
      - .offset:         180
        .size:           4
        .value_kind:     by_value
      - .offset:         184
        .size:           4
        .value_kind:     by_value
      - .offset:         188
        .size:           4
        .value_kind:     by_value
      - .offset:         192
        .size:           4
        .value_kind:     by_value
      - .offset:         200
        .size:           8
        .value_kind:     by_value
      - .offset:         208
        .size:           4
        .value_kind:     hidden_block_count_x
      - .offset:         212
        .size:           4
        .value_kind:     hidden_block_count_y
      - .offset:         216
        .size:           4
        .value_kind:     hidden_block_count_z
      - .offset:         220
        .size:           2
        .value_kind:     hidden_group_size_x
      - .offset:         222
        .size:           2
        .value_kind:     hidden_group_size_y
      - .offset:         224
        .size:           2
        .value_kind:     hidden_group_size_z
      - .offset:         226
        .size:           2
        .value_kind:     hidden_remainder_x
      - .offset:         228
        .size:           2
        .value_kind:     hidden_remainder_y
      - .offset:         230
        .size:           2
        .value_kind:     hidden_remainder_z
      - .offset:         248
        .size:           8
        .value_kind:     hidden_global_offset_x
      - .offset:         256
        .size:           8
        .value_kind:     hidden_global_offset_y
      - .offset:         264
        .size:           8
        .value_kind:     hidden_global_offset_z
      - .offset:         272
        .size:           2
        .value_kind:     hidden_grid_dims
      - .offset:         288
        .size:           8
        .value_kind:     hidden_hostcall_buffer
    .group_segment_fixed_size: 0
    .kernarg_segment_align: 8
    .kernarg_segment_size: 464
    .language:       OpenCL C
    .language_version:
      - 2
      - 0
    .max_flat_workgroup_size: 64
    .name:           _ZL15flash_attn_tileILi64ELi64ELi2ELi1ELb1EEvPKcS1_S1_S1_S1_PKiPfP15HIP_vector_typeIfLj2EEffffjfiS5_IjLj3EEiiiiiiiiiiiliiliiiiil
    .private_segment_fixed_size: 16
    .sgpr_count:     36
    .sgpr_spill_count: 0
    .symbol:         _ZL15flash_attn_tileILi64ELi64ELi2ELi1ELb1EEvPKcS1_S1_S1_S1_PKiPfP15HIP_vector_typeIfLj2EEffffjfiS5_IjLj3EEiiiiiiiiiiiliiliiiiil.kd
    .uniform_work_group_size: 1
    .uses_dynamic_stack: false
    .vgpr_count:     40
    .vgpr_spill_count: 0
    .wavefront_size: 32
    .workgroup_processor_mode: 1
amdhsa.target:   amdgcn-amd-amdhsa--gfx1030
amdhsa.version:
  - 1
  - 2
...

	.end_amdgpu_metadata
